;; amdgpu-corpus repo=ROCm/rocSOLVER kind=compiled arch=gfx90a opt=O3
	.text
	.amdgcn_target "amdgcn-amd-amdhsa--gfx90a"
	.amdhsa_code_object_version 6
	.section	.text._ZN9rocsolver6v33100L6iota_nIfEEvPT_jS2_,"axG",@progbits,_ZN9rocsolver6v33100L6iota_nIfEEvPT_jS2_,comdat
	.globl	_ZN9rocsolver6v33100L6iota_nIfEEvPT_jS2_ ; -- Begin function _ZN9rocsolver6v33100L6iota_nIfEEvPT_jS2_
	.p2align	8
	.type	_ZN9rocsolver6v33100L6iota_nIfEEvPT_jS2_,@function
_ZN9rocsolver6v33100L6iota_nIfEEvPT_jS2_: ; @_ZN9rocsolver6v33100L6iota_nIfEEvPT_jS2_
; %bb.0:
	s_load_dwordx2 s[0:1], s[4:5], 0x8
	s_waitcnt lgkmcnt(0)
	v_cmp_gt_u32_e32 vcc, s0, v0
	s_and_saveexec_b64 s[2:3], vcc
	s_cbranch_execz .LBB0_2
; %bb.1:
	s_load_dwordx2 s[2:3], s[4:5], 0x0
	v_lshlrev_b32_e32 v1, 2, v0
	v_cvt_f32_ubyte0_e32 v0, v0
	v_add_f32_e32 v0, s1, v0
	s_waitcnt lgkmcnt(0)
	global_store_dword v1, v0, s[2:3]
.LBB0_2:
	s_endpgm
	.section	.rodata,"a",@progbits
	.p2align	6, 0x0
	.amdhsa_kernel _ZN9rocsolver6v33100L6iota_nIfEEvPT_jS2_
		.amdhsa_group_segment_fixed_size 0
		.amdhsa_private_segment_fixed_size 0
		.amdhsa_kernarg_size 16
		.amdhsa_user_sgpr_count 6
		.amdhsa_user_sgpr_private_segment_buffer 1
		.amdhsa_user_sgpr_dispatch_ptr 0
		.amdhsa_user_sgpr_queue_ptr 0
		.amdhsa_user_sgpr_kernarg_segment_ptr 1
		.amdhsa_user_sgpr_dispatch_id 0
		.amdhsa_user_sgpr_flat_scratch_init 0
		.amdhsa_user_sgpr_kernarg_preload_length 0
		.amdhsa_user_sgpr_kernarg_preload_offset 0
		.amdhsa_user_sgpr_private_segment_size 0
		.amdhsa_uses_dynamic_stack 0
		.amdhsa_system_sgpr_private_segment_wavefront_offset 0
		.amdhsa_system_sgpr_workgroup_id_x 1
		.amdhsa_system_sgpr_workgroup_id_y 0
		.amdhsa_system_sgpr_workgroup_id_z 0
		.amdhsa_system_sgpr_workgroup_info 0
		.amdhsa_system_vgpr_workitem_id 0
		.amdhsa_next_free_vgpr 2
		.amdhsa_next_free_sgpr 6
		.amdhsa_accum_offset 4
		.amdhsa_reserve_vcc 1
		.amdhsa_reserve_flat_scratch 0
		.amdhsa_float_round_mode_32 0
		.amdhsa_float_round_mode_16_64 0
		.amdhsa_float_denorm_mode_32 3
		.amdhsa_float_denorm_mode_16_64 3
		.amdhsa_dx10_clamp 1
		.amdhsa_ieee_mode 1
		.amdhsa_fp16_overflow 0
		.amdhsa_tg_split 0
		.amdhsa_exception_fp_ieee_invalid_op 0
		.amdhsa_exception_fp_denorm_src 0
		.amdhsa_exception_fp_ieee_div_zero 0
		.amdhsa_exception_fp_ieee_overflow 0
		.amdhsa_exception_fp_ieee_underflow 0
		.amdhsa_exception_fp_ieee_inexact 0
		.amdhsa_exception_int_div_zero 0
	.end_amdhsa_kernel
	.section	.text._ZN9rocsolver6v33100L6iota_nIfEEvPT_jS2_,"axG",@progbits,_ZN9rocsolver6v33100L6iota_nIfEEvPT_jS2_,comdat
.Lfunc_end0:
	.size	_ZN9rocsolver6v33100L6iota_nIfEEvPT_jS2_, .Lfunc_end0-_ZN9rocsolver6v33100L6iota_nIfEEvPT_jS2_
                                        ; -- End function
	.section	.AMDGPU.csdata,"",@progbits
; Kernel info:
; codeLenInByte = 60
; NumSgprs: 10
; NumVgprs: 2
; NumAgprs: 0
; TotalNumVgprs: 2
; ScratchSize: 0
; MemoryBound: 0
; FloatMode: 240
; IeeeMode: 1
; LDSByteSize: 0 bytes/workgroup (compile time only)
; SGPRBlocks: 1
; VGPRBlocks: 0
; NumSGPRsForWavesPerEU: 10
; NumVGPRsForWavesPerEU: 2
; AccumOffset: 4
; Occupancy: 8
; WaveLimiterHint : 0
; COMPUTE_PGM_RSRC2:SCRATCH_EN: 0
; COMPUTE_PGM_RSRC2:USER_SGPR: 6
; COMPUTE_PGM_RSRC2:TRAP_HANDLER: 0
; COMPUTE_PGM_RSRC2:TGID_X_EN: 1
; COMPUTE_PGM_RSRC2:TGID_Y_EN: 0
; COMPUTE_PGM_RSRC2:TGID_Z_EN: 0
; COMPUTE_PGM_RSRC2:TIDIG_COMP_CNT: 0
; COMPUTE_PGM_RSRC3_GFX90A:ACCUM_OFFSET: 0
; COMPUTE_PGM_RSRC3_GFX90A:TG_SPLIT: 0
	.section	.text._ZN9rocsolver6v33100L18geqr2_kernel_smallILi256EfifPKPfEEvT1_S5_T3_lS5_lPT2_lPT0_l,"axG",@progbits,_ZN9rocsolver6v33100L18geqr2_kernel_smallILi256EfifPKPfEEvT1_S5_T3_lS5_lPT2_lPT0_l,comdat
	.globl	_ZN9rocsolver6v33100L18geqr2_kernel_smallILi256EfifPKPfEEvT1_S5_T3_lS5_lPT2_lPT0_l ; -- Begin function _ZN9rocsolver6v33100L18geqr2_kernel_smallILi256EfifPKPfEEvT1_S5_T3_lS5_lPT2_lPT0_l
	.p2align	8
	.type	_ZN9rocsolver6v33100L18geqr2_kernel_smallILi256EfifPKPfEEvT1_S5_T3_lS5_lPT2_lPT0_l,@function
_ZN9rocsolver6v33100L18geqr2_kernel_smallILi256EfifPKPfEEvT1_S5_T3_lS5_lPT2_lPT0_l: ; @_ZN9rocsolver6v33100L18geqr2_kernel_smallILi256EfifPKPfEEvT1_S5_T3_lS5_lPT2_lPT0_l
; %bb.0:
	s_load_dwordx4 s[0:3], s[4:5], 0x8
	s_mov_b32 s18, s7
	s_ashr_i32 s19, s7, 31
	s_lshl_b64 s[6:7], s[18:19], 3
	v_and_b32_e32 v2, 0x7f, v0
	s_waitcnt lgkmcnt(0)
	s_add_u32 s0, s0, s6
	s_addc_u32 s1, s1, s7
	s_load_dwordx2 s[6:7], s[0:1], 0x0
	s_load_dwordx2 s[16:17], s[4:5], 0x0
	s_load_dword s33, s[4:5], 0x18
	s_lshl_b64 s[0:1], s[2:3], 2
	v_lshrrev_b32_e32 v4, 7, v0
	s_waitcnt lgkmcnt(0)
	s_add_u32 s34, s6, s0
	s_addc_u32 s35, s7, s1
	v_cmp_gt_i32_e64 s[0:1], s16, v2
	v_lshl_add_u32 v6, v2, 2, 0
	s_and_saveexec_b64 s[14:15], s[0:1]
	s_cbranch_execz .LBB1_15
; %bb.1:
	s_lshl_b32 s36, s33, 1
	s_sub_i32 s10, 0, s36
	s_cmp_lt_i32 s36, 0
	v_lshrrev_b32_e32 v8, 7, v0
	s_cselect_b64 s[6:7], -1, 0
	v_xad_u32 v5, v8, -1, s17
	s_and_b64 s[8:9], s[6:7], exec
	v_lshrrev_b32_e32 v7, 1, v5
	s_cselect_b32 s8, s10, s36
	v_add_u32_e32 v10, 1, v7
	v_cmp_gt_u32_e64 s[20:21], 26, v5
	v_cmp_lt_u32_e64 s[2:3], 25, v5
	v_mul_lo_u32 v5, s8, v7
	v_mul_hi_u32 v7, s8, v7
	v_cmp_ne_u32_e64 s[8:9], 0, v7
	v_and_b32_e32 v7, -2, v10
	v_mul_lo_u32 v1, v8, s33
	v_lshl_or_b32 v11, v7, 1, v8
	v_cmp_gt_i32_e32 vcc, s17, v8
	s_mov_b32 s37, 0
	v_add_u32_e32 v3, v1, v2
	v_or_b32_e32 v9, 2, v8
	s_mov_b32 s38, s33
	s_mov_b32 s39, s16
	;; [unrolled: 1-line block ×3, first 2 shown]
	v_cmp_ne_u32_e64 s[10:11], v10, v7
	v_lshl_add_u32 v10, v2, 2, 0
	s_lshl_b32 s41, s16, 2
	s_lshl_b32 s42, s16, 3
	s_mov_b64 s[22:23], 0
	v_mul_lo_u32 v18, s33, v11
	v_mov_b32_e32 v12, v2
	s_branch .LBB1_3
.LBB1_2:                                ;   in Loop: Header=BB1_3 Depth=1
	s_or_b64 exec, exec, s[24:25]
	v_add_u32_e32 v12, 0x80, v12
	s_add_i32 s37, s37, 1
	v_cmp_le_i32_e64 s[12:13], s16, v12
	s_or_b64 s[22:23], s[12:13], s[22:23]
	v_add_u32_e32 v10, 0x200, v10
	s_andn2_b64 exec, exec, s[22:23]
	s_cbranch_execz .LBB1_15
.LBB1_3:                                ; =>This Loop Header: Depth=1
                                        ;     Child Loop BB1_7 Depth 2
                                        ;     Child Loop BB1_14 Depth 2
	s_and_saveexec_b64 s[24:25], vcc
	s_cbranch_execz .LBB1_2
; %bb.4:                                ;   in Loop: Header=BB1_3 Depth=1
	s_mov_b64 s[12:13], s[20:21]
	v_mov_b32_e32 v13, v8
	v_mov_b32_e32 v16, v1
	s_and_saveexec_b64 s[26:27], s[2:3]
	s_cbranch_execz .LBB1_12
; %bb.5:                                ;   in Loop: Header=BB1_3 Depth=1
	v_lshl_add_u32 v13, s37, 7, v3
	v_sub_u32_e32 v15, v13, v5
	v_add_u32_e32 v14, v13, v5
	v_cmp_gt_i32_e64 s[12:13], v15, v13
	v_cndmask_b32_e64 v15, 0, 1, s[12:13]
	v_cmp_lt_i32_e64 s[12:13], v14, v13
	v_cndmask_b32_e64 v13, 0, 1, s[12:13]
	v_cndmask_b32_e64 v13, v13, v15, s[6:7]
	v_and_b32_e32 v13, 1, v13
	v_cmp_eq_u32_e64 s[12:13], 1, v13
	s_or_b64 s[28:29], s[12:13], s[8:9]
	s_mov_b64 s[12:13], -1
	s_xor_b64 s[30:31], s[28:29], -1
	v_mov_b32_e32 v13, v8
	v_mov_b32_e32 v16, v1
	s_and_saveexec_b64 s[28:29], s[30:31]
	s_cbranch_execz .LBB1_11
; %bb.6:                                ;   in Loop: Header=BB1_3 Depth=1
	v_lshl_add_u32 v16, v12, 2, 0
	v_mov_b32_e32 v13, v12
	s_mov_b64 s[30:31], 0
	v_mov_b32_e32 v17, v7
	v_pk_mov_b32 v[14:15], v[8:9], v[8:9] op_sel:[0,1]
.LBB1_7:                                ;   Parent Loop BB1_3 Depth=1
                                        ; =>  This Inner Loop Header: Depth=2
	v_mad_u64_u32 v[20:21], s[12:13], v14, s33, v[12:13]
	v_mov_b32_e32 v22, v13
	v_ashrrev_i32_e32 v21, 31, v20
	v_mad_u64_u32 v[22:23], s[12:13], v15, s38, v[22:23]
	v_lshlrev_b64 v[20:21], 2, v[20:21]
	v_mov_b32_e32 v19, s35
	v_ashrrev_i32_e32 v23, 31, v22
	v_add_co_u32_e64 v20, s[12:13], s34, v20
	v_addc_co_u32_e64 v21, s[12:13], v19, v21, s[12:13]
	v_lshlrev_b64 v[22:23], 2, v[22:23]
	v_mov_b32_e32 v24, s35
	v_add_co_u32_e64 v22, s[12:13], s34, v22
	v_addc_co_u32_e64 v23, s[12:13], v24, v23, s[12:13]
	global_load_dword v19, v[20:21], off
	global_load_dword v24, v[22:23], off
	v_add_u32_e32 v17, -2, v17
	v_mul_lo_u32 v21, v14, s39
	v_cmp_eq_u32_e64 s[12:13], 0, v17
	v_mul_lo_u32 v20, v15, s40
	v_add_u32_e32 v14, 4, v14
	v_lshl_add_u32 v21, v21, 2, v16
	v_add_u32_e32 v15, 4, v15
	s_or_b64 s[30:31], s[12:13], s[30:31]
	v_lshl_add_u32 v20, v20, 2, v16
	s_waitcnt vmcnt(1)
	ds_write_b32 v21, v19
	s_waitcnt vmcnt(0)
	ds_write_b32 v20, v24
	s_andn2_b64 exec, exec, s[30:31]
	s_cbranch_execnz .LBB1_7
; %bb.8:                                ;   in Loop: Header=BB1_3 Depth=1
	s_or_b64 exec, exec, s[30:31]
	s_mov_b64 s[12:13], 0
	s_and_saveexec_b64 s[30:31], s[10:11]
	s_xor_b64 s[30:31], exec, s[30:31]
; %bb.9:                                ;   in Loop: Header=BB1_3 Depth=1
	s_mov_b64 s[12:13], exec
; %bb.10:                               ;   in Loop: Header=BB1_3 Depth=1
	s_or_b64 exec, exec, s[30:31]
	s_orn2_b64 s[12:13], s[12:13], exec
	v_mov_b32_e32 v13, v11
	v_mov_b32_e32 v16, v18
.LBB1_11:                               ;   in Loop: Header=BB1_3 Depth=1
	s_or_b64 exec, exec, s[28:29]
	s_andn2_b64 s[28:29], s[20:21], exec
	s_and_b64 s[12:13], s[12:13], exec
	s_or_b64 s[12:13], s[28:29], s[12:13]
.LBB1_12:                               ;   in Loop: Header=BB1_3 Depth=1
	s_or_b64 exec, exec, s[26:27]
	s_and_b64 exec, exec, s[12:13]
	s_cbranch_execz .LBB1_2
; %bb.13:                               ;   in Loop: Header=BB1_3 Depth=1
	v_mad_u64_u32 v[14:15], s[12:13], s41, v13, v[10:11]
	v_add_u32_e32 v16, v12, v16
	s_mov_b64 s[26:27], 0
.LBB1_14:                               ;   Parent Loop BB1_3 Depth=1
                                        ; =>  This Inner Loop Header: Depth=2
	v_ashrrev_i32_e32 v17, 31, v16
	v_lshlrev_b64 v[20:21], 2, v[16:17]
	v_mov_b32_e32 v15, s35
	v_add_co_u32_e64 v20, s[12:13], s34, v20
	v_addc_co_u32_e64 v21, s[12:13], v15, v21, s[12:13]
	global_load_dword v15, v[20:21], off
	v_add_u32_e32 v13, 2, v13
	v_cmp_le_i32_e64 s[12:13], s17, v13
	v_add_u32_e32 v16, s36, v16
	s_or_b64 s[26:27], s[12:13], s[26:27]
	s_waitcnt vmcnt(0)
	ds_write_b32 v14, v15
	v_add_u32_e32 v14, s42, v14
	s_andn2_b64 exec, exec, s[26:27]
	s_cbranch_execnz .LBB1_14
	s_branch .LBB1_2
.LBB1_15:
	s_or_b64 exec, exec, s[14:15]
	s_min_i32 s24, s17, s16
	s_cmp_lt_i32 s24, 1
	s_waitcnt lgkmcnt(0)
	s_barrier
	s_cbranch_scc1 .LBB1_53
; %bb.16:
	s_load_dwordx8 s[8:15], s[4:5], 0x28
	v_mbcnt_lo_u32_b32 v1, -1, 0
	v_mbcnt_hi_u32_b32 v9, -1, v1
	v_and_b32_e32 v10, 63, v9
	v_cmp_ne_u32_e32 vcc, 63, v10
	s_waitcnt lgkmcnt(0)
	s_mul_i32 s3, s18, s11
	s_mul_hi_u32 s4, s18, s10
	s_mul_i32 s5, s19, s10
	s_add_i32 s3, s4, s3
	s_mul_i32 s2, s18, s10
	s_add_i32 s3, s3, s5
	s_lshl_b64 s[2:3], s[2:3], 2
	s_mul_i32 s6, s18, s15
	s_add_u32 s25, s8, s2
	s_mul_hi_u32 s2, s18, s14
	s_addc_u32 s26, s9, s3
	s_add_i32 s2, s2, s6
	s_mul_i32 s3, s19, s14
	s_add_i32 s3, s2, s3
	s_mul_i32 s2, s18, s14
	s_lshl_b64 s[2:3], s[2:3], 2
	v_addc_co_u32_e32 v1, vcc, 0, v9, vcc
	s_add_u32 s27, s12, s2
	s_mul_i32 s2, s17, s16
	v_cmp_gt_u32_e32 vcc, 62, v10
	s_addc_u32 s28, s13, s3
	s_lshl_b32 s2, s2, 2
	v_cndmask_b32_e64 v3, 0, 1, vcc
	v_cmp_gt_u32_e32 vcc, 60, v10
	s_add_i32 s29, s2, 0
	s_lshl_b32 s2, s17, 2
	v_cndmask_b32_e64 v5, 0, 1, vcc
	v_cmp_gt_u32_e32 vcc, 56, v10
	s_add_i32 s30, s29, s2
	v_cndmask_b32_e64 v7, 0, 1, vcc
	v_cmp_gt_u32_e32 vcc, 48, v10
	v_cndmask_b32_e64 v8, 0, 1, vcc
	v_cmp_gt_u32_e32 vcc, 32, v10
	s_cmp_eq_u64 s[8:9], 0
	v_cndmask_b32_e64 v10, 0, 1, vcc
	s_cselect_b64 s[12:13], -1, 0
	s_cmp_lg_u64 s[8:9], 0
	v_lshlrev_b32_e32 v3, 1, v3
	v_lshlrev_b32_e32 v5, 2, v5
	v_lshlrev_b32_e32 v7, 3, v7
	v_lshlrev_b32_e32 v8, 4, v8
	v_lshlrev_b32_e32 v10, 5, v10
	s_cselect_b64 s[14:15], -1, 0
	s_lshl_b32 s31, s16, 2
	v_mul_lo_u32 v11, s16, v0
	s_mov_b32 s11, 0
	v_add_lshl_u32 v3, v3, v9, 2
	v_add_lshl_u32 v5, v5, v9, 2
	;; [unrolled: 1-line block ×5, first 2 shown]
	v_and_b32_e32 v10, 63, v0
	v_lshrrev_b32_e32 v13, 4, v0
	v_lshlrev_b32_e32 v12, 2, v0
	v_add_u32_e32 v11, s16, v11
	s_add_i32 s6, s31, 0
	v_lshlrev_b32_e32 v1, 2, v1
	v_cmp_eq_u32_e64 s[2:3], 0, v10
	v_cmp_eq_u32_e64 s[4:5], 0, v0
	v_add3_u32 v10, v12, 0, 4
	s_add_i32 s36, s31, 4
	v_lshl_add_u32 v11, v11, 2, 0
	s_lshl_b32 s37, s16, 10
	v_add_u32_e32 v12, s6, v12
	v_add_u32_e32 v13, s30, v13
	v_mov_b32_e32 v14, 0
	s_mov_b32 s38, 0xf800000
	v_mov_b32_e32 v15, 0x260
	s_mov_b32 s39, 0
	s_mov_b32 s10, s11
	s_branch .LBB1_18
.LBB1_17:                               ;   in Loop: Header=BB1_18 Depth=1
	s_or_b64 exec, exec, s[6:7]
	s_add_i32 s10, s10, 1
	s_add_i32 s39, s39, s36
	v_add_u32_e32 v10, s36, v10
	v_add_u32_e32 v11, s36, v11
	s_cmp_eq_u32 s10, s24
	v_add_u32_e32 v12, s36, v12
	s_waitcnt lgkmcnt(0)
	s_barrier
	s_cbranch_scc1 .LBB1_53
.LBB1_18:                               ; =>This Loop Header: Depth=1
                                        ;     Child Loop BB1_20 Depth 2
                                        ;     Child Loop BB1_34 Depth 2
	;; [unrolled: 1-line block ×3, first 2 shown]
                                        ;       Child Loop BB1_41 Depth 3
                                        ;     Child Loop BB1_45 Depth 2
                                        ;       Child Loop BB1_47 Depth 3
	s_sub_i32 s40, s16, s10
	s_add_i32 s42, s40, -1
	v_cmp_gt_i32_e64 s[6:7], s42, v0
	v_mov_b32_e32 v16, 0
	s_and_saveexec_b64 s[8:9], s[6:7]
	s_cbranch_execz .LBB1_22
; %bb.19:                               ;   in Loop: Header=BB1_18 Depth=1
	s_mov_b64 s[18:19], 0
	v_mov_b32_e32 v16, 0
	v_mov_b32_e32 v17, v10
	;; [unrolled: 1-line block ×3, first 2 shown]
.LBB1_20:                               ;   Parent Loop BB1_18 Depth=1
                                        ; =>  This Inner Loop Header: Depth=2
	ds_read_b32 v19, v17
	v_add_u32_e32 v18, 0x100, v18
	v_cmp_le_i32_e32 vcc, s42, v18
	v_add_u32_e32 v17, 0x400, v17
	s_or_b64 s[18:19], vcc, s[18:19]
	s_waitcnt lgkmcnt(0)
	v_mul_f32_e32 v19, v19, v19
	v_add_f32_e32 v16, v16, v19
	s_andn2_b64 exec, exec, s[18:19]
	s_cbranch_execnz .LBB1_20
; %bb.21:                               ;   in Loop: Header=BB1_18 Depth=1
	s_or_b64 exec, exec, s[18:19]
.LBB1_22:                               ;   in Loop: Header=BB1_18 Depth=1
	s_or_b64 exec, exec, s[8:9]
	ds_bpermute_b32 v17, v1, v16
	s_waitcnt lgkmcnt(0)
	v_add_f32_e32 v16, v16, v17
	ds_bpermute_b32 v17, v3, v16
	s_waitcnt lgkmcnt(0)
	v_add_f32_e32 v16, v16, v17
	;; [unrolled: 3-line block ×6, first 2 shown]
	s_and_saveexec_b64 s[8:9], s[2:3]
	s_cbranch_execz .LBB1_24
; %bb.23:                               ;   in Loop: Header=BB1_18 Depth=1
	ds_write_b32 v13, v16 offset:4
.LBB1_24:                               ;   in Loop: Header=BB1_18 Depth=1
	s_or_b64 exec, exec, s[8:9]
	s_lshl_b32 s8, s10, 2
	s_add_i32 s41, s8, 0
	s_mul_i32 s8, s10, s16
	s_lshl_b32 s8, s8, 2
	s_add_i32 s41, s41, s8
	s_waitcnt lgkmcnt(0)
	s_barrier
	s_and_saveexec_b64 s[18:19], s[4:5]
	s_cbranch_execz .LBB1_32
; %bb.25:                               ;   in Loop: Header=BB1_18 Depth=1
	v_mov_b32_e32 v17, s30
	ds_read2_b32 v[18:19], v17 offset0:2 offset1:3
	ds_read_b32 v17, v17 offset:16
	s_mov_b64 s[8:9], 0
	s_mov_b64 s[20:21], 0
                                        ; implicit-def: $sgpr43
                                        ; implicit-def: $sgpr44
                                        ; implicit-def: $sgpr45
	s_waitcnt lgkmcnt(1)
	v_add_f32_e32 v16, v16, v18
	v_add_f32_e32 v16, v16, v19
	s_waitcnt lgkmcnt(0)
	v_add_f32_e32 v18, v16, v17
	v_cmp_nlt_f32_e32 vcc, 0, v18
                                        ; implicit-def: $vgpr16
	s_and_saveexec_b64 s[22:23], vcc
	s_xor_b64 s[22:23], exec, s[22:23]
	s_cbranch_execnz .LBB1_48
; %bb.26:                               ;   in Loop: Header=BB1_18 Depth=1
	s_or_saveexec_b64 s[22:23], s[22:23]
	v_mov_b32_e32 v17, s45
	s_xor_b64 exec, exec, s[22:23]
	s_cbranch_execnz .LBB1_52
.LBB1_27:                               ;   in Loop: Header=BB1_18 Depth=1
	s_or_b64 exec, exec, s[22:23]
	s_and_saveexec_b64 s[22:23], s[20:21]
	s_cbranch_execz .LBB1_29
.LBB1_28:                               ;   in Loop: Header=BB1_18 Depth=1
	s_lshl_b64 s[20:21], s[10:11], 2
	s_add_u32 s20, s25, s20
	s_addc_u32 s21, s26, s21
	s_waitcnt lgkmcnt(0)
	global_store_dword v14, v16, s[20:21]
	v_mov_b32_e32 v16, 1.0
	s_or_b64 s[8:9], s[8:9], exec
.LBB1_29:                               ;   in Loop: Header=BB1_18 Depth=1
	s_or_b64 exec, exec, s[22:23]
	v_mov_b32_e32 v18, s44
	v_mov_b32_e32 v19, s43
	s_and_saveexec_b64 s[20:21], s[8:9]
	s_cbranch_execz .LBB1_31
; %bb.30:                               ;   in Loop: Header=BB1_18 Depth=1
	v_mov_b32_e32 v18, s41
	s_waitcnt lgkmcnt(0)
	ds_write_b32 v18, v16
	v_mov_b32_e32 v16, s30
	ds_read_b32 v18, v16
	v_mov_b32_e32 v19, v17
.LBB1_31:                               ;   in Loop: Header=BB1_18 Depth=1
	s_or_b64 exec, exec, s[20:21]
	s_lshl_b64 s[8:9], s[10:11], 2
	s_add_u32 s8, s27, s8
	s_addc_u32 s9, s28, s9
	s_waitcnt lgkmcnt(0)
	v_mov_b32_e32 v16, s30
	global_store_dword v14, v18, s[8:9]
	ds_write_b32 v16, v19 offset:4
.LBB1_32:                               ;   in Loop: Header=BB1_18 Depth=1
	s_or_b64 exec, exec, s[18:19]
	s_waitcnt lgkmcnt(0)
	s_barrier
	s_and_saveexec_b64 s[8:9], s[6:7]
	s_cbranch_execz .LBB1_35
; %bb.33:                               ;   in Loop: Header=BB1_18 Depth=1
	s_mov_b32 s18, 0
	s_mov_b64 s[6:7], 0
	v_mov_b32_e32 v16, v0
.LBB1_34:                               ;   Parent Loop BB1_18 Depth=1
                                        ; =>  This Inner Loop Header: Depth=2
	v_mov_b32_e32 v17, s30
	v_add_u32_e32 v18, s18, v10
	ds_read_b32 v17, v17 offset:4
	ds_read_b32 v19, v18
	v_add_u32_e32 v16, 0x100, v16
	s_addk_i32 s18, 0x400
	v_cmp_le_i32_e32 vcc, s42, v16
	s_or_b64 s[6:7], vcc, s[6:7]
	s_waitcnt lgkmcnt(0)
	v_mul_f32_e32 v17, v17, v19
	ds_write_b32 v18, v17
	s_andn2_b64 exec, exec, s[6:7]
	s_cbranch_execnz .LBB1_34
.LBB1_35:                               ;   in Loop: Header=BB1_18 Depth=1
	s_or_b64 exec, exec, s[8:9]
	s_not_b32 s20, s10
	s_add_i32 s20, s20, s17
	v_cmp_gt_i32_e32 vcc, s20, v0
	s_waitcnt lgkmcnt(0)
	s_barrier
	s_and_saveexec_b64 s[6:7], vcc
	s_cbranch_execz .LBB1_42
; %bb.36:                               ;   in Loop: Header=BB1_18 Depth=1
	s_cmp_gt_i32 s40, 0
	s_mov_b64 s[8:9], 0
	s_cselect_b64 s[18:19], -1, 0
	v_mov_b32_e32 v16, v11
	v_mov_b32_e32 v17, v0
	s_branch .LBB1_39
.LBB1_37:                               ;   in Loop: Header=BB1_39 Depth=2
	v_mov_b32_e32 v18, 0
.LBB1_38:                               ;   in Loop: Header=BB1_39 Depth=2
	v_mov_b32_e32 v19, s30
	ds_read_b32 v19, v19
	v_lshl_add_u32 v20, v17, 2, s29
	v_add_u32_e32 v17, 0x100, v17
	v_cmp_le_i32_e32 vcc, s20, v17
	s_or_b64 s[8:9], vcc, s[8:9]
	s_waitcnt lgkmcnt(0)
	v_mul_f32_e32 v18, v18, v19
	v_add_u32_e32 v16, s37, v16
	ds_write_b32 v20, v18
	s_andn2_b64 exec, exec, s[8:9]
	s_cbranch_execz .LBB1_42
.LBB1_39:                               ;   Parent Loop BB1_18 Depth=1
                                        ; =>  This Loop Header: Depth=2
                                        ;       Child Loop BB1_41 Depth 3
	s_andn2_b64 vcc, exec, s[18:19]
	s_cbranch_vccnz .LBB1_37
; %bb.40:                               ;   in Loop: Header=BB1_39 Depth=2
	s_mov_b32 s21, 0
	v_mov_b32_e32 v18, 0
	s_mov_b32 s22, s39
	v_mov_b32_e32 v19, v16
.LBB1_41:                               ;   Parent Loop BB1_18 Depth=1
                                        ;     Parent Loop BB1_39 Depth=2
                                        ; =>    This Inner Loop Header: Depth=3
	v_mov_b32_e32 v21, s22
	ds_read_b32 v20, v19
	ds_read_b32 v21, v21
	s_add_i32 s21, s21, 1
	s_add_i32 s22, s22, 4
	v_add_u32_e32 v19, 4, v19
	s_cmp_ge_i32 s21, s40
	s_waitcnt lgkmcnt(0)
	v_fmac_f32_e32 v18, v20, v21
	s_cbranch_scc0 .LBB1_41
	s_branch .LBB1_38
.LBB1_42:                               ;   in Loop: Header=BB1_18 Depth=1
	s_or_b64 exec, exec, s[6:7]
	v_cmp_gt_i32_e32 vcc, s40, v0
	s_waitcnt lgkmcnt(0)
	s_barrier
	s_and_saveexec_b64 s[6:7], vcc
	s_cbranch_execz .LBB1_17
; %bb.43:                               ;   in Loop: Header=BB1_18 Depth=1
	s_cmp_gt_i32 s20, 0
	s_mov_b64 s[8:9], 0
	s_cselect_b64 s[18:19], -1, 0
	v_mov_b32_e32 v16, v12
	v_mov_b32_e32 v17, v0
	s_branch .LBB1_45
.LBB1_44:                               ;   in Loop: Header=BB1_45 Depth=2
	v_add_u32_e32 v17, 0x100, v17
	v_cmp_le_i32_e32 vcc, s40, v17
	s_or_b64 s[8:9], vcc, s[8:9]
	v_add_u32_e32 v16, 0x400, v16
	s_andn2_b64 exec, exec, s[8:9]
	s_cbranch_execz .LBB1_17
.LBB1_45:                               ;   Parent Loop BB1_18 Depth=1
                                        ; =>  This Loop Header: Depth=2
                                        ;       Child Loop BB1_47 Depth 3
	s_andn2_b64 vcc, exec, s[18:19]
	s_cbranch_vccnz .LBB1_44
; %bb.46:                               ;   in Loop: Header=BB1_45 Depth=2
	v_lshl_add_u32 v18, v17, 2, s41
	s_mov_b32 s21, 0
	s_mov_b32 s22, s29
	v_mov_b32_e32 v19, v16
.LBB1_47:                               ;   Parent Loop BB1_18 Depth=1
                                        ;     Parent Loop BB1_45 Depth=2
                                        ; =>    This Inner Loop Header: Depth=3
	v_mov_b32_e32 v22, s22
	ds_read_b32 v20, v19
	ds_read_b32 v21, v18
	;; [unrolled: 1-line block ×3, first 2 shown]
	s_add_i32 s21, s21, 1
	s_add_i32 s22, s22, 4
	s_cmp_ge_i32 s21, s20
	s_waitcnt lgkmcnt(0)
	v_fma_f32 v20, -v21, v22, v20
	ds_write_b32 v19, v20
	v_add_u32_e32 v19, s31, v19
	s_cbranch_scc0 .LBB1_47
	s_branch .LBB1_44
.LBB1_48:                               ;   in Loop: Header=BB1_18 Depth=1
	v_mov_b32_e32 v16, s30
	s_and_b64 vcc, exec, s[14:15]
	ds_write_b32 v16, v14
	s_cbranch_vccz .LBB1_50
; %bb.49:                               ;   in Loop: Header=BB1_18 Depth=1
	v_mov_b32_e32 v16, s41
	ds_read_b32 v16, v16
	s_mov_b64 s[20:21], -1
	s_mov_b32 s45, 1.0
	s_branch .LBB1_51
.LBB1_50:                               ;   in Loop: Header=BB1_18 Depth=1
                                        ; implicit-def: $vgpr16
                                        ; implicit-def: $sgpr45
.LBB1_51:                               ;   in Loop: Header=BB1_18 Depth=1
	s_mov_b32 s44, 0
	s_mov_b32 s43, 1.0
	s_and_b64 s[20:21], s[20:21], exec
                                        ; implicit-def: $vgpr18
	s_or_saveexec_b64 s[22:23], s[22:23]
	v_mov_b32_e32 v17, s45
	s_xor_b64 exec, exec, s[22:23]
	s_cbranch_execz .LBB1_27
.LBB1_52:                               ;   in Loop: Header=BB1_18 Depth=1
	s_waitcnt lgkmcnt(0)
	v_mov_b32_e32 v16, s41
	ds_read_b32 v17, v16
	s_andn2_b64 s[20:21], s[20:21], exec
	s_and_b64 s[46:47], s[14:15], exec
	s_or_b64 s[20:21], s[20:21], s[46:47]
	s_waitcnt lgkmcnt(0)
	v_fmac_f32_e32 v18, v17, v17
	v_mul_f32_e32 v16, 0x4f800000, v18
	v_cmp_gt_f32_e32 vcc, s38, v18
	v_cndmask_b32_e32 v16, v18, v16, vcc
	v_sqrt_f32_e32 v18, v16
	v_add_u32_e32 v19, -1, v18
	v_add_u32_e32 v20, 1, v18
	v_fma_f32 v21, -v19, v18, v16
	v_fma_f32 v22, -v20, v18, v16
	v_cmp_ge_f32_e64 s[8:9], 0, v21
	v_cndmask_b32_e64 v18, v18, v19, s[8:9]
	v_cmp_lt_f32_e64 s[8:9], 0, v22
	v_cndmask_b32_e64 v18, v18, v20, s[8:9]
	v_mul_f32_e32 v19, 0x37800000, v18
	v_cndmask_b32_e32 v18, v18, v19, vcc
	v_cmp_class_f32_e32 vcc, v16, v15
	v_cndmask_b32_e32 v16, v18, v16, vcc
	v_cmp_le_f32_e32 vcc, 0, v17
	v_cndmask_b32_e64 v16, v16, -v16, vcc
	v_sub_f32_e32 v18, v17, v16
	v_div_scale_f32 v19, s[8:9], v18, v18, 1.0
	v_rcp_f32_e32 v20, v19
	v_div_scale_f32 v21, vcc, 1.0, v18, 1.0
	v_fma_f32 v22, -v19, v20, 1.0
	v_fmac_f32_e32 v20, v22, v20
	v_mul_f32_e32 v22, v21, v20
	v_fma_f32 v23, -v19, v22, v21
	v_fmac_f32_e32 v22, v23, v20
	v_fma_f32 v19, -v19, v22, v21
	v_sub_f32_e32 v21, v16, v17
	v_div_scale_f32 v23, s[8:9], v16, v16, v21
	v_rcp_f32_e32 v24, v23
	v_div_fmas_f32 v17, v19, v20, v22
	v_div_fixup_f32 v17, v17, v18, 1.0
	s_and_b64 s[8:9], s[12:13], exec
	v_fma_f32 v18, -v23, v24, 1.0
	v_fmac_f32_e32 v24, v18, v24
	v_div_scale_f32 v18, vcc, v21, v16, v21
	v_mul_f32_e32 v19, v18, v24
	v_fma_f32 v20, -v23, v19, v18
	v_fmac_f32_e32 v19, v20, v24
	v_fma_f32 v18, -v23, v19, v18
	v_div_fmas_f32 v18, v18, v24, v19
	v_div_fixup_f32 v18, v18, v16, v21
	v_mov_b32_e32 v19, s30
	ds_write_b32 v19, v18
	s_or_b64 exec, exec, s[22:23]
	s_and_saveexec_b64 s[22:23], s[20:21]
	s_cbranch_execnz .LBB1_28
	s_branch .LBB1_29
.LBB1_53:
	s_and_saveexec_b64 s[2:3], s[0:1]
	s_cbranch_execz .LBB1_68
; %bb.54:
	s_lshl_b32 s24, s33, 1
	s_sub_i32 s6, 0, s24
	v_xad_u32 v0, v4, -1, s17
	s_cmp_lt_i32 s24, 0
	v_lshrrev_b32_e32 v1, 1, v0
	s_cselect_b64 s[2:3], -1, 0
	v_add_u32_e32 v3, 1, v1
	s_and_b64 s[4:5], s[2:3], exec
	s_cselect_b32 s4, s6, s24
	v_and_b32_e32 v12, -2, v3
	v_mul_lo_u32 v7, v4, s33
	v_cmp_gt_u32_e64 s[12:13], 26, v0
	v_cmp_lt_u32_e64 s[0:1], 25, v0
	v_mul_hi_u32 v0, s4, v1
	v_lshl_or_b32 v13, v12, 1, v4
	v_cmp_gt_i32_e32 vcc, s17, v4
	s_mov_b32 s25, 0
	v_add_u32_e32 v10, v7, v2
	v_mul_lo_u32 v11, s4, v1
	v_cmp_ne_u32_e64 s[4:5], 0, v0
	v_or_b32_e32 v5, 2, v4
	s_mov_b32 s26, s16
	s_mov_b32 s27, s16
	;; [unrolled: 1-line block ×3, first 2 shown]
	v_cmp_ne_u32_e64 s[6:7], v3, v12
	s_lshl_b32 s29, s16, 2
	s_lshl_b32 s30, s16, 3
	s_mov_b64 s[14:15], 0
	v_mul_lo_u32 v14, s33, v13
	s_branch .LBB1_56
.LBB1_55:                               ;   in Loop: Header=BB1_56 Depth=1
	s_or_b64 exec, exec, s[18:19]
	v_add_u32_e32 v2, 0x80, v2
	s_add_i32 s25, s25, 1
	v_cmp_le_i32_e64 s[8:9], s16, v2
	s_or_b64 s[14:15], s[8:9], s[14:15]
	v_add_u32_e32 v6, 0x200, v6
	s_andn2_b64 exec, exec, s[14:15]
	s_cbranch_execz .LBB1_68
.LBB1_56:                               ; =>This Loop Header: Depth=1
                                        ;     Child Loop BB1_60 Depth 2
                                        ;     Child Loop BB1_67 Depth 2
	s_and_saveexec_b64 s[18:19], vcc
	s_cbranch_execz .LBB1_55
; %bb.57:                               ;   in Loop: Header=BB1_56 Depth=1
	s_mov_b64 s[8:9], s[12:13]
	v_mov_b32_e32 v3, v4
	v_mov_b32_e32 v0, v7
	s_and_saveexec_b64 s[10:11], s[0:1]
	s_cbranch_execz .LBB1_65
; %bb.58:                               ;   in Loop: Header=BB1_56 Depth=1
	v_lshl_add_u32 v0, s25, 7, v10
	v_sub_u32_e32 v3, v0, v11
	v_add_u32_e32 v1, v0, v11
	v_cmp_gt_i32_e64 s[8:9], v3, v0
	v_cndmask_b32_e64 v3, 0, 1, s[8:9]
	v_cmp_lt_i32_e64 s[8:9], v1, v0
	v_cndmask_b32_e64 v0, 0, 1, s[8:9]
	v_cndmask_b32_e64 v0, v0, v3, s[2:3]
	v_and_b32_e32 v0, 1, v0
	v_cmp_eq_u32_e64 s[8:9], 1, v0
	s_or_b64 s[20:21], s[8:9], s[4:5]
	s_mov_b64 s[8:9], -1
	s_xor_b64 s[22:23], s[20:21], -1
	v_mov_b32_e32 v3, v4
	v_mov_b32_e32 v0, v7
	s_and_saveexec_b64 s[20:21], s[22:23]
	s_cbranch_execz .LBB1_64
; %bb.59:                               ;   in Loop: Header=BB1_56 Depth=1
	v_lshl_add_u32 v8, v2, 2, 0
	v_mov_b32_e32 v3, v2
	s_mov_b64 s[22:23], 0
	v_mov_b32_e32 v9, v12
	v_pk_mov_b32 v[0:1], v[4:5], v[4:5] op_sel:[0,1]
.LBB1_60:                               ;   Parent Loop BB1_56 Depth=1
                                        ; =>  This Inner Loop Header: Depth=2
	v_mul_lo_u32 v15, v1, s27
	v_mul_lo_u32 v19, v0, s26
	v_mad_u64_u32 v[16:17], s[8:9], v0, s33, v[2:3]
	v_mov_b32_e32 v18, v3
	v_lshl_add_u32 v22, v19, 2, v8
	v_lshl_add_u32 v15, v15, 2, v8
	v_add_u32_e32 v9, -2, v9
	v_mad_u64_u32 v[18:19], s[8:9], v1, s28, v[18:19]
	v_ashrrev_i32_e32 v17, 31, v16
	ds_read_b32 v22, v22
	ds_read_b32 v15, v15
	v_cmp_eq_u32_e64 s[8:9], 0, v9
	v_lshlrev_b64 v[16:17], 2, v[16:17]
	v_mov_b32_e32 v20, s35
	v_ashrrev_i32_e32 v19, 31, v18
	s_or_b64 s[22:23], s[8:9], s[22:23]
	v_add_co_u32_e64 v16, s[8:9], s34, v16
	v_addc_co_u32_e64 v17, s[8:9], v20, v17, s[8:9]
	v_lshlrev_b64 v[18:19], 2, v[18:19]
	v_mov_b32_e32 v21, s35
	v_add_u32_e32 v0, 4, v0
	v_add_u32_e32 v1, 4, v1
	v_add_co_u32_e64 v18, s[8:9], s34, v18
	v_addc_co_u32_e64 v19, s[8:9], v21, v19, s[8:9]
	s_waitcnt lgkmcnt(1)
	global_store_dword v[16:17], v22, off
	s_waitcnt lgkmcnt(0)
	global_store_dword v[18:19], v15, off
	s_andn2_b64 exec, exec, s[22:23]
	s_cbranch_execnz .LBB1_60
; %bb.61:                               ;   in Loop: Header=BB1_56 Depth=1
	s_or_b64 exec, exec, s[22:23]
	s_mov_b64 s[8:9], 0
	s_and_saveexec_b64 s[22:23], s[6:7]
	s_xor_b64 s[22:23], exec, s[22:23]
; %bb.62:                               ;   in Loop: Header=BB1_56 Depth=1
	s_mov_b64 s[8:9], exec
; %bb.63:                               ;   in Loop: Header=BB1_56 Depth=1
	s_or_b64 exec, exec, s[22:23]
	s_orn2_b64 s[8:9], s[8:9], exec
	v_mov_b32_e32 v3, v13
	v_mov_b32_e32 v0, v14
.LBB1_64:                               ;   in Loop: Header=BB1_56 Depth=1
	s_or_b64 exec, exec, s[20:21]
	s_andn2_b64 s[20:21], s[12:13], exec
	s_and_b64 s[8:9], s[8:9], exec
	s_or_b64 s[8:9], s[20:21], s[8:9]
.LBB1_65:                               ;   in Loop: Header=BB1_56 Depth=1
	s_or_b64 exec, exec, s[10:11]
	s_and_b64 exec, exec, s[8:9]
	s_cbranch_execz .LBB1_55
; %bb.66:                               ;   in Loop: Header=BB1_56 Depth=1
	v_add_u32_e32 v0, v2, v0
	v_mad_u64_u32 v[8:9], s[8:9], s29, v3, v[6:7]
	s_mov_b64 s[20:21], 0
.LBB1_67:                               ;   Parent Loop BB1_56 Depth=1
                                        ; =>  This Inner Loop Header: Depth=2
	ds_read_b32 v9, v8
	v_ashrrev_i32_e32 v1, 31, v0
	v_add_u32_e32 v3, 2, v3
	v_lshlrev_b64 v[16:17], 2, v[0:1]
	v_mov_b32_e32 v15, s35
	v_cmp_le_i32_e64 s[8:9], s17, v3
	v_add_co_u32_e64 v16, s[10:11], s34, v16
	v_add_u32_e32 v8, s30, v8
	v_add_u32_e32 v0, s24, v0
	v_addc_co_u32_e64 v17, s[10:11], v15, v17, s[10:11]
	s_or_b64 s[20:21], s[8:9], s[20:21]
	s_waitcnt lgkmcnt(0)
	global_store_dword v[16:17], v9, off
	s_andn2_b64 exec, exec, s[20:21]
	s_cbranch_execnz .LBB1_67
	s_branch .LBB1_55
.LBB1_68:
	s_endpgm
	.section	.rodata,"a",@progbits
	.p2align	6, 0x0
	.amdhsa_kernel _ZN9rocsolver6v33100L18geqr2_kernel_smallILi256EfifPKPfEEvT1_S5_T3_lS5_lPT2_lPT0_l
		.amdhsa_group_segment_fixed_size 0
		.amdhsa_private_segment_fixed_size 0
		.amdhsa_kernarg_size 72
		.amdhsa_user_sgpr_count 6
		.amdhsa_user_sgpr_private_segment_buffer 1
		.amdhsa_user_sgpr_dispatch_ptr 0
		.amdhsa_user_sgpr_queue_ptr 0
		.amdhsa_user_sgpr_kernarg_segment_ptr 1
		.amdhsa_user_sgpr_dispatch_id 0
		.amdhsa_user_sgpr_flat_scratch_init 0
		.amdhsa_user_sgpr_kernarg_preload_length 0
		.amdhsa_user_sgpr_kernarg_preload_offset 0
		.amdhsa_user_sgpr_private_segment_size 0
		.amdhsa_uses_dynamic_stack 0
		.amdhsa_system_sgpr_private_segment_wavefront_offset 0
		.amdhsa_system_sgpr_workgroup_id_x 1
		.amdhsa_system_sgpr_workgroup_id_y 0
		.amdhsa_system_sgpr_workgroup_id_z 1
		.amdhsa_system_sgpr_workgroup_info 0
		.amdhsa_system_vgpr_workitem_id 0
		.amdhsa_next_free_vgpr 25
		.amdhsa_next_free_sgpr 48
		.amdhsa_accum_offset 28
		.amdhsa_reserve_vcc 1
		.amdhsa_reserve_flat_scratch 0
		.amdhsa_float_round_mode_32 0
		.amdhsa_float_round_mode_16_64 0
		.amdhsa_float_denorm_mode_32 3
		.amdhsa_float_denorm_mode_16_64 3
		.amdhsa_dx10_clamp 1
		.amdhsa_ieee_mode 1
		.amdhsa_fp16_overflow 0
		.amdhsa_tg_split 0
		.amdhsa_exception_fp_ieee_invalid_op 0
		.amdhsa_exception_fp_denorm_src 0
		.amdhsa_exception_fp_ieee_div_zero 0
		.amdhsa_exception_fp_ieee_overflow 0
		.amdhsa_exception_fp_ieee_underflow 0
		.amdhsa_exception_fp_ieee_inexact 0
		.amdhsa_exception_int_div_zero 0
	.end_amdhsa_kernel
	.section	.text._ZN9rocsolver6v33100L18geqr2_kernel_smallILi256EfifPKPfEEvT1_S5_T3_lS5_lPT2_lPT0_l,"axG",@progbits,_ZN9rocsolver6v33100L18geqr2_kernel_smallILi256EfifPKPfEEvT1_S5_T3_lS5_lPT2_lPT0_l,comdat
.Lfunc_end1:
	.size	_ZN9rocsolver6v33100L18geqr2_kernel_smallILi256EfifPKPfEEvT1_S5_T3_lS5_lPT2_lPT0_l, .Lfunc_end1-_ZN9rocsolver6v33100L18geqr2_kernel_smallILi256EfifPKPfEEvT1_S5_T3_lS5_lPT2_lPT0_l
                                        ; -- End function
	.section	.AMDGPU.csdata,"",@progbits
; Kernel info:
; codeLenInByte = 3364
; NumSgprs: 52
; NumVgprs: 25
; NumAgprs: 0
; TotalNumVgprs: 25
; ScratchSize: 0
; MemoryBound: 0
; FloatMode: 240
; IeeeMode: 1
; LDSByteSize: 0 bytes/workgroup (compile time only)
; SGPRBlocks: 6
; VGPRBlocks: 3
; NumSGPRsForWavesPerEU: 52
; NumVGPRsForWavesPerEU: 25
; AccumOffset: 28
; Occupancy: 8
; WaveLimiterHint : 1
; COMPUTE_PGM_RSRC2:SCRATCH_EN: 0
; COMPUTE_PGM_RSRC2:USER_SGPR: 6
; COMPUTE_PGM_RSRC2:TRAP_HANDLER: 0
; COMPUTE_PGM_RSRC2:TGID_X_EN: 1
; COMPUTE_PGM_RSRC2:TGID_Y_EN: 0
; COMPUTE_PGM_RSRC2:TGID_Z_EN: 1
; COMPUTE_PGM_RSRC2:TIDIG_COMP_CNT: 0
; COMPUTE_PGM_RSRC3_GFX90A:ACCUM_OFFSET: 6
; COMPUTE_PGM_RSRC3_GFX90A:TG_SPLIT: 0
	.section	.text._ZN9rocsolver6v33100L16reset_batch_infoIfiiPfEEvT2_lT0_T1_,"axG",@progbits,_ZN9rocsolver6v33100L16reset_batch_infoIfiiPfEEvT2_lT0_T1_,comdat
	.globl	_ZN9rocsolver6v33100L16reset_batch_infoIfiiPfEEvT2_lT0_T1_ ; -- Begin function _ZN9rocsolver6v33100L16reset_batch_infoIfiiPfEEvT2_lT0_T1_
	.p2align	8
	.type	_ZN9rocsolver6v33100L16reset_batch_infoIfiiPfEEvT2_lT0_T1_,@function
_ZN9rocsolver6v33100L16reset_batch_infoIfiiPfEEvT2_lT0_T1_: ; @_ZN9rocsolver6v33100L16reset_batch_infoIfiiPfEEvT2_lT0_T1_
; %bb.0:
	s_load_dword s2, s[4:5], 0x24
	s_load_dwordx2 s[0:1], s[4:5], 0x10
	s_waitcnt lgkmcnt(0)
	s_and_b32 s2, s2, 0xffff
	s_mul_i32 s6, s6, s2
	v_add_u32_e32 v0, s6, v0
	v_cmp_gt_i32_e32 vcc, s0, v0
	s_and_saveexec_b64 s[2:3], vcc
	s_cbranch_execz .LBB2_2
; %bb.1:
	s_load_dwordx4 s[8:11], s[4:5], 0x0
	s_ashr_i32 s0, s7, 31
	v_ashrrev_i32_e32 v1, 31, v0
	v_cvt_f32_i32_e32 v3, s1
	v_lshlrev_b64 v[0:1], 2, v[0:1]
	s_waitcnt lgkmcnt(0)
	s_mul_i32 s3, s7, s11
	s_mul_hi_u32 s4, s7, s10
	s_mul_i32 s0, s0, s10
	s_add_i32 s3, s4, s3
	s_mul_i32 s2, s7, s10
	s_add_i32 s3, s3, s0
	s_lshl_b64 s[2:3], s[2:3], 2
	s_add_u32 s0, s8, s2
	s_addc_u32 s2, s9, s3
	v_mov_b32_e32 v2, s2
	v_add_co_u32_e32 v0, vcc, s0, v0
	v_addc_co_u32_e32 v1, vcc, v2, v1, vcc
	global_store_dword v[0:1], v3, off
.LBB2_2:
	s_endpgm
	.section	.rodata,"a",@progbits
	.p2align	6, 0x0
	.amdhsa_kernel _ZN9rocsolver6v33100L16reset_batch_infoIfiiPfEEvT2_lT0_T1_
		.amdhsa_group_segment_fixed_size 0
		.amdhsa_private_segment_fixed_size 0
		.amdhsa_kernarg_size 280
		.amdhsa_user_sgpr_count 6
		.amdhsa_user_sgpr_private_segment_buffer 1
		.amdhsa_user_sgpr_dispatch_ptr 0
		.amdhsa_user_sgpr_queue_ptr 0
		.amdhsa_user_sgpr_kernarg_segment_ptr 1
		.amdhsa_user_sgpr_dispatch_id 0
		.amdhsa_user_sgpr_flat_scratch_init 0
		.amdhsa_user_sgpr_kernarg_preload_length 0
		.amdhsa_user_sgpr_kernarg_preload_offset 0
		.amdhsa_user_sgpr_private_segment_size 0
		.amdhsa_uses_dynamic_stack 0
		.amdhsa_system_sgpr_private_segment_wavefront_offset 0
		.amdhsa_system_sgpr_workgroup_id_x 1
		.amdhsa_system_sgpr_workgroup_id_y 1
		.amdhsa_system_sgpr_workgroup_id_z 0
		.amdhsa_system_sgpr_workgroup_info 0
		.amdhsa_system_vgpr_workitem_id 0
		.amdhsa_next_free_vgpr 4
		.amdhsa_next_free_sgpr 12
		.amdhsa_accum_offset 4
		.amdhsa_reserve_vcc 1
		.amdhsa_reserve_flat_scratch 0
		.amdhsa_float_round_mode_32 0
		.amdhsa_float_round_mode_16_64 0
		.amdhsa_float_denorm_mode_32 3
		.amdhsa_float_denorm_mode_16_64 3
		.amdhsa_dx10_clamp 1
		.amdhsa_ieee_mode 1
		.amdhsa_fp16_overflow 0
		.amdhsa_tg_split 0
		.amdhsa_exception_fp_ieee_invalid_op 0
		.amdhsa_exception_fp_denorm_src 0
		.amdhsa_exception_fp_ieee_div_zero 0
		.amdhsa_exception_fp_ieee_overflow 0
		.amdhsa_exception_fp_ieee_underflow 0
		.amdhsa_exception_fp_ieee_inexact 0
		.amdhsa_exception_int_div_zero 0
	.end_amdhsa_kernel
	.section	.text._ZN9rocsolver6v33100L16reset_batch_infoIfiiPfEEvT2_lT0_T1_,"axG",@progbits,_ZN9rocsolver6v33100L16reset_batch_infoIfiiPfEEvT2_lT0_T1_,comdat
.Lfunc_end2:
	.size	_ZN9rocsolver6v33100L16reset_batch_infoIfiiPfEEvT2_lT0_T1_, .Lfunc_end2-_ZN9rocsolver6v33100L16reset_batch_infoIfiiPfEEvT2_lT0_T1_
                                        ; -- End function
	.section	.AMDGPU.csdata,"",@progbits
; Kernel info:
; codeLenInByte = 140
; NumSgprs: 16
; NumVgprs: 4
; NumAgprs: 0
; TotalNumVgprs: 4
; ScratchSize: 0
; MemoryBound: 0
; FloatMode: 240
; IeeeMode: 1
; LDSByteSize: 0 bytes/workgroup (compile time only)
; SGPRBlocks: 1
; VGPRBlocks: 0
; NumSGPRsForWavesPerEU: 16
; NumVGPRsForWavesPerEU: 4
; AccumOffset: 4
; Occupancy: 8
; WaveLimiterHint : 0
; COMPUTE_PGM_RSRC2:SCRATCH_EN: 0
; COMPUTE_PGM_RSRC2:USER_SGPR: 6
; COMPUTE_PGM_RSRC2:TRAP_HANDLER: 0
; COMPUTE_PGM_RSRC2:TGID_X_EN: 1
; COMPUTE_PGM_RSRC2:TGID_Y_EN: 1
; COMPUTE_PGM_RSRC2:TGID_Z_EN: 0
; COMPUTE_PGM_RSRC2:TIDIG_COMP_CNT: 0
; COMPUTE_PGM_RSRC3_GFX90A:ACCUM_OFFSET: 0
; COMPUTE_PGM_RSRC3_GFX90A:TG_SPLIT: 0
	.section	.text._ZN9rocsolver6v33100L8set_diagIfifPKPfTnNSt9enable_ifIXoont18rocblas_is_complexIT_E18rocblas_is_complexIT1_EEiE4typeELi0EEEvPS7_llT2_lT0_lSC_b,"axG",@progbits,_ZN9rocsolver6v33100L8set_diagIfifPKPfTnNSt9enable_ifIXoont18rocblas_is_complexIT_E18rocblas_is_complexIT1_EEiE4typeELi0EEEvPS7_llT2_lT0_lSC_b,comdat
	.globl	_ZN9rocsolver6v33100L8set_diagIfifPKPfTnNSt9enable_ifIXoont18rocblas_is_complexIT_E18rocblas_is_complexIT1_EEiE4typeELi0EEEvPS7_llT2_lT0_lSC_b ; -- Begin function _ZN9rocsolver6v33100L8set_diagIfifPKPfTnNSt9enable_ifIXoont18rocblas_is_complexIT_E18rocblas_is_complexIT1_EEiE4typeELi0EEEvPS7_llT2_lT0_lSC_b
	.p2align	8
	.type	_ZN9rocsolver6v33100L8set_diagIfifPKPfTnNSt9enable_ifIXoont18rocblas_is_complexIT_E18rocblas_is_complexIT1_EEiE4typeELi0EEEvPS7_llT2_lT0_lSC_b,@function
_ZN9rocsolver6v33100L8set_diagIfifPKPfTnNSt9enable_ifIXoont18rocblas_is_complexIT_E18rocblas_is_complexIT1_EEiE4typeELi0EEEvPS7_llT2_lT0_lSC_b: ; @_ZN9rocsolver6v33100L8set_diagIfifPKPfTnNSt9enable_ifIXoont18rocblas_is_complexIT_E18rocblas_is_complexIT1_EEiE4typeELi0EEEvPS7_llT2_lT0_lSC_b
; %bb.0:
	s_load_dword s2, s[4:5], 0x4c
	s_load_dwordx2 s[0:1], s[4:5], 0x38
	v_bfe_u32 v0, v0, 10, 10
	s_waitcnt lgkmcnt(0)
	s_lshr_b32 s2, s2, 16
	s_mul_i32 s7, s7, s2
	v_add_u32_e32 v0, s7, v0
	v_cmp_gt_i32_e32 vcc, s0, v0
	s_and_saveexec_b64 s[2:3], vcc
	s_cbranch_execz .LBB3_2
; %bb.1:
	s_load_dwordx8 s[8:15], s[4:5], 0x0
	s_bitcmp1_b32 s1, 0
	s_cselect_b64 s[0:1], -1, 0
	s_ashr_i32 s7, s6, 31
	s_lshl_b64 s[2:3], s[6:7], 3
	s_waitcnt lgkmcnt(0)
	s_add_u32 s2, s14, s2
	s_addc_u32 s3, s15, s3
	s_load_dwordx2 s[14:15], s[4:5], 0x20
	s_load_dwordx2 s[16:17], s[2:3], 0x0
	s_load_dword s18, s[4:5], 0x28
	s_waitcnt lgkmcnt(0)
	s_lshl_b64 s[2:3], s[14:15], 2
	s_add_u32 s4, s16, s2
	s_addc_u32 s5, s17, s3
	v_mad_u64_u32 v[2:3], s[2:3], v0, s18, v[0:1]
	v_ashrrev_i32_e32 v3, 31, v2
	v_lshlrev_b64 v[2:3], 2, v[2:3]
	v_mov_b32_e32 v1, s5
	v_add_co_u32_e32 v2, vcc, s4, v2
	v_addc_co_u32_e32 v3, vcc, v1, v3, vcc
	global_load_dword v4, v[2:3], off
	s_mul_i32 s3, s6, s13
	s_mul_hi_u32 s4, s6, s12
	s_mul_i32 s5, s7, s12
	s_add_i32 s3, s4, s3
	s_mul_i32 s2, s6, s12
	s_add_i32 s3, s3, s5
	s_lshl_b64 s[2:3], s[2:3], 2
	s_add_u32 s4, s8, s2
	s_addc_u32 s5, s9, s3
	s_lshl_b64 s[2:3], s[10:11], 2
	v_ashrrev_i32_e32 v1, 31, v0
	s_add_u32 s2, s4, s2
	v_lshlrev_b64 v[0:1], 2, v[0:1]
	s_addc_u32 s3, s5, s3
	v_mov_b32_e32 v5, s3
	v_add_co_u32_e32 v0, vcc, s2, v0
	v_addc_co_u32_e32 v1, vcc, v5, v1, vcc
	s_waitcnt vmcnt(0)
	global_store_dword v[0:1], v4, off
	v_cndmask_b32_e64 v0, v4, 1.0, s[0:1]
	global_store_dword v[2:3], v0, off
.LBB3_2:
	s_endpgm
	.section	.rodata,"a",@progbits
	.p2align	6, 0x0
	.amdhsa_kernel _ZN9rocsolver6v33100L8set_diagIfifPKPfTnNSt9enable_ifIXoont18rocblas_is_complexIT_E18rocblas_is_complexIT1_EEiE4typeELi0EEEvPS7_llT2_lT0_lSC_b
		.amdhsa_group_segment_fixed_size 0
		.amdhsa_private_segment_fixed_size 0
		.amdhsa_kernarg_size 320
		.amdhsa_user_sgpr_count 6
		.amdhsa_user_sgpr_private_segment_buffer 1
		.amdhsa_user_sgpr_dispatch_ptr 0
		.amdhsa_user_sgpr_queue_ptr 0
		.amdhsa_user_sgpr_kernarg_segment_ptr 1
		.amdhsa_user_sgpr_dispatch_id 0
		.amdhsa_user_sgpr_flat_scratch_init 0
		.amdhsa_user_sgpr_kernarg_preload_length 0
		.amdhsa_user_sgpr_kernarg_preload_offset 0
		.amdhsa_user_sgpr_private_segment_size 0
		.amdhsa_uses_dynamic_stack 0
		.amdhsa_system_sgpr_private_segment_wavefront_offset 0
		.amdhsa_system_sgpr_workgroup_id_x 1
		.amdhsa_system_sgpr_workgroup_id_y 1
		.amdhsa_system_sgpr_workgroup_id_z 0
		.amdhsa_system_sgpr_workgroup_info 0
		.amdhsa_system_vgpr_workitem_id 1
		.amdhsa_next_free_vgpr 6
		.amdhsa_next_free_sgpr 19
		.amdhsa_accum_offset 8
		.amdhsa_reserve_vcc 1
		.amdhsa_reserve_flat_scratch 0
		.amdhsa_float_round_mode_32 0
		.amdhsa_float_round_mode_16_64 0
		.amdhsa_float_denorm_mode_32 3
		.amdhsa_float_denorm_mode_16_64 3
		.amdhsa_dx10_clamp 1
		.amdhsa_ieee_mode 1
		.amdhsa_fp16_overflow 0
		.amdhsa_tg_split 0
		.amdhsa_exception_fp_ieee_invalid_op 0
		.amdhsa_exception_fp_denorm_src 0
		.amdhsa_exception_fp_ieee_div_zero 0
		.amdhsa_exception_fp_ieee_overflow 0
		.amdhsa_exception_fp_ieee_underflow 0
		.amdhsa_exception_fp_ieee_inexact 0
		.amdhsa_exception_int_div_zero 0
	.end_amdhsa_kernel
	.section	.text._ZN9rocsolver6v33100L8set_diagIfifPKPfTnNSt9enable_ifIXoont18rocblas_is_complexIT_E18rocblas_is_complexIT1_EEiE4typeELi0EEEvPS7_llT2_lT0_lSC_b,"axG",@progbits,_ZN9rocsolver6v33100L8set_diagIfifPKPfTnNSt9enable_ifIXoont18rocblas_is_complexIT_E18rocblas_is_complexIT1_EEiE4typeELi0EEEvPS7_llT2_lT0_lSC_b,comdat
.Lfunc_end3:
	.size	_ZN9rocsolver6v33100L8set_diagIfifPKPfTnNSt9enable_ifIXoont18rocblas_is_complexIT_E18rocblas_is_complexIT1_EEiE4typeELi0EEEvPS7_llT2_lT0_lSC_b, .Lfunc_end3-_ZN9rocsolver6v33100L8set_diagIfifPKPfTnNSt9enable_ifIXoont18rocblas_is_complexIT_E18rocblas_is_complexIT1_EEiE4typeELi0EEEvPS7_llT2_lT0_lSC_b
                                        ; -- End function
	.section	.AMDGPU.csdata,"",@progbits
; Kernel info:
; codeLenInByte = 272
; NumSgprs: 23
; NumVgprs: 6
; NumAgprs: 0
; TotalNumVgprs: 6
; ScratchSize: 0
; MemoryBound: 0
; FloatMode: 240
; IeeeMode: 1
; LDSByteSize: 0 bytes/workgroup (compile time only)
; SGPRBlocks: 2
; VGPRBlocks: 0
; NumSGPRsForWavesPerEU: 23
; NumVGPRsForWavesPerEU: 6
; AccumOffset: 8
; Occupancy: 8
; WaveLimiterHint : 1
; COMPUTE_PGM_RSRC2:SCRATCH_EN: 0
; COMPUTE_PGM_RSRC2:USER_SGPR: 6
; COMPUTE_PGM_RSRC2:TRAP_HANDLER: 0
; COMPUTE_PGM_RSRC2:TGID_X_EN: 1
; COMPUTE_PGM_RSRC2:TGID_Y_EN: 1
; COMPUTE_PGM_RSRC2:TGID_Z_EN: 0
; COMPUTE_PGM_RSRC2:TIDIG_COMP_CNT: 1
; COMPUTE_PGM_RSRC3_GFX90A:ACCUM_OFFSET: 1
; COMPUTE_PGM_RSRC3_GFX90A:TG_SPLIT: 0
	.section	.text._ZN9rocsolver6v33100L11set_taubetaIfifPKPfEEvPT_lS6_T2_llPT1_ll,"axG",@progbits,_ZN9rocsolver6v33100L11set_taubetaIfifPKPfEEvPT_lS6_T2_llPT1_ll,comdat
	.globl	_ZN9rocsolver6v33100L11set_taubetaIfifPKPfEEvPT_lS6_T2_llPT1_ll ; -- Begin function _ZN9rocsolver6v33100L11set_taubetaIfifPKPfEEvPT_lS6_T2_llPT1_ll
	.p2align	8
	.type	_ZN9rocsolver6v33100L11set_taubetaIfifPKPfEEvPT_lS6_T2_llPT1_ll,@function
_ZN9rocsolver6v33100L11set_taubetaIfifPKPfEEvPT_lS6_T2_llPT1_ll: ; @_ZN9rocsolver6v33100L11set_taubetaIfifPKPfEEvPT_lS6_T2_llPT1_ll
; %bb.0:
	s_load_dwordx8 s[8:15], s[4:5], 0x0
	s_load_dwordx2 s[18:19], s[4:5], 0x20
	s_load_dwordx4 s[0:3], s[4:5], 0x30
	s_ashr_i32 s7, s6, 31
	s_lshl_b64 s[16:17], s[6:7], 3
	s_waitcnt lgkmcnt(0)
	s_add_u32 s14, s14, s16
	s_addc_u32 s15, s15, s17
	s_load_dwordx2 s[20:21], s[14:15], 0x0
	s_mov_b64 s[16:17], 0
	s_cmp_eq_u64 s[0:1], 0
	s_mov_b64 s[14:15], 0
	s_cbranch_scc1 .LBB4_2
; %bb.1:
	s_load_dwordx2 s[4:5], s[4:5], 0x40
	s_waitcnt lgkmcnt(0)
	s_mul_i32 s5, s6, s5
	s_mul_hi_u32 s14, s6, s4
	s_mul_i32 s15, s7, s4
	s_add_i32 s5, s14, s5
	s_mul_i32 s4, s6, s4
	s_add_i32 s5, s5, s15
	s_lshl_b64 s[4:5], s[4:5], 2
	s_add_u32 s4, s0, s4
	s_addc_u32 s5, s1, s5
	s_lshl_b64 s[0:1], s[2:3], 2
	s_add_u32 s14, s4, s0
	s_addc_u32 s15, s5, s1
.LBB4_2:
	s_lshl_b64 s[0:1], s[18:19], 2
	s_waitcnt lgkmcnt(0)
	s_add_u32 s2, s20, s0
	s_addc_u32 s3, s21, s1
	s_mul_i32 s0, s6, s11
	s_mul_hi_u32 s1, s6, s10
	s_add_i32 s0, s1, s0
	s_mul_i32 s1, s7, s10
	s_add_i32 s1, s0, s1
	s_mul_i32 s0, s6, s10
	s_lshl_b64 s[0:1], s[0:1], 2
	s_add_u32 s8, s8, s0
	s_addc_u32 s9, s9, s1
	s_lshl_b64 s[0:1], s[6:7], 2
	s_add_u32 s10, s12, s0
	s_addc_u32 s11, s13, s1
	s_load_dword s12, s[10:11], 0x0
	s_cmp_eq_u64 s[14:15], 0
	s_cselect_b64 s[4:5], -1, 0
	s_cmp_lg_u64 s[14:15], 0
	s_cselect_b64 s[6:7], -1, 0
	s_waitcnt lgkmcnt(0)
	v_cmp_ngt_f32_e64 s[0:1], s12, 0
	s_and_b64 vcc, exec, s[0:1]
	s_cbranch_vccz .LBB4_6
; %bb.3:
	v_mov_b32_e32 v1, 1.0
	v_mov_b32_e32 v0, 0
	s_mov_b64 s[0:1], 0
	s_and_b64 vcc, exec, s[6:7]
	global_store_dword v0, v1, s[10:11]
	global_store_dword v0, v0, s[8:9]
	s_cbranch_vccz .LBB4_7
; %bb.4:
	global_load_dword v0, v0, s[2:3]
	s_mov_b64 s[16:17], -1
	s_and_b64 vcc, exec, s[0:1]
	s_cbranch_vccnz .LBB4_8
.LBB4_5:
	s_mov_b64 s[4:5], 0
	s_andn2_b64 vcc, exec, s[16:17]
	s_cbranch_vccz .LBB4_9
	s_branch .LBB4_10
.LBB4_6:
	s_mov_b64 s[0:1], -1
.LBB4_7:
                                        ; implicit-def: $vgpr0
	s_and_b64 vcc, exec, s[0:1]
	s_cbranch_vccz .LBB4_5
.LBB4_8:
	s_load_dword s13, s[2:3], 0x0
	s_waitcnt vmcnt(0)
	v_mov_b32_e32 v0, s12
	s_mov_b32 s0, 0xf800000
	s_mov_b64 s[16:17], s[6:7]
	s_waitcnt lgkmcnt(0)
	v_fmac_f32_e64 v0, s13, s13
	v_mul_f32_e32 v1, 0x4f800000, v0
	v_cmp_gt_f32_e32 vcc, s0, v0
	v_cndmask_b32_e32 v0, v0, v1, vcc
	v_sqrt_f32_e32 v1, v0
	v_add_u32_e32 v2, -1, v1
	v_add_u32_e32 v3, 1, v1
	v_fma_f32 v4, -v2, v1, v0
	v_fma_f32 v5, -v3, v1, v0
	v_cmp_ge_f32_e64 s[0:1], 0, v4
	v_cndmask_b32_e64 v1, v1, v2, s[0:1]
	v_cmp_lt_f32_e64 s[0:1], 0, v5
	v_cndmask_b32_e64 v1, v1, v3, s[0:1]
	v_mul_f32_e32 v2, 0x37800000, v1
	v_cndmask_b32_e32 v1, v1, v2, vcc
	v_mov_b32_e32 v2, 0x260
	v_cmp_class_f32_e32 vcc, v0, v2
	v_cndmask_b32_e32 v0, v1, v0, vcc
	v_cmp_ge_f32_e64 s[0:1], s13, 0
	v_cndmask_b32_e64 v0, v0, -v0, s[0:1]
	v_sub_f32_e32 v1, s13, v0
	v_div_scale_f32 v2, s[0:1], v1, v1, 1.0
	v_rcp_f32_e32 v3, v2
	v_mov_b32_e32 v4, 0
	v_fma_f32 v5, -v2, v3, 1.0
	v_fmac_f32_e32 v3, v5, v3
	v_div_scale_f32 v5, vcc, 1.0, v1, 1.0
	v_mul_f32_e32 v6, v5, v3
	v_fma_f32 v7, -v2, v6, v5
	v_fmac_f32_e32 v6, v7, v3
	v_fma_f32 v2, -v2, v6, v5
	v_div_fmas_f32 v2, v2, v3, v6
	v_div_fixup_f32 v1, v2, v1, 1.0
	global_store_dword v4, v1, s[10:11]
	global_load_dword v1, v4, s[2:3]
	s_waitcnt vmcnt(0)
	v_sub_f32_e32 v1, v0, v1
	v_div_scale_f32 v2, s[0:1], v0, v0, v1
	v_rcp_f32_e32 v3, v2
	v_div_scale_f32 v5, vcc, v1, v0, v1
	v_fma_f32 v6, -v2, v3, 1.0
	v_fmac_f32_e32 v3, v6, v3
	v_mul_f32_e32 v6, v5, v3
	v_fma_f32 v7, -v2, v6, v5
	v_fmac_f32_e32 v6, v7, v3
	v_fma_f32 v2, -v2, v6, v5
	v_div_fmas_f32 v2, v2, v3, v6
	v_div_fixup_f32 v1, v2, v0, v1
	global_store_dword v4, v1, s[8:9]
	s_andn2_b64 vcc, exec, s[16:17]
	s_cbranch_vccnz .LBB4_10
.LBB4_9:
	v_pk_mov_b32 v[2:3], s[14:15], s[14:15] op_sel:[0,1]
	s_waitcnt vmcnt(0)
	flat_store_dword v[2:3], v0
	s_mov_b64 s[4:5], -1
	v_mov_b32_e32 v0, 1.0
.LBB4_10:
	s_andn2_b64 vcc, exec, s[4:5]
	s_cbranch_vccz .LBB4_12
; %bb.11:
	s_endpgm
.LBB4_12:
	v_mov_b32_e32 v1, 0
	s_waitcnt vmcnt(0) lgkmcnt(0)
	global_store_dword v1, v0, s[2:3]
	s_endpgm
	.section	.rodata,"a",@progbits
	.p2align	6, 0x0
	.amdhsa_kernel _ZN9rocsolver6v33100L11set_taubetaIfifPKPfEEvPT_lS6_T2_llPT1_ll
		.amdhsa_group_segment_fixed_size 0
		.amdhsa_private_segment_fixed_size 0
		.amdhsa_kernarg_size 72
		.amdhsa_user_sgpr_count 6
		.amdhsa_user_sgpr_private_segment_buffer 1
		.amdhsa_user_sgpr_dispatch_ptr 0
		.amdhsa_user_sgpr_queue_ptr 0
		.amdhsa_user_sgpr_kernarg_segment_ptr 1
		.amdhsa_user_sgpr_dispatch_id 0
		.amdhsa_user_sgpr_flat_scratch_init 0
		.amdhsa_user_sgpr_kernarg_preload_length 0
		.amdhsa_user_sgpr_kernarg_preload_offset 0
		.amdhsa_user_sgpr_private_segment_size 0
		.amdhsa_uses_dynamic_stack 0
		.amdhsa_system_sgpr_private_segment_wavefront_offset 0
		.amdhsa_system_sgpr_workgroup_id_x 1
		.amdhsa_system_sgpr_workgroup_id_y 0
		.amdhsa_system_sgpr_workgroup_id_z 0
		.amdhsa_system_sgpr_workgroup_info 0
		.amdhsa_system_vgpr_workitem_id 0
		.amdhsa_next_free_vgpr 8
		.amdhsa_next_free_sgpr 22
		.amdhsa_accum_offset 8
		.amdhsa_reserve_vcc 1
		.amdhsa_reserve_flat_scratch 0
		.amdhsa_float_round_mode_32 0
		.amdhsa_float_round_mode_16_64 0
		.amdhsa_float_denorm_mode_32 3
		.amdhsa_float_denorm_mode_16_64 3
		.amdhsa_dx10_clamp 1
		.amdhsa_ieee_mode 1
		.amdhsa_fp16_overflow 0
		.amdhsa_tg_split 0
		.amdhsa_exception_fp_ieee_invalid_op 0
		.amdhsa_exception_fp_denorm_src 0
		.amdhsa_exception_fp_ieee_div_zero 0
		.amdhsa_exception_fp_ieee_overflow 0
		.amdhsa_exception_fp_ieee_underflow 0
		.amdhsa_exception_fp_ieee_inexact 0
		.amdhsa_exception_int_div_zero 0
	.end_amdhsa_kernel
	.section	.text._ZN9rocsolver6v33100L11set_taubetaIfifPKPfEEvPT_lS6_T2_llPT1_ll,"axG",@progbits,_ZN9rocsolver6v33100L11set_taubetaIfifPKPfEEvPT_lS6_T2_llPT1_ll,comdat
.Lfunc_end4:
	.size	_ZN9rocsolver6v33100L11set_taubetaIfifPKPfEEvPT_lS6_T2_llPT1_ll, .Lfunc_end4-_ZN9rocsolver6v33100L11set_taubetaIfifPKPfEEvPT_lS6_T2_llPT1_ll
                                        ; -- End function
	.section	.AMDGPU.csdata,"",@progbits
; Kernel info:
; codeLenInByte = 732
; NumSgprs: 26
; NumVgprs: 8
; NumAgprs: 0
; TotalNumVgprs: 8
; ScratchSize: 0
; MemoryBound: 0
; FloatMode: 240
; IeeeMode: 1
; LDSByteSize: 0 bytes/workgroup (compile time only)
; SGPRBlocks: 3
; VGPRBlocks: 0
; NumSGPRsForWavesPerEU: 26
; NumVGPRsForWavesPerEU: 8
; AccumOffset: 8
; Occupancy: 8
; WaveLimiterHint : 1
; COMPUTE_PGM_RSRC2:SCRATCH_EN: 0
; COMPUTE_PGM_RSRC2:USER_SGPR: 6
; COMPUTE_PGM_RSRC2:TRAP_HANDLER: 0
; COMPUTE_PGM_RSRC2:TGID_X_EN: 1
; COMPUTE_PGM_RSRC2:TGID_Y_EN: 0
; COMPUTE_PGM_RSRC2:TGID_Z_EN: 0
; COMPUTE_PGM_RSRC2:TIDIG_COMP_CNT: 0
; COMPUTE_PGM_RSRC3_GFX90A:ACCUM_OFFSET: 1
; COMPUTE_PGM_RSRC3_GFX90A:TG_SPLIT: 0
	.section	.text._ZN9rocsolver6v33100L13conj_in_placeIfiPfTnNSt9enable_ifIXnt18rocblas_is_complexIT_EEiE4typeELi0EEEvT0_S7_T1_lS7_l,"axG",@progbits,_ZN9rocsolver6v33100L13conj_in_placeIfiPfTnNSt9enable_ifIXnt18rocblas_is_complexIT_EEiE4typeELi0EEEvT0_S7_T1_lS7_l,comdat
	.globl	_ZN9rocsolver6v33100L13conj_in_placeIfiPfTnNSt9enable_ifIXnt18rocblas_is_complexIT_EEiE4typeELi0EEEvT0_S7_T1_lS7_l ; -- Begin function _ZN9rocsolver6v33100L13conj_in_placeIfiPfTnNSt9enable_ifIXnt18rocblas_is_complexIT_EEiE4typeELi0EEEvT0_S7_T1_lS7_l
	.p2align	8
	.type	_ZN9rocsolver6v33100L13conj_in_placeIfiPfTnNSt9enable_ifIXnt18rocblas_is_complexIT_EEiE4typeELi0EEEvT0_S7_T1_lS7_l,@function
_ZN9rocsolver6v33100L13conj_in_placeIfiPfTnNSt9enable_ifIXnt18rocblas_is_complexIT_EEiE4typeELi0EEEvT0_S7_T1_lS7_l: ; @_ZN9rocsolver6v33100L13conj_in_placeIfiPfTnNSt9enable_ifIXnt18rocblas_is_complexIT_EEiE4typeELi0EEEvT0_S7_T1_lS7_l
; %bb.0:
	s_endpgm
	.section	.rodata,"a",@progbits
	.p2align	6, 0x0
	.amdhsa_kernel _ZN9rocsolver6v33100L13conj_in_placeIfiPfTnNSt9enable_ifIXnt18rocblas_is_complexIT_EEiE4typeELi0EEEvT0_S7_T1_lS7_l
		.amdhsa_group_segment_fixed_size 0
		.amdhsa_private_segment_fixed_size 0
		.amdhsa_kernarg_size 40
		.amdhsa_user_sgpr_count 6
		.amdhsa_user_sgpr_private_segment_buffer 1
		.amdhsa_user_sgpr_dispatch_ptr 0
		.amdhsa_user_sgpr_queue_ptr 0
		.amdhsa_user_sgpr_kernarg_segment_ptr 1
		.amdhsa_user_sgpr_dispatch_id 0
		.amdhsa_user_sgpr_flat_scratch_init 0
		.amdhsa_user_sgpr_kernarg_preload_length 0
		.amdhsa_user_sgpr_kernarg_preload_offset 0
		.amdhsa_user_sgpr_private_segment_size 0
		.amdhsa_uses_dynamic_stack 0
		.amdhsa_system_sgpr_private_segment_wavefront_offset 0
		.amdhsa_system_sgpr_workgroup_id_x 1
		.amdhsa_system_sgpr_workgroup_id_y 0
		.amdhsa_system_sgpr_workgroup_id_z 0
		.amdhsa_system_sgpr_workgroup_info 0
		.amdhsa_system_vgpr_workitem_id 0
		.amdhsa_next_free_vgpr 1
		.amdhsa_next_free_sgpr 0
		.amdhsa_accum_offset 4
		.amdhsa_reserve_vcc 0
		.amdhsa_reserve_flat_scratch 0
		.amdhsa_float_round_mode_32 0
		.amdhsa_float_round_mode_16_64 0
		.amdhsa_float_denorm_mode_32 3
		.amdhsa_float_denorm_mode_16_64 3
		.amdhsa_dx10_clamp 1
		.amdhsa_ieee_mode 1
		.amdhsa_fp16_overflow 0
		.amdhsa_tg_split 0
		.amdhsa_exception_fp_ieee_invalid_op 0
		.amdhsa_exception_fp_denorm_src 0
		.amdhsa_exception_fp_ieee_div_zero 0
		.amdhsa_exception_fp_ieee_overflow 0
		.amdhsa_exception_fp_ieee_underflow 0
		.amdhsa_exception_fp_ieee_inexact 0
		.amdhsa_exception_int_div_zero 0
	.end_amdhsa_kernel
	.section	.text._ZN9rocsolver6v33100L13conj_in_placeIfiPfTnNSt9enable_ifIXnt18rocblas_is_complexIT_EEiE4typeELi0EEEvT0_S7_T1_lS7_l,"axG",@progbits,_ZN9rocsolver6v33100L13conj_in_placeIfiPfTnNSt9enable_ifIXnt18rocblas_is_complexIT_EEiE4typeELi0EEEvT0_S7_T1_lS7_l,comdat
.Lfunc_end5:
	.size	_ZN9rocsolver6v33100L13conj_in_placeIfiPfTnNSt9enable_ifIXnt18rocblas_is_complexIT_EEiE4typeELi0EEEvT0_S7_T1_lS7_l, .Lfunc_end5-_ZN9rocsolver6v33100L13conj_in_placeIfiPfTnNSt9enable_ifIXnt18rocblas_is_complexIT_EEiE4typeELi0EEEvT0_S7_T1_lS7_l
                                        ; -- End function
	.section	.AMDGPU.csdata,"",@progbits
; Kernel info:
; codeLenInByte = 4
; NumSgprs: 4
; NumVgprs: 0
; NumAgprs: 0
; TotalNumVgprs: 0
; ScratchSize: 0
; MemoryBound: 0
; FloatMode: 240
; IeeeMode: 1
; LDSByteSize: 0 bytes/workgroup (compile time only)
; SGPRBlocks: 0
; VGPRBlocks: 0
; NumSGPRsForWavesPerEU: 4
; NumVGPRsForWavesPerEU: 1
; AccumOffset: 4
; Occupancy: 8
; WaveLimiterHint : 0
; COMPUTE_PGM_RSRC2:SCRATCH_EN: 0
; COMPUTE_PGM_RSRC2:USER_SGPR: 6
; COMPUTE_PGM_RSRC2:TRAP_HANDLER: 0
; COMPUTE_PGM_RSRC2:TGID_X_EN: 1
; COMPUTE_PGM_RSRC2:TGID_Y_EN: 0
; COMPUTE_PGM_RSRC2:TGID_Z_EN: 0
; COMPUTE_PGM_RSRC2:TIDIG_COMP_CNT: 0
; COMPUTE_PGM_RSRC3_GFX90A:ACCUM_OFFSET: 0
; COMPUTE_PGM_RSRC3_GFX90A:TG_SPLIT: 0
	.section	.text._ZN9rocsolver6v33100L16larf_left_kernelILi1024EfiPKPfEEvT1_S5_T2_lS5_lPKT0_lS6_lS5_l,"axG",@progbits,_ZN9rocsolver6v33100L16larf_left_kernelILi1024EfiPKPfEEvT1_S5_T2_lS5_lPKT0_lS6_lS5_l,comdat
	.globl	_ZN9rocsolver6v33100L16larf_left_kernelILi1024EfiPKPfEEvT1_S5_T2_lS5_lPKT0_lS6_lS5_l ; -- Begin function _ZN9rocsolver6v33100L16larf_left_kernelILi1024EfiPKPfEEvT1_S5_T2_lS5_lPKT0_lS6_lS5_l
	.p2align	8
	.type	_ZN9rocsolver6v33100L16larf_left_kernelILi1024EfiPKPfEEvT1_S5_T2_lS5_lPKT0_lS6_lS5_l,@function
_ZN9rocsolver6v33100L16larf_left_kernelILi1024EfiPKPfEEvT1_S5_T2_lS5_lPKT0_lS6_lS5_l: ; @_ZN9rocsolver6v33100L16larf_left_kernelILi1024EfiPKPfEEvT1_S5_T2_lS5_lPKT0_lS6_lS5_l
; %bb.0:
	s_load_dwordx8 s[12:19], s[4:5], 0x28
	s_load_dword s28, s[4:5], 0x0
	s_load_dword s6, s[4:5], 0x48
	s_ashr_i32 s9, s8, 31
	s_lshl_b64 s[24:25], s[8:9], 3
	s_waitcnt lgkmcnt(0)
	s_add_u32 s0, s16, s24
	s_addc_u32 s1, s17, s25
	s_load_dwordx2 s[2:3], s[0:1], 0x0
	s_mul_hi_i32 s11, s6, s7
	s_mul_i32 s10, s6, s7
	v_cmp_gt_i32_e64 s[0:1], s28, v0
	v_mov_b32_e32 v1, 0
	v_xad_u32 v4, v0, -1, s28
	s_and_saveexec_b64 s[6:7], s[0:1]
	s_cbranch_execz .LBB6_11
; %bb.1:
	s_load_dword s16, s[4:5], 0x18
	s_load_dwordx4 s[20:23], s[4:5], 0x8
	s_sub_i32 s4, 1, s28
	v_mov_b32_e32 v1, v0
	s_waitcnt lgkmcnt(0)
	s_ashr_i32 s17, s16, 31
	s_mul_i32 s26, s4, s16
	v_cmp_lt_i64_e64 s[4:5], s[16:17], 1
	s_and_b64 s[4:5], s[4:5], exec
	s_cselect_b32 s4, s26, 0
	s_ashr_i32 s5, s4, 31
	s_add_u32 s20, s20, s24
	s_addc_u32 s21, s21, s25
	s_load_dwordx2 s[20:21], s[20:21], 0x0
	s_movk_i32 s24, 0x3ff
	v_cmp_lt_u32_e32 vcc, s24, v4
	s_mov_b64 s[26:27], -1
	s_and_saveexec_b64 s[24:25], vcc
	s_cbranch_execz .LBB6_5
; %bb.2:
	s_lshl_b64 s[26:27], s[22:23], 2
	s_waitcnt lgkmcnt(0)
	s_add_u32 s29, s20, s26
	s_addc_u32 s30, s21, s27
	s_lshl_b64 s[26:27], s[4:5], 2
	v_lshrrev_b32_e32 v1, 10, v4
	s_add_u32 s29, s29, s26
	v_add_u32_e32 v5, 1, v1
	s_addc_u32 s33, s30, s27
	v_and_b32_e32 v6, 0x7ffffe, v5
	v_or_b32_e32 v1, 0x400, v0
	v_lshlrev_b32_e32 v2, 2, v0
	s_mov_b32 s30, s16
	s_mov_b32 s31, s17
	v_add3_u32 v7, v2, 0, 64
	s_mov_b64 s[26:27], 0
	v_mov_b32_e32 v8, s33
	v_mov_b32_e32 v9, v6
	v_pk_mov_b32 v[2:3], v[0:1], v[0:1] op_sel:[0,1]
.LBB6_3:                                ; =>This Inner Loop Header: Depth=1
	v_mad_u64_u32 v[12:13], s[34:35], s16, v2, 0
	v_mov_b32_e32 v16, v13
	v_mad_u64_u32 v[10:11], s[34:35], s30, v3, 0
	v_mad_u64_u32 v[16:17], s[34:35], s17, v2, v[16:17]
	v_mov_b32_e32 v14, v11
	v_mov_b32_e32 v13, v16
	v_mad_u64_u32 v[14:15], s[34:35], s31, v3, v[14:15]
	v_lshlrev_b64 v[12:13], 2, v[12:13]
	v_mov_b32_e32 v11, v14
	v_add_co_u32_e32 v12, vcc, s29, v12
	v_lshlrev_b64 v[10:11], 2, v[10:11]
	v_addc_co_u32_e32 v13, vcc, v8, v13, vcc
	v_add_co_u32_e32 v10, vcc, s29, v10
	v_addc_co_u32_e32 v11, vcc, v8, v11, vcc
	global_load_dword v1, v[12:13], off
	global_load_dword v14, v[10:11], off
	v_add_u32_e32 v9, -2, v9
	v_cmp_eq_u32_e32 vcc, 0, v9
	v_add_u32_e32 v3, 0x800, v3
	v_add_u32_e32 v2, 0x800, v2
	s_or_b64 s[26:27], vcc, s[26:27]
	s_waitcnt vmcnt(0)
	ds_write2st64_b32 v7, v1, v14 offset1:16
	v_add_u32_e32 v7, 0x2000, v7
	s_andn2_b64 exec, exec, s[26:27]
	s_cbranch_execnz .LBB6_3
; %bb.4:
	s_or_b64 exec, exec, s[26:27]
	v_cmp_ne_u32_e32 vcc, v5, v6
	v_lshl_or_b32 v1, v6, 10, v0
	s_orn2_b64 s[26:27], vcc, exec
.LBB6_5:
	s_or_b64 exec, exec, s[24:25]
	s_and_saveexec_b64 s[24:25], s[26:27]
	s_cbranch_execz .LBB6_8
; %bb.6:
	v_lshlrev_b32_e32 v2, 2, v1
	v_add3_u32 v5, v2, 0, 64
	v_mad_u64_u32 v[2:3], s[26:27], s16, v1, 0
	s_lshl_b64 s[22:23], s[22:23], 2
	s_lshl_b64 s[4:5], s[4:5], 2
	v_mov_b32_e32 v6, v3
	s_waitcnt lgkmcnt(0)
	s_add_u32 s4, s20, s4
	v_mad_u64_u32 v[6:7], s[26:27], s17, v1, v[6:7]
	s_addc_u32 s5, s21, s5
	v_mov_b32_e32 v3, v6
	s_add_u32 s4, s4, s22
	v_lshlrev_b64 v[2:3], 2, v[2:3]
	s_addc_u32 s5, s5, s23
	v_mov_b32_e32 v6, s5
	v_add_co_u32_e32 v2, vcc, s4, v2
	s_lshl_b64 s[4:5], s[16:17], 12
	v_addc_co_u32_e32 v3, vcc, v6, v3, vcc
	s_mov_b64 s[16:17], 0
	v_mov_b32_e32 v6, s5
.LBB6_7:                                ; =>This Inner Loop Header: Depth=1
	global_load_dword v7, v[2:3], off
	v_add_co_u32_e32 v2, vcc, s4, v2
	v_add_u32_e32 v1, 0x400, v1
	v_addc_co_u32_e32 v3, vcc, v3, v6, vcc
	v_cmp_le_i32_e32 vcc, s28, v1
	s_or_b64 s[16:17], vcc, s[16:17]
	s_waitcnt vmcnt(0)
	ds_write_b32 v5, v7
	v_add_u32_e32 v5, 0x1000, v5
	s_andn2_b64 exec, exec, s[16:17]
	s_cbranch_execnz .LBB6_7
.LBB6_8:
	s_or_b64 exec, exec, s[24:25]
	s_lshl_b64 s[4:5], s[10:11], 2
	s_lshl_b64 s[16:17], s[18:19], 2
	s_add_u32 s4, s4, s16
	s_addc_u32 s5, s5, s17
	s_add_u32 s4, s2, s4
	v_lshlrev_b32_e32 v2, 2, v0
	s_addc_u32 s5, s3, s5
	v_add3_u32 v5, v2, 0, 64
	v_mov_b32_e32 v3, s5
	v_add_co_u32_e32 v2, vcc, s4, v2
	v_mov_b32_e32 v1, 0
	v_addc_co_u32_e32 v3, vcc, 0, v3, vcc
	s_mov_b64 s[4:5], 0
	v_mov_b32_e32 v6, v0
.LBB6_9:                                ; =>This Inner Loop Header: Depth=1
	global_load_dword v7, v[2:3], off
	ds_read_b32 v8, v5
	v_add_co_u32_e32 v2, vcc, 0x1000, v2
	v_add_u32_e32 v6, 0x400, v6
	v_addc_co_u32_e32 v3, vcc, 0, v3, vcc
	v_cmp_le_i32_e32 vcc, s28, v6
	v_add_u32_e32 v5, 0x1000, v5
	s_or_b64 s[4:5], vcc, s[4:5]
	s_waitcnt vmcnt(0) lgkmcnt(0)
	v_mul_f32_e32 v7, v7, v8
	v_add_f32_e32 v1, v1, v7
	s_andn2_b64 exec, exec, s[4:5]
	s_cbranch_execnz .LBB6_9
; %bb.10:
	s_or_b64 exec, exec, s[4:5]
.LBB6_11:
	s_or_b64 exec, exec, s[6:7]
	v_mbcnt_lo_u32_b32 v2, -1, 0
	v_mbcnt_hi_u32_b32 v2, -1, v2
	v_and_b32_e32 v3, 63, v2
	v_cmp_ne_u32_e32 vcc, 63, v3
	v_addc_co_u32_e32 v5, vcc, 0, v2, vcc
	v_lshlrev_b32_e32 v5, 2, v5
	ds_bpermute_b32 v5, v5, v1
	v_cmp_gt_u32_e32 vcc, 62, v3
	v_cndmask_b32_e64 v6, 0, 1, vcc
	v_cmp_gt_u32_e32 vcc, 60, v3
	s_waitcnt lgkmcnt(0)
	v_add_f32_e32 v1, v1, v5
	v_lshlrev_b32_e32 v5, 1, v6
	v_add_lshl_u32 v5, v5, v2, 2
	ds_bpermute_b32 v5, v5, v1
	v_cndmask_b32_e64 v6, 0, 1, vcc
	v_cmp_gt_u32_e32 vcc, 56, v3
	s_waitcnt lgkmcnt(0)
	v_add_f32_e32 v1, v1, v5
	v_lshlrev_b32_e32 v5, 2, v6
	v_add_lshl_u32 v5, v5, v2, 2
	ds_bpermute_b32 v5, v5, v1
	;; [unrolled: 7-line block ×3, first 2 shown]
	v_cndmask_b32_e64 v6, 0, 1, vcc
	v_cmp_gt_u32_e32 vcc, 32, v3
	v_cndmask_b32_e64 v3, 0, 1, vcc
	v_lshlrev_b32_e32 v3, 5, v3
	s_waitcnt lgkmcnt(0)
	v_add_f32_e32 v1, v1, v5
	v_lshlrev_b32_e32 v5, 4, v6
	v_add_lshl_u32 v5, v5, v2, 2
	ds_bpermute_b32 v5, v5, v1
	v_add_lshl_u32 v2, v3, v2, 2
	v_and_b32_e32 v3, 63, v0
	v_cmp_eq_u32_e32 vcc, 0, v3
	s_waitcnt lgkmcnt(0)
	v_add_f32_e32 v1, v1, v5
	ds_bpermute_b32 v2, v2, v1
	s_waitcnt lgkmcnt(0)
	v_add_f32_e32 v1, v1, v2
	s_and_saveexec_b64 s[4:5], vcc
	s_cbranch_execz .LBB6_13
; %bb.12:
	v_lshrrev_b32_e32 v2, 4, v0
	v_add_u32_e32 v2, 0, v2
	ds_write_b32 v2, v1
.LBB6_13:
	s_or_b64 exec, exec, s[4:5]
	v_cmp_eq_u32_e32 vcc, 0, v0
	s_waitcnt lgkmcnt(0)
	s_barrier
	s_and_saveexec_b64 s[4:5], vcc
	s_cbranch_execz .LBB6_15
; %bb.14:
	v_mov_b32_e32 v5, 0
	ds_read2_b32 v[2:3], v5 offset0:1 offset1:2
	ds_read2_b32 v[6:7], v5 offset0:3 offset1:4
	;; [unrolled: 1-line block ×4, first 2 shown]
	s_waitcnt lgkmcnt(3)
	v_add_f32_e32 v1, v1, v2
	v_add_f32_e32 v1, v1, v3
	s_waitcnt lgkmcnt(2)
	v_add_f32_e32 v1, v1, v6
	v_add_f32_e32 v1, v1, v7
	ds_read2_b32 v[2:3], v5 offset0:9 offset1:10
	s_waitcnt lgkmcnt(2)
	v_add_f32_e32 v1, v1, v8
	v_add_f32_e32 v1, v1, v9
	s_waitcnt lgkmcnt(1)
	v_add_f32_e32 v1, v1, v10
	v_add_f32_e32 v1, v1, v11
	ds_read2_b32 v[6:7], v5 offset0:11 offset1:12
	ds_read2_b32 v[8:9], v5 offset0:13 offset1:14
	ds_read_b32 v10, v5 offset:60
	s_waitcnt lgkmcnt(3)
	v_add_f32_e32 v1, v1, v2
	v_add_f32_e32 v1, v1, v3
	s_waitcnt lgkmcnt(2)
	v_add_f32_e32 v1, v1, v6
	v_add_f32_e32 v1, v1, v7
	;; [unrolled: 3-line block ×3, first 2 shown]
	s_waitcnt lgkmcnt(0)
	v_add_f32_e32 v1, v1, v10
	ds_write_b32 v5, v1
.LBB6_15:
	s_or_b64 exec, exec, s[4:5]
	s_waitcnt lgkmcnt(0)
	s_barrier
	s_and_saveexec_b64 s[4:5], s[0:1]
	s_cbranch_execz .LBB6_23
; %bb.16:
	s_mul_i32 s0, s8, s15
	s_mul_hi_u32 s1, s8, s14
	s_add_i32 s0, s1, s0
	s_mul_i32 s1, s9, s14
	s_add_i32 s1, s0, s1
	s_mul_i32 s0, s8, s14
	s_lshl_b64 s[0:1], s[0:1], 2
	s_add_u32 s0, s12, s0
	s_addc_u32 s1, s13, s1
	v_mov_b32_e32 v5, 0
	s_load_dword s0, s[0:1], 0x0
	ds_read_b32 v1, v5
	s_mov_b64 s[4:5], -1
	s_waitcnt lgkmcnt(0)
	v_mul_f32_e64 v2, v1, -s0
	s_movk_i32 s0, 0x3ff
	v_cmp_lt_u32_e32 vcc, s0, v4
	s_and_saveexec_b64 s[0:1], vcc
	s_cbranch_execz .LBB6_20
; %bb.17:
	s_lshl_b64 s[4:5], s[18:19], 2
	s_add_u32 s6, s2, s4
	v_lshrrev_b32_e32 v1, 10, v4
	s_addc_u32 s7, s3, s5
	s_lshl_b64 s[4:5], s[10:11], 2
	v_add_u32_e32 v8, 1, v1
	s_add_u32 s6, s6, s4
	s_addc_u32 s7, s7, s5
	v_and_b32_e32 v9, 0x7ffffe, v8
	v_or_b32_e32 v1, 0x400, v0
	v_lshlrev_b32_e32 v4, 2, v0
	v_mov_b32_e32 v3, v2
	v_add3_u32 v10, v4, 0, 64
	s_mov_b64 s[4:5], 0
	v_mov_b32_e32 v11, s7
	v_mov_b32_e32 v12, v9
	v_pk_mov_b32 v[6:7], v[0:1], v[0:1] op_sel:[0,1]
.LBB6_18:                               ; =>This Inner Loop Header: Depth=1
	v_mov_b32_e32 v4, v6
	v_lshlrev_b64 v[14:15], 2, v[4:5]
	v_mov_b32_e32 v4, v7
	v_add_co_u32_e32 v14, vcc, s6, v14
	v_addc_co_u32_e32 v15, vcc, v11, v15, vcc
	v_lshlrev_b64 v[16:17], 2, v[4:5]
	v_add_co_u32_e32 v16, vcc, s6, v16
	v_addc_co_u32_e32 v17, vcc, v11, v17, vcc
	global_load_dword v18, v[14:15], off
	global_load_dword v19, v[16:17], off
	ds_read2st64_b32 v[20:21], v10 offset1:16
	v_add_u32_e32 v12, -2, v12
	v_cmp_eq_u32_e32 vcc, 0, v12
	v_add_u32_e32 v6, 0x800, v6
	v_add_u32_e32 v10, 0x2000, v10
	;; [unrolled: 1-line block ×3, first 2 shown]
	s_or_b64 s[4:5], vcc, s[4:5]
	s_waitcnt vmcnt(0) lgkmcnt(0)
	v_pk_fma_f32 v[18:19], v[2:3], v[20:21], v[18:19]
	global_store_dword v[14:15], v18, off
	global_store_dword v[16:17], v19, off
	s_andn2_b64 exec, exec, s[4:5]
	s_cbranch_execnz .LBB6_18
; %bb.19:
	s_or_b64 exec, exec, s[4:5]
	v_cmp_ne_u32_e32 vcc, v8, v9
	v_lshl_or_b32 v0, v9, 10, v0
	s_orn2_b64 s[4:5], vcc, exec
.LBB6_20:
	s_or_b64 exec, exec, s[0:1]
	s_and_b64 exec, exec, s[4:5]
	s_cbranch_execz .LBB6_23
; %bb.21:
	s_lshl_b64 s[0:1], s[10:11], 2
	s_lshl_b64 s[4:5], s[18:19], 2
	s_add_u32 s0, s0, s4
	v_lshlrev_b32_e32 v1, 2, v0
	s_addc_u32 s1, s1, s5
	v_add3_u32 v3, v1, 0, 64
	v_mov_b32_e32 v1, 0
	s_add_u32 s0, s2, s0
	v_lshlrev_b64 v[4:5], 2, v[0:1]
	s_addc_u32 s1, s3, s1
	v_mov_b32_e32 v1, s1
	v_add_co_u32_e32 v4, vcc, s0, v4
	v_addc_co_u32_e32 v5, vcc, v1, v5, vcc
	s_mov_b64 s[0:1], 0
.LBB6_22:                               ; =>This Inner Loop Header: Depth=1
	global_load_dword v1, v[4:5], off
	ds_read_b32 v6, v3
	v_add_u32_e32 v0, 0x400, v0
	v_cmp_le_i32_e32 vcc, s28, v0
	s_or_b64 s[0:1], vcc, s[0:1]
	v_add_u32_e32 v3, 0x1000, v3
	s_waitcnt vmcnt(0) lgkmcnt(0)
	v_fmac_f32_e32 v1, v2, v6
	global_store_dword v[4:5], v1, off
	v_add_co_u32_e32 v4, vcc, 0x1000, v4
	v_addc_co_u32_e32 v5, vcc, 0, v5, vcc
	s_andn2_b64 exec, exec, s[0:1]
	s_cbranch_execnz .LBB6_22
.LBB6_23:
	s_endpgm
	.section	.rodata,"a",@progbits
	.p2align	6, 0x0
	.amdhsa_kernel _ZN9rocsolver6v33100L16larf_left_kernelILi1024EfiPKPfEEvT1_S5_T2_lS5_lPKT0_lS6_lS5_l
		.amdhsa_group_segment_fixed_size 0
		.amdhsa_private_segment_fixed_size 0
		.amdhsa_kernarg_size 88
		.amdhsa_user_sgpr_count 6
		.amdhsa_user_sgpr_private_segment_buffer 1
		.amdhsa_user_sgpr_dispatch_ptr 0
		.amdhsa_user_sgpr_queue_ptr 0
		.amdhsa_user_sgpr_kernarg_segment_ptr 1
		.amdhsa_user_sgpr_dispatch_id 0
		.amdhsa_user_sgpr_flat_scratch_init 0
		.amdhsa_user_sgpr_kernarg_preload_length 0
		.amdhsa_user_sgpr_kernarg_preload_offset 0
		.amdhsa_user_sgpr_private_segment_size 0
		.amdhsa_uses_dynamic_stack 0
		.amdhsa_system_sgpr_private_segment_wavefront_offset 0
		.amdhsa_system_sgpr_workgroup_id_x 1
		.amdhsa_system_sgpr_workgroup_id_y 1
		.amdhsa_system_sgpr_workgroup_id_z 1
		.amdhsa_system_sgpr_workgroup_info 0
		.amdhsa_system_vgpr_workitem_id 0
		.amdhsa_next_free_vgpr 22
		.amdhsa_next_free_sgpr 36
		.amdhsa_accum_offset 24
		.amdhsa_reserve_vcc 1
		.amdhsa_reserve_flat_scratch 0
		.amdhsa_float_round_mode_32 0
		.amdhsa_float_round_mode_16_64 0
		.amdhsa_float_denorm_mode_32 3
		.amdhsa_float_denorm_mode_16_64 3
		.amdhsa_dx10_clamp 1
		.amdhsa_ieee_mode 1
		.amdhsa_fp16_overflow 0
		.amdhsa_tg_split 0
		.amdhsa_exception_fp_ieee_invalid_op 0
		.amdhsa_exception_fp_denorm_src 0
		.amdhsa_exception_fp_ieee_div_zero 0
		.amdhsa_exception_fp_ieee_overflow 0
		.amdhsa_exception_fp_ieee_underflow 0
		.amdhsa_exception_fp_ieee_inexact 0
		.amdhsa_exception_int_div_zero 0
	.end_amdhsa_kernel
	.section	.text._ZN9rocsolver6v33100L16larf_left_kernelILi1024EfiPKPfEEvT1_S5_T2_lS5_lPKT0_lS6_lS5_l,"axG",@progbits,_ZN9rocsolver6v33100L16larf_left_kernelILi1024EfiPKPfEEvT1_S5_T2_lS5_lPKT0_lS6_lS5_l,comdat
.Lfunc_end6:
	.size	_ZN9rocsolver6v33100L16larf_left_kernelILi1024EfiPKPfEEvT1_S5_T2_lS5_lPKT0_lS6_lS5_l, .Lfunc_end6-_ZN9rocsolver6v33100L16larf_left_kernelILi1024EfiPKPfEEvT1_S5_T2_lS5_lPKT0_lS6_lS5_l
                                        ; -- End function
	.section	.AMDGPU.csdata,"",@progbits
; Kernel info:
; codeLenInByte = 1732
; NumSgprs: 40
; NumVgprs: 22
; NumAgprs: 0
; TotalNumVgprs: 22
; ScratchSize: 0
; MemoryBound: 0
; FloatMode: 240
; IeeeMode: 1
; LDSByteSize: 0 bytes/workgroup (compile time only)
; SGPRBlocks: 4
; VGPRBlocks: 2
; NumSGPRsForWavesPerEU: 40
; NumVGPRsForWavesPerEU: 22
; AccumOffset: 24
; Occupancy: 8
; WaveLimiterHint : 1
; COMPUTE_PGM_RSRC2:SCRATCH_EN: 0
; COMPUTE_PGM_RSRC2:USER_SGPR: 6
; COMPUTE_PGM_RSRC2:TRAP_HANDLER: 0
; COMPUTE_PGM_RSRC2:TGID_X_EN: 1
; COMPUTE_PGM_RSRC2:TGID_Y_EN: 1
; COMPUTE_PGM_RSRC2:TGID_Z_EN: 1
; COMPUTE_PGM_RSRC2:TIDIG_COMP_CNT: 0
; COMPUTE_PGM_RSRC3_GFX90A:ACCUM_OFFSET: 5
; COMPUTE_PGM_RSRC3_GFX90A:TG_SPLIT: 0
	.section	.text._ZN9rocsolver6v33100L17larf_right_kernelILi1024EfiPKPfEEvT1_S5_T2_lS5_lPKT0_lS6_lS5_l,"axG",@progbits,_ZN9rocsolver6v33100L17larf_right_kernelILi1024EfiPKPfEEvT1_S5_T2_lS5_lPKT0_lS6_lS5_l,comdat
	.globl	_ZN9rocsolver6v33100L17larf_right_kernelILi1024EfiPKPfEEvT1_S5_T2_lS5_lPKT0_lS6_lS5_l ; -- Begin function _ZN9rocsolver6v33100L17larf_right_kernelILi1024EfiPKPfEEvT1_S5_T2_lS5_lPKT0_lS6_lS5_l
	.p2align	8
	.type	_ZN9rocsolver6v33100L17larf_right_kernelILi1024EfiPKPfEEvT1_S5_T2_lS5_lPKT0_lS6_lS5_l,@function
_ZN9rocsolver6v33100L17larf_right_kernelILi1024EfiPKPfEEvT1_S5_T2_lS5_lPKT0_lS6_lS5_l: ; @_ZN9rocsolver6v33100L17larf_right_kernelILi1024EfiPKPfEEvT1_S5_T2_lS5_lPKT0_lS6_lS5_l
; %bb.0:
	s_load_dwordx8 s[12:19], s[4:5], 0x28
	s_load_dword s30, s[4:5], 0x4
	s_load_dword s6, s[4:5], 0x48
	s_ashr_i32 s9, s8, 31
	s_lshl_b64 s[24:25], s[8:9], 3
	s_waitcnt lgkmcnt(0)
	s_add_u32 s0, s16, s24
	s_addc_u32 s1, s17, s25
	s_load_dwordx2 s[16:17], s[0:1], 0x0
	s_mov_b32 s10, s7
	s_ashr_i32 s11, s7, 31
	v_cmp_gt_i32_e32 vcc, s30, v0
	v_mov_b32_e32 v1, 0
	s_and_saveexec_b64 s[20:21], vcc
	s_cbranch_execz .LBB7_11
; %bb.1:
	s_load_dword s22, s[4:5], 0x18
	s_load_dwordx4 s[0:3], s[4:5], 0x8
	s_sub_i32 s4, 1, s30
	v_xad_u32 v2, v0, -1, s30
	s_mov_b64 s[28:29], -1
	s_waitcnt lgkmcnt(0)
	s_ashr_i32 s23, s22, 31
	s_mul_i32 s7, s4, s22
	v_cmp_lt_i64_e64 s[4:5], s[22:23], 1
	s_and_b64 s[4:5], s[4:5], exec
	s_cselect_b32 s4, s7, 0
	s_ashr_i32 s5, s4, 31
	s_add_u32 s0, s0, s24
	s_addc_u32 s1, s1, s25
	s_load_dwordx2 s[24:25], s[0:1], 0x0
	s_movk_i32 s0, 0x3ff
	v_cmp_lt_u32_e64 s[0:1], s0, v2
	v_mov_b32_e32 v1, v0
	s_and_saveexec_b64 s[26:27], s[0:1]
	s_cbranch_execz .LBB7_5
; %bb.2:
	s_lshl_b64 s[0:1], s[2:3], 2
	s_waitcnt lgkmcnt(0)
	s_add_u32 s7, s24, s0
	s_addc_u32 s28, s25, s1
	s_lshl_b64 s[0:1], s[4:5], 2
	v_lshrrev_b32_e32 v1, 10, v2
	s_add_u32 s7, s7, s0
	v_add_u32_e32 v4, 1, v1
	s_addc_u32 s0, s28, s1
	v_and_b32_e32 v5, 0x7ffffe, v4
	v_or_b32_e32 v1, 0x400, v0
	v_lshlrev_b32_e32 v2, 2, v0
	s_mov_b32 s31, s22
	s_mov_b32 s33, s23
	v_add3_u32 v6, v2, 0, 64
	s_mov_b64 s[28:29], 0
	v_mov_b32_e32 v7, s0
	v_mov_b32_e32 v8, v5
	v_pk_mov_b32 v[2:3], v[0:1], v[0:1] op_sel:[0,1]
.LBB7_3:                                ; =>This Inner Loop Header: Depth=1
	v_mad_u64_u32 v[12:13], s[0:1], s22, v2, 0
	v_mov_b32_e32 v16, v13
	v_mad_u64_u32 v[10:11], s[0:1], s31, v3, 0
	v_mad_u64_u32 v[16:17], s[0:1], s23, v2, v[16:17]
	v_mov_b32_e32 v14, v11
	v_mov_b32_e32 v13, v16
	v_mad_u64_u32 v[14:15], s[0:1], s33, v3, v[14:15]
	v_lshlrev_b64 v[12:13], 2, v[12:13]
	v_mov_b32_e32 v11, v14
	v_add_co_u32_e64 v12, s[0:1], s7, v12
	v_lshlrev_b64 v[10:11], 2, v[10:11]
	v_addc_co_u32_e64 v13, s[0:1], v7, v13, s[0:1]
	v_add_co_u32_e64 v10, s[0:1], s7, v10
	v_addc_co_u32_e64 v11, s[0:1], v7, v11, s[0:1]
	global_load_dword v1, v[12:13], off
	global_load_dword v9, v[10:11], off
	v_add_u32_e32 v8, -2, v8
	v_cmp_eq_u32_e64 s[0:1], 0, v8
	v_add_u32_e32 v3, 0x800, v3
	v_add_u32_e32 v2, 0x800, v2
	s_or_b64 s[28:29], s[0:1], s[28:29]
	s_waitcnt vmcnt(0)
	ds_write2st64_b32 v6, v1, v9 offset1:16
	v_add_u32_e32 v6, 0x2000, v6
	s_andn2_b64 exec, exec, s[28:29]
	s_cbranch_execnz .LBB7_3
; %bb.4:
	s_or_b64 exec, exec, s[28:29]
	v_cmp_ne_u32_e64 s[0:1], v4, v5
	v_lshl_or_b32 v1, v5, 10, v0
	s_orn2_b64 s[28:29], s[0:1], exec
.LBB7_5:
	s_or_b64 exec, exec, s[26:27]
	s_and_saveexec_b64 s[26:27], s[28:29]
	s_cbranch_execz .LBB7_8
; %bb.6:
	v_lshlrev_b32_e32 v2, 2, v1
	v_add3_u32 v4, v2, 0, 64
	v_mad_u64_u32 v[2:3], s[0:1], s22, v1, 0
	v_mov_b32_e32 v6, v3
	v_mad_u64_u32 v[6:7], s[0:1], s23, v1, v[6:7]
	s_lshl_b64 s[0:1], s[2:3], 2
	s_lshl_b64 s[2:3], s[4:5], 2
	s_waitcnt lgkmcnt(0)
	s_add_u32 s2, s24, s2
	s_addc_u32 s3, s25, s3
	v_mov_b32_e32 v3, v6
	s_add_u32 s0, s2, s0
	v_lshlrev_b64 v[2:3], 2, v[2:3]
	s_addc_u32 s1, s3, s1
	v_mov_b32_e32 v5, s1
	v_add_co_u32_e64 v2, s[0:1], s0, v2
	s_lshl_b64 s[2:3], s[22:23], 12
	v_addc_co_u32_e64 v3, s[0:1], v5, v3, s[0:1]
	s_mov_b64 s[4:5], 0
	v_mov_b32_e32 v5, s3
.LBB7_7:                                ; =>This Inner Loop Header: Depth=1
	global_load_dword v6, v[2:3], off
	v_add_co_u32_e64 v2, s[0:1], s2, v2
	v_add_u32_e32 v1, 0x400, v1
	v_addc_co_u32_e64 v3, s[0:1], v3, v5, s[0:1]
	v_cmp_le_i32_e64 s[0:1], s30, v1
	s_or_b64 s[4:5], s[0:1], s[4:5]
	s_waitcnt vmcnt(0)
	ds_write_b32 v4, v6
	v_add_u32_e32 v4, 0x1000, v4
	s_andn2_b64 exec, exec, s[4:5]
	s_cbranch_execnz .LBB7_7
.LBB7_8:
	s_or_b64 exec, exec, s[26:27]
	v_mad_i64_i32 v[2:3], s[0:1], s6, v0, 0
	s_ashr_i32 s7, s6, 31
	s_lshl_b64 s[0:1], s[18:19], 2
	s_lshl_b64 s[2:3], s[10:11], 2
	s_add_u32 s2, s16, s2
	s_addc_u32 s3, s17, s3
	s_add_u32 s0, s2, s0
	v_lshlrev_b32_e32 v1, 2, v0
	v_lshlrev_b64 v[2:3], 2, v[2:3]
	s_addc_u32 s1, s3, s1
	v_add3_u32 v4, v1, 0, 64
	v_mov_b32_e32 v1, s1
	v_add_co_u32_e64 v2, s[0:1], s0, v2
	s_lshl_b64 s[4:5], s[6:7], 12
	v_addc_co_u32_e64 v3, s[0:1], v1, v3, s[0:1]
	s_mov_b64 s[2:3], 0
	v_mov_b32_e32 v1, 0
	v_mov_b32_e32 v5, s5
	;; [unrolled: 1-line block ×3, first 2 shown]
.LBB7_9:                                ; =>This Inner Loop Header: Depth=1
	global_load_dword v7, v[2:3], off
	ds_read_b32 v8, v4
	v_add_co_u32_e64 v2, s[0:1], s4, v2
	v_add_u32_e32 v6, 0x400, v6
	v_addc_co_u32_e64 v3, s[0:1], v3, v5, s[0:1]
	v_cmp_le_i32_e64 s[0:1], s30, v6
	v_add_u32_e32 v4, 0x1000, v4
	s_or_b64 s[2:3], s[0:1], s[2:3]
	s_waitcnt vmcnt(0) lgkmcnt(0)
	v_mul_f32_e32 v7, v7, v8
	v_add_f32_e32 v1, v1, v7
	s_andn2_b64 exec, exec, s[2:3]
	s_cbranch_execnz .LBB7_9
; %bb.10:
	s_or_b64 exec, exec, s[2:3]
.LBB7_11:
	s_or_b64 exec, exec, s[20:21]
	v_mbcnt_lo_u32_b32 v2, -1, 0
	v_mbcnt_hi_u32_b32 v2, -1, v2
	v_and_b32_e32 v3, 63, v2
	v_cmp_ne_u32_e64 s[0:1], 63, v3
	v_addc_co_u32_e64 v4, s[0:1], 0, v2, s[0:1]
	v_lshlrev_b32_e32 v4, 2, v4
	ds_bpermute_b32 v4, v4, v1
	v_cmp_gt_u32_e64 s[0:1], 62, v3
	v_cndmask_b32_e64 v5, 0, 1, s[0:1]
	v_cmp_gt_u32_e64 s[0:1], 60, v3
	s_waitcnt lgkmcnt(0)
	v_add_f32_e32 v1, v1, v4
	v_lshlrev_b32_e32 v4, 1, v5
	v_add_lshl_u32 v4, v4, v2, 2
	ds_bpermute_b32 v4, v4, v1
	v_cndmask_b32_e64 v5, 0, 1, s[0:1]
	v_cmp_gt_u32_e64 s[0:1], 56, v3
	s_waitcnt lgkmcnt(0)
	v_add_f32_e32 v1, v1, v4
	v_lshlrev_b32_e32 v4, 2, v5
	v_add_lshl_u32 v4, v4, v2, 2
	ds_bpermute_b32 v4, v4, v1
	;; [unrolled: 7-line block ×3, first 2 shown]
	v_cndmask_b32_e64 v5, 0, 1, s[0:1]
	v_cmp_gt_u32_e64 s[0:1], 32, v3
	v_cndmask_b32_e64 v3, 0, 1, s[0:1]
	v_lshlrev_b32_e32 v3, 5, v3
	s_waitcnt lgkmcnt(0)
	v_add_f32_e32 v1, v1, v4
	v_lshlrev_b32_e32 v4, 4, v5
	v_add_lshl_u32 v4, v4, v2, 2
	ds_bpermute_b32 v4, v4, v1
	v_add_lshl_u32 v2, v3, v2, 2
	v_and_b32_e32 v3, 63, v0
	v_cmp_eq_u32_e64 s[0:1], 0, v3
	s_waitcnt lgkmcnt(0)
	v_add_f32_e32 v1, v1, v4
	ds_bpermute_b32 v2, v2, v1
	s_waitcnt lgkmcnt(0)
	v_add_f32_e32 v1, v1, v2
	s_and_saveexec_b64 s[2:3], s[0:1]
	s_cbranch_execz .LBB7_13
; %bb.12:
	v_lshrrev_b32_e32 v2, 4, v0
	v_add_u32_e32 v2, 0, v2
	ds_write_b32 v2, v1
.LBB7_13:
	s_or_b64 exec, exec, s[2:3]
	v_cmp_eq_u32_e64 s[0:1], 0, v0
	s_waitcnt lgkmcnt(0)
	s_barrier
	s_and_saveexec_b64 s[2:3], s[0:1]
	s_cbranch_execz .LBB7_15
; %bb.14:
	v_mov_b32_e32 v10, 0
	ds_read2_b32 v[2:3], v10 offset0:1 offset1:2
	ds_read2_b32 v[4:5], v10 offset0:3 offset1:4
	;; [unrolled: 1-line block ×4, first 2 shown]
	s_waitcnt lgkmcnt(3)
	v_add_f32_e32 v1, v1, v2
	v_add_f32_e32 v1, v1, v3
	s_waitcnt lgkmcnt(2)
	v_add_f32_e32 v1, v1, v4
	v_add_f32_e32 v1, v1, v5
	ds_read2_b32 v[2:3], v10 offset0:9 offset1:10
	s_waitcnt lgkmcnt(2)
	v_add_f32_e32 v1, v1, v6
	v_add_f32_e32 v1, v1, v7
	s_waitcnt lgkmcnt(1)
	v_add_f32_e32 v1, v1, v8
	v_add_f32_e32 v1, v1, v9
	ds_read2_b32 v[4:5], v10 offset0:11 offset1:12
	ds_read2_b32 v[6:7], v10 offset0:13 offset1:14
	ds_read_b32 v8, v10 offset:60
	s_waitcnt lgkmcnt(3)
	v_add_f32_e32 v1, v1, v2
	v_add_f32_e32 v1, v1, v3
	s_waitcnt lgkmcnt(2)
	v_add_f32_e32 v1, v1, v4
	v_add_f32_e32 v1, v1, v5
	;; [unrolled: 3-line block ×3, first 2 shown]
	s_waitcnt lgkmcnt(0)
	v_add_f32_e32 v1, v1, v8
	ds_write_b32 v10, v1
.LBB7_15:
	s_or_b64 exec, exec, s[2:3]
	s_waitcnt lgkmcnt(0)
	s_barrier
	s_and_saveexec_b64 s[0:1], vcc
	s_cbranch_execz .LBB7_18
; %bb.16:
	s_mul_i32 s0, s8, s15
	s_mul_hi_u32 s1, s8, s14
	s_add_i32 s0, s1, s0
	s_mul_i32 s1, s9, s14
	s_add_i32 s1, s0, s1
	s_mul_i32 s0, s8, s14
	s_lshl_b64 s[0:1], s[0:1], 2
	s_add_u32 s0, s12, s0
	s_addc_u32 s1, s13, s1
	v_mov_b32_e32 v1, 0
	s_load_dword s0, s[0:1], 0x0
	ds_read_b32 v1, v1
	v_lshlrev_b32_e32 v2, 2, v0
	v_add3_u32 v4, v2, 0, 64
	s_ashr_i32 s7, s6, 31
	s_lshl_b64 s[2:3], s[10:11], 2
	s_waitcnt lgkmcnt(0)
	v_mul_f32_e64 v1, v1, -s0
	v_mad_i64_i32 v[2:3], s[0:1], s6, v0, 0
	s_lshl_b64 s[0:1], s[18:19], 2
	s_add_u32 s2, s16, s2
	s_addc_u32 s3, s17, s3
	s_add_u32 s0, s2, s0
	v_lshlrev_b64 v[2:3], 2, v[2:3]
	s_addc_u32 s1, s3, s1
	v_mov_b32_e32 v5, s1
	v_add_co_u32_e32 v2, vcc, s0, v2
	s_lshl_b64 s[0:1], s[6:7], 12
	v_addc_co_u32_e32 v3, vcc, v5, v3, vcc
	s_mov_b64 s[2:3], 0
	v_mov_b32_e32 v5, s1
.LBB7_17:                               ; =>This Inner Loop Header: Depth=1
	global_load_dword v6, v[2:3], off
	ds_read_b32 v7, v4
	v_add_u32_e32 v0, 0x400, v0
	v_cmp_le_i32_e32 vcc, s30, v0
	s_or_b64 s[2:3], vcc, s[2:3]
	v_add_u32_e32 v4, 0x1000, v4
	s_waitcnt vmcnt(0) lgkmcnt(0)
	v_fmac_f32_e32 v6, v1, v7
	global_store_dword v[2:3], v6, off
	v_add_co_u32_e32 v2, vcc, s0, v2
	v_addc_co_u32_e32 v3, vcc, v3, v5, vcc
	s_andn2_b64 exec, exec, s[2:3]
	s_cbranch_execnz .LBB7_17
.LBB7_18:
	s_endpgm
	.section	.rodata,"a",@progbits
	.p2align	6, 0x0
	.amdhsa_kernel _ZN9rocsolver6v33100L17larf_right_kernelILi1024EfiPKPfEEvT1_S5_T2_lS5_lPKT0_lS6_lS5_l
		.amdhsa_group_segment_fixed_size 0
		.amdhsa_private_segment_fixed_size 0
		.amdhsa_kernarg_size 88
		.amdhsa_user_sgpr_count 6
		.amdhsa_user_sgpr_private_segment_buffer 1
		.amdhsa_user_sgpr_dispatch_ptr 0
		.amdhsa_user_sgpr_queue_ptr 0
		.amdhsa_user_sgpr_kernarg_segment_ptr 1
		.amdhsa_user_sgpr_dispatch_id 0
		.amdhsa_user_sgpr_flat_scratch_init 0
		.amdhsa_user_sgpr_kernarg_preload_length 0
		.amdhsa_user_sgpr_kernarg_preload_offset 0
		.amdhsa_user_sgpr_private_segment_size 0
		.amdhsa_uses_dynamic_stack 0
		.amdhsa_system_sgpr_private_segment_wavefront_offset 0
		.amdhsa_system_sgpr_workgroup_id_x 1
		.amdhsa_system_sgpr_workgroup_id_y 1
		.amdhsa_system_sgpr_workgroup_id_z 1
		.amdhsa_system_sgpr_workgroup_info 0
		.amdhsa_system_vgpr_workitem_id 0
		.amdhsa_next_free_vgpr 18
		.amdhsa_next_free_sgpr 34
		.amdhsa_accum_offset 20
		.amdhsa_reserve_vcc 1
		.amdhsa_reserve_flat_scratch 0
		.amdhsa_float_round_mode_32 0
		.amdhsa_float_round_mode_16_64 0
		.amdhsa_float_denorm_mode_32 3
		.amdhsa_float_denorm_mode_16_64 3
		.amdhsa_dx10_clamp 1
		.amdhsa_ieee_mode 1
		.amdhsa_fp16_overflow 0
		.amdhsa_tg_split 0
		.amdhsa_exception_fp_ieee_invalid_op 0
		.amdhsa_exception_fp_denorm_src 0
		.amdhsa_exception_fp_ieee_div_zero 0
		.amdhsa_exception_fp_ieee_overflow 0
		.amdhsa_exception_fp_ieee_underflow 0
		.amdhsa_exception_fp_ieee_inexact 0
		.amdhsa_exception_int_div_zero 0
	.end_amdhsa_kernel
	.section	.text._ZN9rocsolver6v33100L17larf_right_kernelILi1024EfiPKPfEEvT1_S5_T2_lS5_lPKT0_lS6_lS5_l,"axG",@progbits,_ZN9rocsolver6v33100L17larf_right_kernelILi1024EfiPKPfEEvT1_S5_T2_lS5_lPKT0_lS6_lS5_l,comdat
.Lfunc_end7:
	.size	_ZN9rocsolver6v33100L17larf_right_kernelILi1024EfiPKPfEEvT1_S5_T2_lS5_lPKT0_lS6_lS5_l, .Lfunc_end7-_ZN9rocsolver6v33100L17larf_right_kernelILi1024EfiPKPfEEvT1_S5_T2_lS5_lPKT0_lS6_lS5_l
                                        ; -- End function
	.section	.AMDGPU.csdata,"",@progbits
; Kernel info:
; codeLenInByte = 1596
; NumSgprs: 38
; NumVgprs: 18
; NumAgprs: 0
; TotalNumVgprs: 18
; ScratchSize: 0
; MemoryBound: 0
; FloatMode: 240
; IeeeMode: 1
; LDSByteSize: 0 bytes/workgroup (compile time only)
; SGPRBlocks: 4
; VGPRBlocks: 2
; NumSGPRsForWavesPerEU: 38
; NumVGPRsForWavesPerEU: 18
; AccumOffset: 20
; Occupancy: 8
; WaveLimiterHint : 1
; COMPUTE_PGM_RSRC2:SCRATCH_EN: 0
; COMPUTE_PGM_RSRC2:USER_SGPR: 6
; COMPUTE_PGM_RSRC2:TRAP_HANDLER: 0
; COMPUTE_PGM_RSRC2:TGID_X_EN: 1
; COMPUTE_PGM_RSRC2:TGID_Y_EN: 1
; COMPUTE_PGM_RSRC2:TGID_Z_EN: 1
; COMPUTE_PGM_RSRC2:TIDIG_COMP_CNT: 0
; COMPUTE_PGM_RSRC3_GFX90A:ACCUM_OFFSET: 4
; COMPUTE_PGM_RSRC3_GFX90A:TG_SPLIT: 0
	.section	.text._ZN9rocsolver6v33100L9get_arrayIfiEEvPPT_S3_lT0_,"axG",@progbits,_ZN9rocsolver6v33100L9get_arrayIfiEEvPPT_S3_lT0_,comdat
	.globl	_ZN9rocsolver6v33100L9get_arrayIfiEEvPPT_S3_lT0_ ; -- Begin function _ZN9rocsolver6v33100L9get_arrayIfiEEvPPT_S3_lT0_
	.p2align	8
	.type	_ZN9rocsolver6v33100L9get_arrayIfiEEvPPT_S3_lT0_,@function
_ZN9rocsolver6v33100L9get_arrayIfiEEvPPT_S3_lT0_: ; @_ZN9rocsolver6v33100L9get_arrayIfiEEvPPT_S3_lT0_
; %bb.0:
	s_load_dword s0, s[4:5], 0x2c
	s_load_dword s1, s[4:5], 0x18
	s_waitcnt lgkmcnt(0)
	s_and_b32 s0, s0, 0xffff
	s_mul_i32 s6, s6, s0
	v_add_u32_e32 v0, s6, v0
	v_cmp_gt_i32_e32 vcc, s1, v0
	s_and_saveexec_b64 s[0:1], vcc
	s_cbranch_execz .LBB8_2
; %bb.1:
	s_load_dwordx2 s[6:7], s[4:5], 0x10
	s_load_dwordx4 s[0:3], s[4:5], 0x0
	v_ashrrev_i32_e32 v1, 31, v0
	s_waitcnt lgkmcnt(0)
	v_mul_lo_u32 v4, v0, s7
	v_mul_lo_u32 v5, v1, s6
	v_mad_u64_u32 v[2:3], s[4:5], v0, s6, 0
	v_add3_u32 v3, v3, v4, v5
	v_lshlrev_b64 v[2:3], 2, v[2:3]
	v_mov_b32_e32 v4, s3
	v_add_co_u32_e32 v2, vcc, s2, v2
	v_addc_co_u32_e32 v3, vcc, v4, v3, vcc
	v_lshlrev_b64 v[0:1], 3, v[0:1]
	v_mov_b32_e32 v4, s1
	v_add_co_u32_e32 v0, vcc, s0, v0
	v_addc_co_u32_e32 v1, vcc, v4, v1, vcc
	global_store_dwordx2 v[0:1], v[2:3], off
.LBB8_2:
	s_endpgm
	.section	.rodata,"a",@progbits
	.p2align	6, 0x0
	.amdhsa_kernel _ZN9rocsolver6v33100L9get_arrayIfiEEvPPT_S3_lT0_
		.amdhsa_group_segment_fixed_size 0
		.amdhsa_private_segment_fixed_size 0
		.amdhsa_kernarg_size 288
		.amdhsa_user_sgpr_count 6
		.amdhsa_user_sgpr_private_segment_buffer 1
		.amdhsa_user_sgpr_dispatch_ptr 0
		.amdhsa_user_sgpr_queue_ptr 0
		.amdhsa_user_sgpr_kernarg_segment_ptr 1
		.amdhsa_user_sgpr_dispatch_id 0
		.amdhsa_user_sgpr_flat_scratch_init 0
		.amdhsa_user_sgpr_kernarg_preload_length 0
		.amdhsa_user_sgpr_kernarg_preload_offset 0
		.amdhsa_user_sgpr_private_segment_size 0
		.amdhsa_uses_dynamic_stack 0
		.amdhsa_system_sgpr_private_segment_wavefront_offset 0
		.amdhsa_system_sgpr_workgroup_id_x 1
		.amdhsa_system_sgpr_workgroup_id_y 0
		.amdhsa_system_sgpr_workgroup_id_z 0
		.amdhsa_system_sgpr_workgroup_info 0
		.amdhsa_system_vgpr_workitem_id 0
		.amdhsa_next_free_vgpr 6
		.amdhsa_next_free_sgpr 8
		.amdhsa_accum_offset 8
		.amdhsa_reserve_vcc 1
		.amdhsa_reserve_flat_scratch 0
		.amdhsa_float_round_mode_32 0
		.amdhsa_float_round_mode_16_64 0
		.amdhsa_float_denorm_mode_32 3
		.amdhsa_float_denorm_mode_16_64 3
		.amdhsa_dx10_clamp 1
		.amdhsa_ieee_mode 1
		.amdhsa_fp16_overflow 0
		.amdhsa_tg_split 0
		.amdhsa_exception_fp_ieee_invalid_op 0
		.amdhsa_exception_fp_denorm_src 0
		.amdhsa_exception_fp_ieee_div_zero 0
		.amdhsa_exception_fp_ieee_overflow 0
		.amdhsa_exception_fp_ieee_underflow 0
		.amdhsa_exception_fp_ieee_inexact 0
		.amdhsa_exception_int_div_zero 0
	.end_amdhsa_kernel
	.section	.text._ZN9rocsolver6v33100L9get_arrayIfiEEvPPT_S3_lT0_,"axG",@progbits,_ZN9rocsolver6v33100L9get_arrayIfiEEvPPT_S3_lT0_,comdat
.Lfunc_end8:
	.size	_ZN9rocsolver6v33100L9get_arrayIfiEEvPPT_S3_lT0_, .Lfunc_end8-_ZN9rocsolver6v33100L9get_arrayIfiEEvPPT_S3_lT0_
                                        ; -- End function
	.section	.AMDGPU.csdata,"",@progbits
; Kernel info:
; codeLenInByte = 156
; NumSgprs: 12
; NumVgprs: 6
; NumAgprs: 0
; TotalNumVgprs: 6
; ScratchSize: 0
; MemoryBound: 0
; FloatMode: 240
; IeeeMode: 1
; LDSByteSize: 0 bytes/workgroup (compile time only)
; SGPRBlocks: 1
; VGPRBlocks: 0
; NumSGPRsForWavesPerEU: 12
; NumVGPRsForWavesPerEU: 6
; AccumOffset: 8
; Occupancy: 8
; WaveLimiterHint : 0
; COMPUTE_PGM_RSRC2:SCRATCH_EN: 0
; COMPUTE_PGM_RSRC2:USER_SGPR: 6
; COMPUTE_PGM_RSRC2:TRAP_HANDLER: 0
; COMPUTE_PGM_RSRC2:TGID_X_EN: 1
; COMPUTE_PGM_RSRC2:TGID_Y_EN: 0
; COMPUTE_PGM_RSRC2:TGID_Z_EN: 0
; COMPUTE_PGM_RSRC2:TIDIG_COMP_CNT: 0
; COMPUTE_PGM_RSRC3_GFX90A:ACCUM_OFFSET: 1
; COMPUTE_PGM_RSRC3_GFX90A:TG_SPLIT: 0
	.section	.text._ZN9rocsolver6v33100L12restore_diagIfifPKPfEEvPT1_llT2_lT0_lS8_,"axG",@progbits,_ZN9rocsolver6v33100L12restore_diagIfifPKPfEEvPT1_llT2_lT0_lS8_,comdat
	.globl	_ZN9rocsolver6v33100L12restore_diagIfifPKPfEEvPT1_llT2_lT0_lS8_ ; -- Begin function _ZN9rocsolver6v33100L12restore_diagIfifPKPfEEvPT1_llT2_lT0_lS8_
	.p2align	8
	.type	_ZN9rocsolver6v33100L12restore_diagIfifPKPfEEvPT1_llT2_lT0_lS8_,@function
_ZN9rocsolver6v33100L12restore_diagIfifPKPfEEvPT1_llT2_lT0_lS8_: ; @_ZN9rocsolver6v33100L12restore_diagIfifPKPfEEvPT1_llT2_lT0_lS8_
; %bb.0:
	s_load_dword s0, s[4:5], 0x4c
	s_load_dword s1, s[4:5], 0x38
	v_bfe_u32 v0, v0, 10, 10
	s_waitcnt lgkmcnt(0)
	s_lshr_b32 s0, s0, 16
	s_mul_i32 s7, s7, s0
	v_add_u32_e32 v0, s7, v0
	v_cmp_gt_i32_e32 vcc, s1, v0
	s_and_saveexec_b64 s[0:1], vcc
	s_cbranch_execz .LBB9_2
; %bb.1:
	s_load_dwordx8 s[8:15], s[4:5], 0x0
	s_ashr_i32 s7, s6, 31
	s_lshl_b64 s[0:1], s[6:7], 3
	s_waitcnt lgkmcnt(0)
	s_add_u32 s0, s14, s0
	s_addc_u32 s1, s15, s1
	s_load_dwordx2 s[2:3], s[4:5], 0x20
	s_load_dwordx2 s[14:15], s[0:1], 0x0
	s_load_dword s16, s[4:5], 0x28
	s_mul_i32 s4, s6, s13
	s_mul_hi_u32 s5, s6, s12
	s_waitcnt lgkmcnt(0)
	s_lshl_b64 s[0:1], s[2:3], 2
	s_add_u32 s2, s14, s0
	s_addc_u32 s3, s15, s1
	s_add_i32 s0, s5, s4
	s_mul_i32 s1, s7, s12
	s_add_i32 s1, s0, s1
	s_mul_i32 s0, s6, s12
	s_lshl_b64 s[0:1], s[0:1], 2
	s_add_u32 s4, s8, s0
	s_addc_u32 s5, s9, s1
	s_lshl_b64 s[0:1], s[10:11], 2
	s_add_u32 s4, s4, s0
	s_addc_u32 s5, s5, s1
	v_mad_u64_u32 v[2:3], s[0:1], v0, s16, v[0:1]
	v_ashrrev_i32_e32 v1, 31, v0
	v_lshlrev_b64 v[0:1], 2, v[0:1]
	v_mov_b32_e32 v3, s5
	v_add_co_u32_e32 v0, vcc, s4, v0
	v_addc_co_u32_e32 v1, vcc, v3, v1, vcc
	global_load_dword v4, v[0:1], off
	v_ashrrev_i32_e32 v3, 31, v2
	v_lshlrev_b64 v[0:1], 2, v[2:3]
	v_mov_b32_e32 v2, s3
	v_add_co_u32_e32 v0, vcc, s2, v0
	v_addc_co_u32_e32 v1, vcc, v2, v1, vcc
	s_waitcnt vmcnt(0)
	global_store_dword v[0:1], v4, off
.LBB9_2:
	s_endpgm
	.section	.rodata,"a",@progbits
	.p2align	6, 0x0
	.amdhsa_kernel _ZN9rocsolver6v33100L12restore_diagIfifPKPfEEvPT1_llT2_lT0_lS8_
		.amdhsa_group_segment_fixed_size 0
		.amdhsa_private_segment_fixed_size 0
		.amdhsa_kernarg_size 320
		.amdhsa_user_sgpr_count 6
		.amdhsa_user_sgpr_private_segment_buffer 1
		.amdhsa_user_sgpr_dispatch_ptr 0
		.amdhsa_user_sgpr_queue_ptr 0
		.amdhsa_user_sgpr_kernarg_segment_ptr 1
		.amdhsa_user_sgpr_dispatch_id 0
		.amdhsa_user_sgpr_flat_scratch_init 0
		.amdhsa_user_sgpr_kernarg_preload_length 0
		.amdhsa_user_sgpr_kernarg_preload_offset 0
		.amdhsa_user_sgpr_private_segment_size 0
		.amdhsa_uses_dynamic_stack 0
		.amdhsa_system_sgpr_private_segment_wavefront_offset 0
		.amdhsa_system_sgpr_workgroup_id_x 1
		.amdhsa_system_sgpr_workgroup_id_y 1
		.amdhsa_system_sgpr_workgroup_id_z 0
		.amdhsa_system_sgpr_workgroup_info 0
		.amdhsa_system_vgpr_workitem_id 1
		.amdhsa_next_free_vgpr 5
		.amdhsa_next_free_sgpr 17
		.amdhsa_accum_offset 8
		.amdhsa_reserve_vcc 1
		.amdhsa_reserve_flat_scratch 0
		.amdhsa_float_round_mode_32 0
		.amdhsa_float_round_mode_16_64 0
		.amdhsa_float_denorm_mode_32 3
		.amdhsa_float_denorm_mode_16_64 3
		.amdhsa_dx10_clamp 1
		.amdhsa_ieee_mode 1
		.amdhsa_fp16_overflow 0
		.amdhsa_tg_split 0
		.amdhsa_exception_fp_ieee_invalid_op 0
		.amdhsa_exception_fp_denorm_src 0
		.amdhsa_exception_fp_ieee_div_zero 0
		.amdhsa_exception_fp_ieee_overflow 0
		.amdhsa_exception_fp_ieee_underflow 0
		.amdhsa_exception_fp_ieee_inexact 0
		.amdhsa_exception_int_div_zero 0
	.end_amdhsa_kernel
	.section	.text._ZN9rocsolver6v33100L12restore_diagIfifPKPfEEvPT1_llT2_lT0_lS8_,"axG",@progbits,_ZN9rocsolver6v33100L12restore_diagIfifPKPfEEvPT1_llT2_lT0_lS8_,comdat
.Lfunc_end9:
	.size	_ZN9rocsolver6v33100L12restore_diagIfifPKPfEEvPT1_llT2_lT0_lS8_, .Lfunc_end9-_ZN9rocsolver6v33100L12restore_diagIfifPKPfEEvPT1_llT2_lT0_lS8_
                                        ; -- End function
	.section	.AMDGPU.csdata,"",@progbits
; Kernel info:
; codeLenInByte = 248
; NumSgprs: 21
; NumVgprs: 5
; NumAgprs: 0
; TotalNumVgprs: 5
; ScratchSize: 0
; MemoryBound: 0
; FloatMode: 240
; IeeeMode: 1
; LDSByteSize: 0 bytes/workgroup (compile time only)
; SGPRBlocks: 2
; VGPRBlocks: 0
; NumSGPRsForWavesPerEU: 21
; NumVGPRsForWavesPerEU: 5
; AccumOffset: 8
; Occupancy: 8
; WaveLimiterHint : 1
; COMPUTE_PGM_RSRC2:SCRATCH_EN: 0
; COMPUTE_PGM_RSRC2:USER_SGPR: 6
; COMPUTE_PGM_RSRC2:TRAP_HANDLER: 0
; COMPUTE_PGM_RSRC2:TGID_X_EN: 1
; COMPUTE_PGM_RSRC2:TGID_Y_EN: 1
; COMPUTE_PGM_RSRC2:TGID_Z_EN: 0
; COMPUTE_PGM_RSRC2:TIDIG_COMP_CNT: 1
; COMPUTE_PGM_RSRC3_GFX90A:ACCUM_OFFSET: 1
; COMPUTE_PGM_RSRC3_GFX90A:TG_SPLIT: 0
	.section	.text._ZN9rocsolver6v33100L14set_triangularIfPKPfTnNSt9enable_ifIXnt18rocblas_is_complexIT_EEiE4typeELi0EEEviiT0_iilPS6_lSA_il15rocblas_direct_15rocblas_storev_b,"axG",@progbits,_ZN9rocsolver6v33100L14set_triangularIfPKPfTnNSt9enable_ifIXnt18rocblas_is_complexIT_EEiE4typeELi0EEEviiT0_iilPS6_lSA_il15rocblas_direct_15rocblas_storev_b,comdat
	.globl	_ZN9rocsolver6v33100L14set_triangularIfPKPfTnNSt9enable_ifIXnt18rocblas_is_complexIT_EEiE4typeELi0EEEviiT0_iilPS6_lSA_il15rocblas_direct_15rocblas_storev_b ; -- Begin function _ZN9rocsolver6v33100L14set_triangularIfPKPfTnNSt9enable_ifIXnt18rocblas_is_complexIT_EEiE4typeELi0EEEviiT0_iilPS6_lSA_il15rocblas_direct_15rocblas_storev_b
	.p2align	8
	.type	_ZN9rocsolver6v33100L14set_triangularIfPKPfTnNSt9enable_ifIXnt18rocblas_is_complexIT_EEiE4typeELi0EEEviiT0_iilPS6_lSA_il15rocblas_direct_15rocblas_storev_b,@function
_ZN9rocsolver6v33100L14set_triangularIfPKPfTnNSt9enable_ifIXnt18rocblas_is_complexIT_EEiE4typeELi0EEEviiT0_iilPS6_lSA_il15rocblas_direct_15rocblas_storev_b: ; @_ZN9rocsolver6v33100L14set_triangularIfPKPfTnNSt9enable_ifIXnt18rocblas_is_complexIT_EEiE4typeELi0EEEviiT0_iilPS6_lSA_il15rocblas_direct_15rocblas_storev_b
; %bb.0:
	s_load_dword s0, s[4:5], 0x64
	s_load_dwordx2 s[12:13], s[4:5], 0x0
	v_and_b32_e32 v1, 0x3ff, v0
	v_bfe_u32 v0, v0, 10, 10
	s_waitcnt lgkmcnt(0)
	s_lshr_b32 s1, s0, 16
	s_and_b32 s0, s0, 0xffff
	s_mul_i32 s6, s6, s0
	s_mul_i32 s7, s7, s1
	v_add_u32_e32 v2, s6, v1
	v_add_u32_e32 v0, s7, v0
	v_max_u32_e32 v1, v2, v0
	v_cmp_gt_u32_e32 vcc, s13, v1
	s_and_saveexec_b64 s[0:1], vcc
	s_cbranch_execz .LBB10_36
; %bb.1:
	s_load_dwordx4 s[0:3], s[4:5], 0x20
	s_load_dwordx2 s[6:7], s[4:5], 0x30
	s_load_dword s14, s[4:5], 0x38
	s_load_dwordx2 s[10:11], s[4:5], 0x40
	v_cmp_ne_u32_e32 vcc, v0, v2
	s_waitcnt lgkmcnt(0)
	s_mul_i32 s3, s8, s3
	s_mul_hi_u32 s9, s8, s2
	s_add_i32 s3, s9, s3
	s_mul_i32 s2, s8, s2
	s_lshl_b64 s[2:3], s[2:3], 2
	s_add_u32 s17, s0, s2
	s_addc_u32 s18, s1, s3
	s_mul_i32 s0, s8, s11
	s_mul_hi_u32 s1, s8, s10
	s_add_i32 s1, s1, s0
	s_mul_i32 s0, s8, s10
	s_lshl_b64 s[0:1], s[0:1], 2
	s_add_u32 s15, s6, s0
	s_addc_u32 s16, s7, s1
	s_and_saveexec_b64 s[0:1], vcc
	s_xor_b64 s[10:11], exec, s[0:1]
	s_cbranch_execz .LBB10_34
; %bb.2:
	s_load_dwordx4 s[0:3], s[4:5], 0x8
	s_mov_b32 s9, 0
	s_lshl_b64 s[8:9], s[8:9], 3
	s_load_dwordx4 s[4:7], s[4:5], 0x48
	v_mov_b32_e32 v3, 0
	s_waitcnt lgkmcnt(0)
	s_ashr_i32 s21, s2, 31
	s_add_u32 s0, s0, s8
	s_addc_u32 s1, s1, s9
	s_load_dwordx2 s[0:1], s[0:1], 0x0
	s_mov_b32 s20, s2
	s_lshl_b64 s[8:9], s[20:21], 2
	s_waitcnt lgkmcnt(0)
	s_add_u32 s2, s0, s8
	s_addc_u32 s19, s1, s9
	s_bitcmp1_b32 s6, 0
	s_cselect_b64 s[0:1], -1, 0
	s_xor_b64 s[0:1], s[0:1], -1
	s_mov_b64 s[6:7], -1
	s_cmpk_lg_i32 s4, 0xab
	s_cbranch_scc0 .LBB10_18
; %bb.3:
	v_cmp_le_u32_e32 vcc, v0, v2
	s_and_saveexec_b64 s[6:7], vcc
	s_xor_b64 s[6:7], exec, s[6:7]
	s_cbranch_execz .LBB10_5
; %bb.4:
	v_mad_u64_u32 v[4:5], s[8:9], v2, s14, 0
	s_ashr_i32 s4, s14, 31
	v_mov_b32_e32 v6, v5
	v_mad_u64_u32 v[6:7], s[8:9], v2, s4, v[6:7]
	v_mov_b32_e32 v5, v6
	v_lshlrev_b64 v[4:5], 2, v[4:5]
	v_mov_b32_e32 v1, 0
	v_mov_b32_e32 v6, s16
	v_add_co_u32_e32 v7, vcc, s15, v4
	v_addc_co_u32_e32 v6, vcc, v6, v5, vcc
	v_lshlrev_b64 v[4:5], 2, v[0:1]
	v_add_co_u32_e32 v4, vcc, v7, v4
	v_addc_co_u32_e32 v5, vcc, v6, v5, vcc
	global_store_dword v[4:5], v1, off
.LBB10_5:
	s_andn2_saveexec_b64 s[6:7], s[6:7]
	s_cbranch_execz .LBB10_17
; %bb.6:
	v_lshlrev_b64 v[4:5], 2, v[2:3]
	v_mov_b32_e32 v1, s18
	v_add_co_u32_e32 v4, vcc, s17, v4
	v_addc_co_u32_e32 v5, vcc, v1, v5, vcc
	global_load_dword v6, v[4:5], off
	s_cmpk_lg_i32 s5, 0xb5
	s_mov_b64 s[8:9], -1
	s_cbranch_scc0 .LBB10_12
; %bb.7:
	v_mov_b32_e32 v1, 0
	s_andn2_b64 vcc, exec, s[0:1]
	v_lshlrev_b64 v[4:5], 2, v[0:1]
	s_cbranch_vccnz .LBB10_9
; %bb.8:
	s_sub_i32 s4, s12, s13
	v_add_u32_e32 v1, s4, v2
	v_mad_u64_u32 v[8:9], s[8:9], v1, s3, 0
	s_ashr_i32 s4, s3, 31
	v_mov_b32_e32 v10, v9
	v_mad_u64_u32 v[10:11], s[8:9], v1, s4, v[10:11]
	v_mov_b32_e32 v9, v10
	v_lshlrev_b64 v[8:9], 2, v[8:9]
	v_mov_b32_e32 v1, s19
	v_add_co_u32_e32 v7, vcc, s2, v8
	v_addc_co_u32_e32 v1, vcc, v1, v9, vcc
	v_add_co_u32_e32 v8, vcc, v7, v4
	v_addc_co_u32_e32 v9, vcc, v1, v5, vcc
	global_load_dword v1, v[8:9], off
	v_mad_u64_u32 v[8:9], s[8:9], v2, s14, 0
	s_ashr_i32 s4, s14, 31
	v_mov_b32_e32 v10, v9
	v_mad_u64_u32 v[10:11], s[8:9], v2, s4, v[10:11]
	v_mov_b32_e32 v9, v10
	v_lshlrev_b64 v[8:9], 2, v[8:9]
	v_mov_b32_e32 v7, s16
	v_add_co_u32_e32 v8, vcc, s15, v8
	v_addc_co_u32_e32 v7, vcc, v7, v9, vcc
	v_add_co_u32_e32 v8, vcc, v8, v4
	v_addc_co_u32_e32 v9, vcc, v7, v5, vcc
	s_mov_b64 s[8:9], 0
	s_waitcnt vmcnt(0)
	v_mul_f32_e64 v1, v1, -v6
	global_store_dword v[8:9], v1, off
.LBB10_9:
	s_andn2_b64 vcc, exec, s[8:9]
	s_cbranch_vccnz .LBB10_11
; %bb.10:
	v_mad_u64_u32 v[8:9], s[8:9], v2, s14, 0
	s_ashr_i32 s4, s14, 31
	v_mov_b32_e32 v10, v9
	v_mad_u64_u32 v[10:11], s[8:9], v2, s4, v[10:11]
	v_mov_b32_e32 v9, v10
	v_lshlrev_b64 v[8:9], 2, v[8:9]
	v_mov_b32_e32 v1, s16
	v_add_co_u32_e32 v7, vcc, s15, v8
	v_addc_co_u32_e32 v1, vcc, v1, v9, vcc
	s_sub_i32 s4, s12, s13
	v_add_co_u32_e32 v8, vcc, v7, v4
	v_add_u32_e32 v7, s4, v2
	v_mad_u64_u32 v[10:11], s[8:9], v7, s3, 0
	s_ashr_i32 s4, s3, 31
	v_mov_b32_e32 v12, v11
	v_mad_u64_u32 v[12:13], s[8:9], v7, s4, v[12:13]
	v_mov_b32_e32 v11, v12
	v_addc_co_u32_e32 v9, vcc, v1, v5, vcc
	v_lshlrev_b64 v[10:11], 2, v[10:11]
	v_mov_b32_e32 v7, s19
	v_add_co_u32_e32 v10, vcc, s2, v10
	v_addc_co_u32_e32 v7, vcc, v7, v11, vcc
	v_add_co_u32_e32 v4, vcc, v10, v4
	v_addc_co_u32_e32 v5, vcc, v7, v5, vcc
	global_load_dword v1, v[8:9], off
	s_nop 0
	global_load_dword v4, v[4:5], off
	s_waitcnt vmcnt(0)
	v_add_f32_e32 v1, v1, v4
	v_mul_f32_e64 v1, v1, -v6
	global_store_dword v[8:9], v1, off
.LBB10_11:
	s_mov_b64 s[8:9], 0
.LBB10_12:
	s_andn2_b64 vcc, exec, s[8:9]
	s_cbranch_vccnz .LBB10_17
; %bb.13:
	s_andn2_b64 vcc, exec, s[0:1]
	s_mov_b64 s[8:9], -1
	s_cbranch_vccnz .LBB10_15
; %bb.14:
	s_sub_i32 s4, s12, s13
	v_mad_u64_u32 v[8:9], s[8:9], v0, s3, 0
	v_add_u32_e32 v4, s4, v2
	s_ashr_i32 s4, s3, 31
	v_mov_b32_e32 v10, v9
	v_mad_u64_u32 v[10:11], s[8:9], v0, s4, v[10:11]
	v_mov_b32_e32 v9, v10
	v_lshlrev_b64 v[8:9], 2, v[8:9]
	v_mov_b32_e32 v5, 0
	v_mov_b32_e32 v1, s19
	v_add_co_u32_e32 v7, vcc, s2, v8
	v_addc_co_u32_e32 v1, vcc, v1, v9, vcc
	v_lshlrev_b64 v[8:9], 2, v[4:5]
	v_add_co_u32_e32 v8, vcc, v7, v8
	v_addc_co_u32_e32 v9, vcc, v1, v9, vcc
	global_load_dword v7, v[8:9], off
	v_mad_u64_u32 v[8:9], s[8:9], v2, s14, 0
	s_ashr_i32 s4, s14, 31
	v_mov_b32_e32 v4, v9
	v_mov_b32_e32 v1, v5
	v_mad_u64_u32 v[4:5], s[8:9], v2, s4, v[4:5]
	v_mov_b32_e32 v9, v4
	v_lshlrev_b64 v[4:5], 2, v[8:9]
	v_mov_b32_e32 v12, s16
	v_lshlrev_b64 v[10:11], 2, v[0:1]
	v_add_co_u32_e32 v1, vcc, s15, v4
	v_addc_co_u32_e32 v5, vcc, v12, v5, vcc
	v_add_co_u32_e32 v4, vcc, v1, v10
	v_addc_co_u32_e32 v5, vcc, v5, v11, vcc
	s_mov_b64 s[8:9], 0
	s_waitcnt vmcnt(0)
	v_mul_f32_e64 v1, v7, -v6
	global_store_dword v[4:5], v1, off
.LBB10_15:
	s_andn2_b64 vcc, exec, s[8:9]
	s_cbranch_vccnz .LBB10_17
; %bb.16:
	v_mad_u64_u32 v[4:5], s[8:9], v2, s14, 0
	s_ashr_i32 s4, s14, 31
	v_mov_b32_e32 v8, v5
	v_mad_u64_u32 v[8:9], s[8:9], v2, s4, v[8:9]
	v_mov_b32_e32 v5, v8
	v_lshlrev_b64 v[4:5], 2, v[4:5]
	v_mov_b32_e32 v1, 0
	v_mov_b32_e32 v7, s16
	v_add_co_u32_e32 v8, vcc, s15, v4
	v_addc_co_u32_e32 v7, vcc, v7, v5, vcc
	v_lshlrev_b64 v[4:5], 2, v[0:1]
	s_sub_i32 s4, s12, s13
	v_mad_u64_u32 v[10:11], s[8:9], v0, s3, 0
	v_add_co_u32_e32 v4, vcc, v8, v4
	v_add_u32_e32 v8, s4, v2
	s_ashr_i32 s4, s3, 31
	v_mov_b32_e32 v12, v11
	v_mad_u64_u32 v[12:13], s[8:9], v0, s4, v[12:13]
	v_mov_b32_e32 v11, v12
	v_addc_co_u32_e32 v5, vcc, v7, v5, vcc
	v_lshlrev_b64 v[10:11], 2, v[10:11]
	v_mov_b32_e32 v9, v1
	v_mov_b32_e32 v1, s19
	v_add_co_u32_e32 v10, vcc, s2, v10
	v_addc_co_u32_e32 v1, vcc, v1, v11, vcc
	v_lshlrev_b64 v[8:9], 2, v[8:9]
	v_add_co_u32_e32 v8, vcc, v10, v8
	v_addc_co_u32_e32 v9, vcc, v1, v9, vcc
	global_load_dword v7, v[4:5], off
	global_load_dword v1, v[8:9], off
	s_waitcnt vmcnt(0)
	v_add_f32_e32 v1, v7, v1
	v_mul_f32_e64 v1, v1, -v6
	global_store_dword v[4:5], v1, off
.LBB10_17:
	s_or_b64 exec, exec, s[6:7]
	s_mov_b64 s[6:7], 0
.LBB10_18:
	s_andn2_b64 vcc, exec, s[6:7]
	s_cbranch_vccnz .LBB10_34
; %bb.19:
	v_cmp_ge_u32_e32 vcc, v0, v2
	s_and_saveexec_b64 s[6:7], vcc
	s_xor_b64 s[6:7], exec, s[6:7]
	s_cbranch_execz .LBB10_21
; %bb.20:
	v_mad_u64_u32 v[4:5], s[8:9], v2, s14, 0
	s_ashr_i32 s4, s14, 31
	s_waitcnt vmcnt(0)
	v_mov_b32_e32 v6, v5
	v_mad_u64_u32 v[2:3], s[8:9], v2, s4, v[6:7]
	v_mov_b32_e32 v5, v2
	v_lshlrev_b64 v[2:3], 2, v[4:5]
	v_mov_b32_e32 v1, 0
	v_mov_b32_e32 v4, s16
	v_add_co_u32_e32 v5, vcc, s15, v2
	v_addc_co_u32_e32 v4, vcc, v4, v3, vcc
	v_lshlrev_b64 v[2:3], 2, v[0:1]
	v_add_co_u32_e32 v2, vcc, v5, v2
	v_addc_co_u32_e32 v3, vcc, v4, v3, vcc
	global_store_dword v[2:3], v1, off
                                        ; implicit-def: $vgpr2_vgpr3
                                        ; implicit-def: $vgpr0
.LBB10_21:
	s_andn2_saveexec_b64 s[6:7], s[6:7]
	s_cbranch_execz .LBB10_33
; %bb.22:
	v_lshlrev_b64 v[4:5], 2, v[2:3]
	v_mov_b32_e32 v1, s18
	s_waitcnt vmcnt(0)
	v_add_co_u32_e32 v6, vcc, s17, v4
	v_addc_co_u32_e32 v7, vcc, v1, v5, vcc
	global_load_dword v3, v[6:7], off
	v_cndmask_b32_e64 v6, 0, 1, s[0:1]
	s_cmpk_lg_i32 s5, 0xb5
	v_mov_b32_e32 v1, 0
	s_mov_b64 s[4:5], -1
	v_cmp_ne_u32_e64 s[0:1], 1, v6
	s_cbranch_scc0 .LBB10_28
; %bb.23:
	s_and_b64 vcc, exec, s[0:1]
	s_cbranch_vccnz .LBB10_25
; %bb.24:
	v_mad_u64_u32 v[6:7], s[4:5], v2, s3, 0
	s_ashr_i32 s8, s3, 31
	v_mov_b32_e32 v8, v7
	v_mad_u64_u32 v[8:9], s[4:5], v2, s8, v[8:9]
	v_mov_b32_e32 v7, v8
	v_lshlrev_b64 v[6:7], 2, v[6:7]
	v_mov_b32_e32 v8, s19
	v_add_co_u32_e32 v9, vcc, s2, v6
	v_addc_co_u32_e32 v10, vcc, v8, v7, vcc
	v_lshlrev_b64 v[6:7], 2, v[0:1]
	v_add_co_u32_e32 v8, vcc, v9, v6
	v_addc_co_u32_e32 v9, vcc, v10, v7, vcc
	global_load_dword v12, v[8:9], off
	v_mad_u64_u32 v[8:9], s[4:5], v2, s14, 0
	s_ashr_i32 s8, s14, 31
	v_mov_b32_e32 v10, v9
	v_mad_u64_u32 v[10:11], s[4:5], v2, s8, v[10:11]
	v_mov_b32_e32 v9, v10
	v_lshlrev_b64 v[8:9], 2, v[8:9]
	v_mov_b32_e32 v13, s16
	v_add_co_u32_e32 v8, vcc, s15, v8
	v_addc_co_u32_e32 v9, vcc, v13, v9, vcc
	v_add_co_u32_e32 v6, vcc, v8, v6
	v_addc_co_u32_e32 v7, vcc, v9, v7, vcc
	s_mov_b64 s[4:5], 0
	s_waitcnt vmcnt(0)
	v_mul_f32_e64 v8, v12, -v3
	global_store_dword v[6:7], v8, off
.LBB10_25:
	s_andn2_b64 vcc, exec, s[4:5]
	s_cbranch_vccnz .LBB10_27
; %bb.26:
	v_mad_u64_u32 v[6:7], s[4:5], v2, s14, 0
	s_ashr_i32 s8, s14, 31
	v_mov_b32_e32 v8, v7
	v_mad_u64_u32 v[8:9], s[4:5], v2, s8, v[8:9]
	v_mov_b32_e32 v7, v8
	v_lshlrev_b64 v[6:7], 2, v[6:7]
	v_mov_b32_e32 v8, s16
	v_add_co_u32_e32 v9, vcc, s15, v6
	v_addc_co_u32_e32 v10, vcc, v8, v7, vcc
	v_lshlrev_b64 v[6:7], 2, v[0:1]
	v_add_co_u32_e32 v8, vcc, v9, v6
	v_addc_co_u32_e32 v9, vcc, v10, v7, vcc
	v_mad_u64_u32 v[10:11], s[4:5], v2, s3, 0
	s_ashr_i32 s8, s3, 31
	v_mov_b32_e32 v12, v11
	v_mad_u64_u32 v[12:13], s[4:5], v2, s8, v[12:13]
	v_mov_b32_e32 v11, v12
	v_lshlrev_b64 v[10:11], 2, v[10:11]
	v_mov_b32_e32 v12, s19
	v_add_co_u32_e32 v10, vcc, s2, v10
	v_addc_co_u32_e32 v11, vcc, v12, v11, vcc
	v_add_co_u32_e32 v6, vcc, v10, v6
	v_addc_co_u32_e32 v7, vcc, v11, v7, vcc
	global_load_dword v14, v[8:9], off
	s_nop 0
	global_load_dword v6, v[6:7], off
	s_waitcnt vmcnt(0)
	v_add_f32_e32 v6, v14, v6
	v_mul_f32_e64 v6, v6, -v3
	global_store_dword v[8:9], v6, off
.LBB10_27:
	s_mov_b64 s[4:5], 0
.LBB10_28:
	s_andn2_b64 vcc, exec, s[4:5]
	s_cbranch_vccnz .LBB10_33
; %bb.29:
	s_mov_b64 s[4:5], -1
	s_and_b64 vcc, exec, s[0:1]
	v_lshlrev_b64 v[6:7], 2, v[0:1]
	s_cbranch_vccnz .LBB10_31
; %bb.30:
	v_mad_u64_u32 v[8:9], s[0:1], v0, s3, 0
	s_ashr_i32 s4, s3, 31
	v_mov_b32_e32 v10, v9
	v_mad_u64_u32 v[10:11], s[0:1], v0, s4, v[10:11]
	v_mov_b32_e32 v9, v10
	v_lshlrev_b64 v[8:9], 2, v[8:9]
	v_mov_b32_e32 v1, s19
	v_add_co_u32_e32 v8, vcc, s2, v8
	v_addc_co_u32_e32 v1, vcc, v1, v9, vcc
	v_add_co_u32_e32 v8, vcc, v8, v4
	v_addc_co_u32_e32 v9, vcc, v1, v5, vcc
	global_load_dword v1, v[8:9], off
	v_mad_u64_u32 v[8:9], s[0:1], v2, s14, 0
	s_ashr_i32 s4, s14, 31
	v_mov_b32_e32 v10, v9
	v_mad_u64_u32 v[10:11], s[0:1], v2, s4, v[10:11]
	v_mov_b32_e32 v9, v10
	v_lshlrev_b64 v[8:9], 2, v[8:9]
	v_mov_b32_e32 v12, s16
	v_add_co_u32_e32 v8, vcc, s15, v8
	v_addc_co_u32_e32 v9, vcc, v12, v9, vcc
	v_add_co_u32_e32 v8, vcc, v8, v6
	v_addc_co_u32_e32 v9, vcc, v9, v7, vcc
	s_mov_b64 s[4:5], 0
	s_waitcnt vmcnt(0)
	v_mul_f32_e64 v1, v1, -v3
	global_store_dword v[8:9], v1, off
.LBB10_31:
	s_andn2_b64 vcc, exec, s[4:5]
	s_cbranch_vccnz .LBB10_33
; %bb.32:
	v_mad_u64_u32 v[8:9], s[0:1], v2, s14, 0
	s_ashr_i32 s4, s14, 31
	v_mov_b32_e32 v10, v9
	v_mad_u64_u32 v[10:11], s[0:1], v2, s4, v[10:11]
	v_mov_b32_e32 v9, v10
	v_lshlrev_b64 v[8:9], 2, v[8:9]
	v_mov_b32_e32 v1, s16
	v_add_co_u32_e32 v2, vcc, s15, v8
	v_addc_co_u32_e32 v1, vcc, v1, v9, vcc
	v_mad_u64_u32 v[8:9], s[0:1], v0, s3, 0
	v_add_co_u32_e32 v6, vcc, v2, v6
	s_ashr_i32 s4, s3, 31
	v_mov_b32_e32 v2, v9
	v_addc_co_u32_e32 v7, vcc, v1, v7, vcc
	s_waitcnt vmcnt(0)
	v_mad_u64_u32 v[0:1], s[0:1], v0, s4, v[2:3]
	v_mov_b32_e32 v9, v0
	v_lshlrev_b64 v[0:1], 2, v[8:9]
	v_mov_b32_e32 v2, s19
	v_add_co_u32_e32 v0, vcc, s2, v0
	v_addc_co_u32_e32 v1, vcc, v2, v1, vcc
	v_add_co_u32_e32 v0, vcc, v0, v4
	v_addc_co_u32_e32 v1, vcc, v1, v5, vcc
	global_load_dword v10, v[6:7], off
	s_nop 0
	global_load_dword v0, v[0:1], off
	s_waitcnt vmcnt(0)
	v_add_f32_e32 v0, v10, v0
	v_mul_f32_e64 v0, v0, -v3
	global_store_dword v[6:7], v0, off
.LBB10_33:
	s_or_b64 exec, exec, s[6:7]
                                        ; implicit-def: $vgpr2
.LBB10_34:
	s_andn2_saveexec_b64 s[0:1], s[10:11]
	s_cbranch_execz .LBB10_36
; %bb.35:
	s_waitcnt vmcnt(0)
	v_mov_b32_e32 v3, 0
	v_lshlrev_b64 v[0:1], 2, v[2:3]
	v_mov_b32_e32 v3, s18
	v_add_co_u32_e32 v4, vcc, s17, v0
	v_addc_co_u32_e32 v5, vcc, v3, v1, vcc
	global_load_dword v7, v[4:5], off
	v_mad_u64_u32 v[4:5], s[0:1], v2, s14, 0
	s_ashr_i32 s2, s14, 31
	v_mov_b32_e32 v6, v5
	s_waitcnt vmcnt(0)
	v_mad_u64_u32 v[2:3], s[0:1], v2, s2, v[6:7]
	v_mov_b32_e32 v5, v2
	v_lshlrev_b64 v[2:3], 2, v[4:5]
	v_mov_b32_e32 v4, s16
	v_add_co_u32_e32 v2, vcc, s15, v2
	v_addc_co_u32_e32 v3, vcc, v4, v3, vcc
	v_add_co_u32_e32 v0, vcc, v2, v0
	v_addc_co_u32_e32 v1, vcc, v3, v1, vcc
	global_store_dword v[0:1], v7, off
.LBB10_36:
	s_endpgm
	.section	.rodata,"a",@progbits
	.p2align	6, 0x0
	.amdhsa_kernel _ZN9rocsolver6v33100L14set_triangularIfPKPfTnNSt9enable_ifIXnt18rocblas_is_complexIT_EEiE4typeELi0EEEviiT0_iilPS6_lSA_il15rocblas_direct_15rocblas_storev_b
		.amdhsa_group_segment_fixed_size 0
		.amdhsa_private_segment_fixed_size 0
		.amdhsa_kernarg_size 344
		.amdhsa_user_sgpr_count 6
		.amdhsa_user_sgpr_private_segment_buffer 1
		.amdhsa_user_sgpr_dispatch_ptr 0
		.amdhsa_user_sgpr_queue_ptr 0
		.amdhsa_user_sgpr_kernarg_segment_ptr 1
		.amdhsa_user_sgpr_dispatch_id 0
		.amdhsa_user_sgpr_flat_scratch_init 0
		.amdhsa_user_sgpr_kernarg_preload_length 0
		.amdhsa_user_sgpr_kernarg_preload_offset 0
		.amdhsa_user_sgpr_private_segment_size 0
		.amdhsa_uses_dynamic_stack 0
		.amdhsa_system_sgpr_private_segment_wavefront_offset 0
		.amdhsa_system_sgpr_workgroup_id_x 1
		.amdhsa_system_sgpr_workgroup_id_y 1
		.amdhsa_system_sgpr_workgroup_id_z 1
		.amdhsa_system_sgpr_workgroup_info 0
		.amdhsa_system_vgpr_workitem_id 1
		.amdhsa_next_free_vgpr 15
		.amdhsa_next_free_sgpr 22
		.amdhsa_accum_offset 16
		.amdhsa_reserve_vcc 1
		.amdhsa_reserve_flat_scratch 0
		.amdhsa_float_round_mode_32 0
		.amdhsa_float_round_mode_16_64 0
		.amdhsa_float_denorm_mode_32 3
		.amdhsa_float_denorm_mode_16_64 3
		.amdhsa_dx10_clamp 1
		.amdhsa_ieee_mode 1
		.amdhsa_fp16_overflow 0
		.amdhsa_tg_split 0
		.amdhsa_exception_fp_ieee_invalid_op 0
		.amdhsa_exception_fp_denorm_src 0
		.amdhsa_exception_fp_ieee_div_zero 0
		.amdhsa_exception_fp_ieee_overflow 0
		.amdhsa_exception_fp_ieee_underflow 0
		.amdhsa_exception_fp_ieee_inexact 0
		.amdhsa_exception_int_div_zero 0
	.end_amdhsa_kernel
	.section	.text._ZN9rocsolver6v33100L14set_triangularIfPKPfTnNSt9enable_ifIXnt18rocblas_is_complexIT_EEiE4typeELi0EEEviiT0_iilPS6_lSA_il15rocblas_direct_15rocblas_storev_b,"axG",@progbits,_ZN9rocsolver6v33100L14set_triangularIfPKPfTnNSt9enable_ifIXnt18rocblas_is_complexIT_EEiE4typeELi0EEEviiT0_iilPS6_lSA_il15rocblas_direct_15rocblas_storev_b,comdat
.Lfunc_end10:
	.size	_ZN9rocsolver6v33100L14set_triangularIfPKPfTnNSt9enable_ifIXnt18rocblas_is_complexIT_EEiE4typeELi0EEEviiT0_iilPS6_lSA_il15rocblas_direct_15rocblas_storev_b, .Lfunc_end10-_ZN9rocsolver6v33100L14set_triangularIfPKPfTnNSt9enable_ifIXnt18rocblas_is_complexIT_EEiE4typeELi0EEEviiT0_iilPS6_lSA_il15rocblas_direct_15rocblas_storev_b
                                        ; -- End function
	.section	.AMDGPU.csdata,"",@progbits
; Kernel info:
; codeLenInByte = 2140
; NumSgprs: 26
; NumVgprs: 15
; NumAgprs: 0
; TotalNumVgprs: 15
; ScratchSize: 0
; MemoryBound: 0
; FloatMode: 240
; IeeeMode: 1
; LDSByteSize: 0 bytes/workgroup (compile time only)
; SGPRBlocks: 3
; VGPRBlocks: 1
; NumSGPRsForWavesPerEU: 26
; NumVGPRsForWavesPerEU: 15
; AccumOffset: 16
; Occupancy: 8
; WaveLimiterHint : 1
; COMPUTE_PGM_RSRC2:SCRATCH_EN: 0
; COMPUTE_PGM_RSRC2:USER_SGPR: 6
; COMPUTE_PGM_RSRC2:TRAP_HANDLER: 0
; COMPUTE_PGM_RSRC2:TGID_X_EN: 1
; COMPUTE_PGM_RSRC2:TGID_Y_EN: 1
; COMPUTE_PGM_RSRC2:TGID_Z_EN: 1
; COMPUTE_PGM_RSRC2:TIDIG_COMP_CNT: 1
; COMPUTE_PGM_RSRC3_GFX90A:ACCUM_OFFSET: 3
; COMPUTE_PGM_RSRC3_GFX90A:TG_SPLIT: 0
	.section	.text._ZN9rocsolver6v33100L7set_tauIfEEviPT_l,"axG",@progbits,_ZN9rocsolver6v33100L7set_tauIfEEviPT_l,comdat
	.globl	_ZN9rocsolver6v33100L7set_tauIfEEviPT_l ; -- Begin function _ZN9rocsolver6v33100L7set_tauIfEEviPT_l
	.p2align	8
	.type	_ZN9rocsolver6v33100L7set_tauIfEEviPT_l,@function
_ZN9rocsolver6v33100L7set_tauIfEEviPT_l: ; @_ZN9rocsolver6v33100L7set_tauIfEEviPT_l
; %bb.0:
	s_load_dword s0, s[4:5], 0x24
	s_load_dword s1, s[4:5], 0x0
	s_waitcnt lgkmcnt(0)
	s_and_b32 s0, s0, 0xffff
	s_mul_i32 s6, s6, s0
	v_add_u32_e32 v0, s6, v0
	v_cmp_gt_u32_e32 vcc, s1, v0
	s_and_saveexec_b64 s[0:1], vcc
	s_cbranch_execz .LBB11_2
; %bb.1:
	s_load_dwordx4 s[0:3], s[4:5], 0x8
	v_mov_b32_e32 v1, 0
	v_lshlrev_b64 v[0:1], 2, v[0:1]
	s_waitcnt lgkmcnt(0)
	s_mul_i32 s3, s7, s3
	s_mul_hi_u32 s4, s7, s2
	s_mul_i32 s2, s7, s2
	s_add_i32 s3, s4, s3
	s_lshl_b64 s[2:3], s[2:3], 2
	s_add_u32 s0, s0, s2
	s_addc_u32 s1, s1, s3
	v_mov_b32_e32 v2, s1
	v_add_co_u32_e32 v0, vcc, s0, v0
	v_addc_co_u32_e32 v1, vcc, v2, v1, vcc
	global_load_dword v2, v[0:1], off
	s_waitcnt vmcnt(0)
	v_xor_b32_e32 v2, 0x80000000, v2
	global_store_dword v[0:1], v2, off
.LBB11_2:
	s_endpgm
	.section	.rodata,"a",@progbits
	.p2align	6, 0x0
	.amdhsa_kernel _ZN9rocsolver6v33100L7set_tauIfEEviPT_l
		.amdhsa_group_segment_fixed_size 0
		.amdhsa_private_segment_fixed_size 0
		.amdhsa_kernarg_size 280
		.amdhsa_user_sgpr_count 6
		.amdhsa_user_sgpr_private_segment_buffer 1
		.amdhsa_user_sgpr_dispatch_ptr 0
		.amdhsa_user_sgpr_queue_ptr 0
		.amdhsa_user_sgpr_kernarg_segment_ptr 1
		.amdhsa_user_sgpr_dispatch_id 0
		.amdhsa_user_sgpr_flat_scratch_init 0
		.amdhsa_user_sgpr_kernarg_preload_length 0
		.amdhsa_user_sgpr_kernarg_preload_offset 0
		.amdhsa_user_sgpr_private_segment_size 0
		.amdhsa_uses_dynamic_stack 0
		.amdhsa_system_sgpr_private_segment_wavefront_offset 0
		.amdhsa_system_sgpr_workgroup_id_x 1
		.amdhsa_system_sgpr_workgroup_id_y 1
		.amdhsa_system_sgpr_workgroup_id_z 0
		.amdhsa_system_sgpr_workgroup_info 0
		.amdhsa_system_vgpr_workitem_id 0
		.amdhsa_next_free_vgpr 3
		.amdhsa_next_free_sgpr 8
		.amdhsa_accum_offset 4
		.amdhsa_reserve_vcc 1
		.amdhsa_reserve_flat_scratch 0
		.amdhsa_float_round_mode_32 0
		.amdhsa_float_round_mode_16_64 0
		.amdhsa_float_denorm_mode_32 3
		.amdhsa_float_denorm_mode_16_64 3
		.amdhsa_dx10_clamp 1
		.amdhsa_ieee_mode 1
		.amdhsa_fp16_overflow 0
		.amdhsa_tg_split 0
		.amdhsa_exception_fp_ieee_invalid_op 0
		.amdhsa_exception_fp_denorm_src 0
		.amdhsa_exception_fp_ieee_div_zero 0
		.amdhsa_exception_fp_ieee_overflow 0
		.amdhsa_exception_fp_ieee_underflow 0
		.amdhsa_exception_fp_ieee_inexact 0
		.amdhsa_exception_int_div_zero 0
	.end_amdhsa_kernel
	.section	.text._ZN9rocsolver6v33100L7set_tauIfEEviPT_l,"axG",@progbits,_ZN9rocsolver6v33100L7set_tauIfEEviPT_l,comdat
.Lfunc_end11:
	.size	_ZN9rocsolver6v33100L7set_tauIfEEviPT_l, .Lfunc_end11-_ZN9rocsolver6v33100L7set_tauIfEEviPT_l
                                        ; -- End function
	.section	.AMDGPU.csdata,"",@progbits
; Kernel info:
; codeLenInByte = 144
; NumSgprs: 12
; NumVgprs: 3
; NumAgprs: 0
; TotalNumVgprs: 3
; ScratchSize: 0
; MemoryBound: 0
; FloatMode: 240
; IeeeMode: 1
; LDSByteSize: 0 bytes/workgroup (compile time only)
; SGPRBlocks: 1
; VGPRBlocks: 0
; NumSGPRsForWavesPerEU: 12
; NumVGPRsForWavesPerEU: 3
; AccumOffset: 4
; Occupancy: 8
; WaveLimiterHint : 0
; COMPUTE_PGM_RSRC2:SCRATCH_EN: 0
; COMPUTE_PGM_RSRC2:USER_SGPR: 6
; COMPUTE_PGM_RSRC2:TRAP_HANDLER: 0
; COMPUTE_PGM_RSRC2:TGID_X_EN: 1
; COMPUTE_PGM_RSRC2:TGID_Y_EN: 1
; COMPUTE_PGM_RSRC2:TGID_Z_EN: 0
; COMPUTE_PGM_RSRC2:TIDIG_COMP_CNT: 0
; COMPUTE_PGM_RSRC3_GFX90A:ACCUM_OFFSET: 0
; COMPUTE_PGM_RSRC3_GFX90A:TG_SPLIT: 0
	.section	.text._ZN9rocsolver6v33100L20larft_kernel_forwardIfPKPfEEv15rocblas_storev_iiT0_iilPT_lS8_il,"axG",@progbits,_ZN9rocsolver6v33100L20larft_kernel_forwardIfPKPfEEv15rocblas_storev_iiT0_iilPT_lS8_il,comdat
	.globl	_ZN9rocsolver6v33100L20larft_kernel_forwardIfPKPfEEv15rocblas_storev_iiT0_iilPT_lS8_il ; -- Begin function _ZN9rocsolver6v33100L20larft_kernel_forwardIfPKPfEEv15rocblas_storev_iiT0_iilPT_lS8_il
	.p2align	8
	.type	_ZN9rocsolver6v33100L20larft_kernel_forwardIfPKPfEEv15rocblas_storev_iiT0_iilPT_lS8_il,@function
_ZN9rocsolver6v33100L20larft_kernel_forwardIfPKPfEEv15rocblas_storev_iiT0_iilPT_lS8_il: ; @_ZN9rocsolver6v33100L20larft_kernel_forwardIfPKPfEEv15rocblas_storev_iiT0_iilPT_lS8_il
; %bb.0:
	s_load_dword s30, s[4:5], 0x40
	s_load_dwordx2 s[0:1], s[4:5], 0x48
	s_load_dword s6, s[4:5], 0x5c
	s_load_dwordx4 s[8:11], s[4:5], 0x0
	s_load_dwordx2 s[2:3], s[4:5], 0x10
	s_load_dwordx4 s[12:15], s[4:5], 0x28
	s_load_dwordx2 s[18:19], s[4:5], 0x38
	s_mov_b32 s16, s7
	s_ashr_i32 s17, s7, 31
	s_waitcnt lgkmcnt(0)
	s_and_b32 s11, s6, 0xffff
	s_lshl_b64 s[6:7], s[16:17], 3
	s_add_u32 s2, s2, s6
	s_addc_u32 s3, s3, s7
	s_load_dwordx2 s[6:7], s[2:3], 0x0
	s_mul_i32 s1, s16, s1
	s_mul_hi_u32 s2, s16, s0
	s_add_i32 s1, s2, s1
	s_mul_i32 s2, s17, s0
	s_add_i32 s1, s1, s2
	s_mul_i32 s0, s16, s0
	s_lshl_b64 s[0:1], s[0:1], 2
	s_add_u32 s31, s18, s0
	s_addc_u32 s33, s19, s1
	s_lshl_b32 s34, s10, 2
	s_mov_b32 s36, 0
	s_add_i32 s35, s34, 0
	v_cmp_gt_i32_e64 s[0:1], s10, v0
	v_xad_u32 v1, v0, -1, s10
	v_lshlrev_b32_e32 v10, 1, v0
	v_sub_u32_e32 v11, s10, v0
	s_and_saveexec_b64 s[18:19], s[0:1]
	s_cbranch_execz .LBB12_12
; %bb.1:
	s_lshl_b32 s37, s11, 1
	s_cmp_lg_u32 s30, 1
	v_lshlrev_b32_e32 v3, 1, v0
	s_cselect_b64 s[2:3], -1, 0
	s_mov_b32 s38, s10
	v_sub_u32_e32 v12, s10, v0
	v_lshl_add_u32 v2, v0, 2, s35
	s_lshl_b32 s39, s11, 2
	s_mov_b64 s[20:21], 0
	s_xor_b64 s[22:23], s[2:3], -1
	v_mov_b32_e32 v13, v3
	v_mov_b32_e32 v4, v0
	s_branch .LBB12_3
.LBB12_2:                               ;   in Loop: Header=BB12_3 Depth=1
	s_or_b64 exec, exec, s[2:3]
	v_add_u32_e32 v4, s11, v4
	s_add_i32 s36, s36, 1
	v_cmp_le_i32_e32 vcc, s10, v4
	v_add_u32_e32 v13, s37, v13
	v_subrev_u32_e32 v12, s11, v12
	s_or_b64 s[20:21], vcc, s[20:21]
	v_add_u32_e32 v2, s39, v2
	s_andn2_b64 exec, exec, s[20:21]
	s_cbranch_execz .LBB12_12
.LBB12_3:                               ; =>This Loop Header: Depth=1
                                        ;     Child Loop BB12_6 Depth 2
                                        ;     Child Loop BB12_11 Depth 2
	s_mul_i32 s26, s36, s11
	v_add_u32_e32 v5, s26, v0
	v_sub_u32_e32 v14, s10, v5
	v_cmp_gt_u32_e32 vcc, 4, v14
	v_cmp_lt_u32_e64 s[2:3], 3, v14
	v_mov_b32_e32 v5, v4
	s_and_saveexec_b64 s[24:25], s[2:3]
	s_cbranch_execz .LBB12_9
; %bb.4:                                ;   in Loop: Header=BB12_3 Depth=1
	s_mul_i32 s2, s37, s36
	v_add_u32_e32 v5, s2, v3
	v_subrev_u32_e32 v6, s26, v1
	v_add_u32_e32 v6, v5, v6
	v_cmp_ge_i32_e64 s[2:3], v6, v5
	s_mov_b64 s[28:29], -1
	s_and_b64 s[2:3], s[22:23], s[2:3]
	v_mov_b32_e32 v5, v4
	s_and_saveexec_b64 s[26:27], s[2:3]
	s_cbranch_execz .LBB12_8
; %bb.5:                                ;   in Loop: Header=BB12_3 Depth=1
	v_add_u32_e32 v5, 1, v4
	v_and_b32_e32 v15, -2, v12
	v_lshl_add_u32 v16, v4, 2, s35
	s_mov_b64 s[28:29], 0
	v_mov_b32_e32 v6, v13
	v_pk_mov_b32 v[8:9], v[4:5], v[4:5] op_sel:[0,1]
.LBB12_6:                               ;   Parent Loop BB12_3 Depth=1
                                        ; =>  This Inner Loop Header: Depth=2
	v_ashrrev_i32_e32 v7, 31, v6
	v_lshlrev_b64 v[18:19], 2, v[6:7]
	v_mov_b32_e32 v5, s33
	v_add_co_u32_e64 v18, s[2:3], s31, v18
	v_addc_co_u32_e64 v19, s[2:3], v5, v19, s[2:3]
	global_load_dwordx2 v[18:19], v[18:19], off
	v_add_u32_e32 v15, -2, v15
	v_mul_lo_u32 v7, v8, s10
	v_cmp_eq_u32_e64 s[2:3], 0, v15
	v_mul_lo_u32 v5, v9, s38
	v_add_u32_e32 v9, 2, v9
	v_add_u32_e32 v8, 2, v8
	v_lshl_add_u32 v7, v7, 2, v16
	v_add_u32_e32 v6, 2, v6
	s_or_b64 s[28:29], s[2:3], s[28:29]
	v_lshl_add_u32 v5, v5, 2, v16
	s_waitcnt vmcnt(0)
	ds_write_b32 v7, v18
	ds_write_b32 v5, v19
	s_andn2_b64 exec, exec, s[28:29]
	s_cbranch_execnz .LBB12_6
; %bb.7:                                ;   in Loop: Header=BB12_3 Depth=1
	s_or_b64 exec, exec, s[28:29]
	v_and_b32_e32 v6, -2, v14
	v_cmp_ne_u32_e64 s[2:3], v14, v6
	v_add_u32_e32 v5, v4, v6
	s_orn2_b64 s[28:29], s[2:3], exec
.LBB12_8:                               ;   in Loop: Header=BB12_3 Depth=1
	s_or_b64 exec, exec, s[26:27]
	s_andn2_b64 s[2:3], vcc, exec
	s_and_b64 s[26:27], s[28:29], exec
	s_or_b64 vcc, s[2:3], s[26:27]
.LBB12_9:                               ;   in Loop: Header=BB12_3 Depth=1
	s_or_b64 exec, exec, s[24:25]
	s_and_saveexec_b64 s[2:3], vcc
	s_cbranch_execz .LBB12_2
; %bb.10:                               ;   in Loop: Header=BB12_3 Depth=1
	v_mad_u64_u32 v[6:7], s[24:25], s34, v5, v[2:3]
	v_mad_u64_u32 v[8:9], s[24:25], s30, v5, v[4:5]
	s_mov_b64 s[24:25], 0
.LBB12_11:                              ;   Parent Loop BB12_3 Depth=1
                                        ; =>  This Inner Loop Header: Depth=2
	v_ashrrev_i32_e32 v9, 31, v8
	v_lshlrev_b64 v[14:15], 2, v[8:9]
	v_mov_b32_e32 v7, s33
	v_add_co_u32_e32 v14, vcc, s31, v14
	v_addc_co_u32_e32 v15, vcc, v7, v15, vcc
	global_load_dword v7, v[14:15], off
	v_add_u32_e32 v5, 1, v5
	v_cmp_le_i32_e32 vcc, s10, v5
	v_add_u32_e32 v8, s30, v8
	s_or_b64 s[24:25], vcc, s[24:25]
	s_waitcnt vmcnt(0)
	ds_write_b32 v6, v7
	v_add_u32_e32 v6, s34, v6
	s_andn2_b64 exec, exec, s[24:25]
	s_cbranch_execnz .LBB12_11
	s_branch .LBB12_2
.LBB12_12:
	s_or_b64 exec, exec, s[18:19]
	s_cmp_lt_i32 s10, 2
	s_waitcnt lgkmcnt(0)
	s_barrier
	s_cbranch_scc1 .LBB12_38
; %bb.13:
	s_load_dwordx2 s[4:5], s[4:5], 0x18
	s_mul_i32 s2, s16, s15
	s_mul_hi_u32 s3, s16, s14
	s_add_i32 s15, s3, s2
	v_lshlrev_b32_e32 v4, 2, v0
	s_waitcnt lgkmcnt(0)
	s_ashr_i32 s3, s4, 31
	s_mov_b32 s2, s4
	s_mul_i32 s4, s17, s14
	s_add_i32 s15, s15, s4
	s_mul_i32 s14, s16, s14
	s_lshl_b64 s[14:15], s[14:15], 2
	s_add_u32 s4, s12, s14
	s_addc_u32 s36, s13, s15
	s_cmpk_lg_i32 s8, 0xb5
	s_cselect_b64 s[12:13], -1, 0
	s_lshl_b64 s[2:3], s[2:3], 2
	s_add_u32 s8, s2, 4
	s_addc_u32 s37, s3, 0
	s_ashr_i32 s19, s5, 31
	s_mov_b32 s18, s5
	s_lshl_b32 s16, s5, 1
	s_lshl_b64 s[18:19], s[18:19], 2
	s_lshl_b32 s38, s11, 2
	v_add_co_u32_e32 v2, vcc, s2, v4
	s_add_u32 s2, s2, s6
	v_mov_b32_e32 v3, s3
	s_addc_u32 s3, s3, s7
	s_add_u32 s40, s2, 8
	v_add_u32_e32 v5, 4, v4
	s_mov_b32 s15, 0
	s_addc_u32 s41, s3, 0
	v_mul_lo_u32 v5, s10, v5
	s_add_i32 s43, s34, 4
	s_mov_b32 s14, 1
	v_addc_co_u32_e32 v3, vcc, 0, v3, vcc
	s_mov_b32 s39, s15
	v_mul_lo_u32 v8, v0, s5
	s_mul_i32 s42, s5, s11
	v_add3_u32 v9, v5, v4, 0
	s_mul_i32 s43, s43, s11
	v_add_u32_e32 v12, 0, v4
	s_mov_b32 s20, s5
	s_branch .LBB12_15
.LBB12_14:                              ;   in Loop: Header=BB12_15 Depth=1
	s_or_b64 exec, exec, s[2:3]
	s_add_i32 s14, s14, 1
	s_add_u32 s8, s8, 4
	s_addc_u32 s37, s37, 0
	s_add_i32 s16, s16, s5
	s_add_u32 s40, s40, 4
	s_addc_u32 s41, s41, 0
	s_add_i32 s20, s20, s5
	s_cmp_eq_u32 s14, s10
	s_waitcnt lgkmcnt(0)
	s_barrier
	s_cbranch_scc1 .LBB12_38
.LBB12_15:                              ; =>This Loop Header: Depth=1
                                        ;     Child Loop BB12_20 Depth 2
                                        ;       Child Loop BB12_22 Depth 3
                                        ;     Child Loop BB12_29 Depth 2
                                        ;       Child Loop BB12_31 Depth 3
	;; [unrolled: 2-line block ×3, first 2 shown]
	s_mul_i32 s2, s14, s10
	s_not_b32 s45, s14
	s_lshl_b32 s2, s2, 2
	s_add_i32 s45, s45, s9
	s_add_i32 s44, s35, s2
	s_mov_b64 s[22:23], -1
	s_and_b64 vcc, exec, s[12:13]
	v_cmp_gt_u32_e64 s[2:3], s14, v0
	s_cbranch_vccz .LBB12_24
; %bb.16:                               ;   in Loop: Header=BB12_15 Depth=1
	s_and_saveexec_b64 s[22:23], s[2:3]
	s_cbranch_execz .LBB12_23
; %bb.17:                               ;   in Loop: Header=BB12_15 Depth=1
	s_ashr_i32 s17, s16, 31
	s_lshl_b64 s[2:3], s[16:17], 2
	s_add_u32 s24, s6, s2
	s_addc_u32 s25, s7, s3
	s_cmp_gt_i32 s45, 0
	s_cselect_b64 s[2:3], -1, 0
	s_lshl_b64 s[26:27], s[14:15], 2
	s_add_u32 s26, s4, s26
	s_addc_u32 s27, s36, s27
	s_load_dword s17, s[26:27], 0x0
	v_cndmask_b32_e64 v4, 0, 1, s[2:3]
	s_mov_b64 s[26:27], 0
	v_cmp_ne_u32_e64 s[2:3], 1, v4
	v_pk_mov_b32 v[4:5], v[2:3], v[2:3] op_sel:[0,1]
	v_mov_b32_e32 v6, v0
	s_branch .LBB12_20
.LBB12_18:                              ;   in Loop: Header=BB12_20 Depth=2
	v_mov_b32_e32 v7, 0
.LBB12_19:                              ;   in Loop: Header=BB12_20 Depth=2
	v_lshlrev_b32_e32 v13, 2, v6
	v_add_u32_e32 v14, s44, v13
	ds_read_b32 v14, v14
	v_add_u32_e32 v6, s11, v6
	v_cmp_le_u32_e32 vcc, s14, v6
	v_mov_b32_e32 v15, s39
	s_or_b64 s[26:27], vcc, s[26:27]
	v_add_co_u32_e32 v4, vcc, s38, v4
	v_add_u32_e32 v13, 0, v13
	s_waitcnt lgkmcnt(0)
	v_fmac_f32_e32 v14, s17, v7
	v_addc_co_u32_e32 v5, vcc, v5, v15, vcc
	ds_write_b32 v13, v14
	s_andn2_b64 exec, exec, s[26:27]
	s_cbranch_execz .LBB12_23
.LBB12_20:                              ;   Parent Loop BB12_15 Depth=1
                                        ; =>  This Loop Header: Depth=2
                                        ;       Child Loop BB12_22 Depth 3
	s_and_b64 vcc, exec, s[2:3]
	s_cbranch_vccnz .LBB12_18
; %bb.21:                               ;   in Loop: Header=BB12_20 Depth=2
	s_mov_b32 s21, 0
	v_mov_b32_e32 v7, 0
	s_mov_b64 s[28:29], s[24:25]
.LBB12_22:                              ;   Parent Loop BB12_15 Depth=1
                                        ;     Parent Loop BB12_20 Depth=2
                                        ; =>    This Inner Loop Header: Depth=3
	v_mov_b32_e32 v13, s29
	v_add_co_u32_e32 v14, vcc, s28, v4
	v_addc_co_u32_e32 v15, vcc, v13, v5, vcc
	global_load_dword v13, v[14:15], off
	s_add_u32 s46, s28, s8
	s_addc_u32 s47, s29, s37
	s_load_dword s46, s[46:47], 0x0
	s_add_i32 s21, s21, 1
	s_add_u32 s28, s28, s18
	s_addc_u32 s29, s29, s19
	s_cmp_ge_i32 s21, s45
	s_waitcnt vmcnt(0) lgkmcnt(0)
	v_fmac_f32_e32 v7, s46, v13
	s_cbranch_scc0 .LBB12_22
	s_branch .LBB12_19
.LBB12_23:                              ;   in Loop: Header=BB12_15 Depth=1
	s_or_b64 exec, exec, s[22:23]
	s_mov_b64 s[22:23], 0
.LBB12_24:                              ;   in Loop: Header=BB12_15 Depth=1
	s_andn2_b64 vcc, exec, s[22:23]
	s_cbranch_vccnz .LBB12_33
; %bb.25:                               ;   in Loop: Header=BB12_15 Depth=1
	v_cmp_gt_u32_e32 vcc, s14, v0
	s_and_saveexec_b64 s[2:3], vcc
	s_cbranch_execz .LBB12_32
; %bb.26:                               ;   in Loop: Header=BB12_15 Depth=1
	s_ashr_i32 s21, s20, 31
	s_lshl_b64 s[22:23], s[20:21], 2
	s_add_u32 s22, s40, s22
	s_addc_u32 s23, s41, s23
	s_cmp_gt_i32 s45, 0
	s_cselect_b64 s[24:25], -1, 0
	s_lshl_b64 s[26:27], s[14:15], 2
	s_add_u32 s26, s4, s26
	s_addc_u32 s27, s36, s27
	s_load_dword s17, s[26:27], 0x0
	s_mov_b64 s[26:27], 0
	v_mov_b32_e32 v4, v8
	v_mov_b32_e32 v13, v0
	s_branch .LBB12_29
.LBB12_27:                              ;   in Loop: Header=BB12_29 Depth=2
	v_mov_b32_e32 v5, 0
.LBB12_28:                              ;   in Loop: Header=BB12_29 Depth=2
	v_lshlrev_b32_e32 v6, 2, v13
	v_add_u32_e32 v7, s44, v6
	ds_read_b32 v7, v7
	v_add_u32_e32 v13, s11, v13
	v_cmp_le_u32_e32 vcc, s14, v13
	v_add_u32_e32 v6, 0, v6
	s_or_b64 s[26:27], vcc, s[26:27]
	s_waitcnt lgkmcnt(0)
	v_fmac_f32_e32 v7, s17, v5
	v_add_u32_e32 v4, s42, v4
	ds_write_b32 v6, v7
	s_andn2_b64 exec, exec, s[26:27]
	s_cbranch_execz .LBB12_32
.LBB12_29:                              ;   Parent Loop BB12_15 Depth=1
                                        ; =>  This Loop Header: Depth=2
                                        ;       Child Loop BB12_31 Depth 3
	s_andn2_b64 vcc, exec, s[24:25]
	s_cbranch_vccnz .LBB12_27
; %bb.30:                               ;   in Loop: Header=BB12_29 Depth=2
	v_ashrrev_i32_e32 v5, 31, v4
	v_lshlrev_b64 v[6:7], 2, v[4:5]
	v_mov_b32_e32 v5, s41
	v_add_co_u32_e32 v6, vcc, s40, v6
	v_addc_co_u32_e32 v7, vcc, v5, v7, vcc
	s_mov_b32 s21, 0
	v_mov_b32_e32 v5, 0
	s_mov_b64 s[28:29], s[22:23]
.LBB12_31:                              ;   Parent Loop BB12_15 Depth=1
                                        ;     Parent Loop BB12_29 Depth=2
                                        ; =>    This Inner Loop Header: Depth=3
	global_load_dword v14, v[6:7], off
	s_load_dword s46, s[28:29], 0x0
	s_add_i32 s21, s21, 1
	s_add_u32 s28, s28, 4
	v_add_co_u32_e32 v6, vcc, 4, v6
	s_addc_u32 s29, s29, 0
	v_addc_co_u32_e32 v7, vcc, 0, v7, vcc
	s_cmp_ge_i32 s21, s45
	s_waitcnt vmcnt(0) lgkmcnt(0)
	v_fmac_f32_e32 v5, s46, v14
	s_cbranch_scc0 .LBB12_31
	s_branch .LBB12_28
.LBB12_32:                              ;   in Loop: Header=BB12_15 Depth=1
	s_or_b64 exec, exec, s[2:3]
.LBB12_33:                              ;   in Loop: Header=BB12_15 Depth=1
	v_cmp_gt_u32_e32 vcc, s14, v0
	s_waitcnt lgkmcnt(0)
	s_barrier
	s_and_saveexec_b64 s[2:3], vcc
	s_cbranch_execz .LBB12_14
; %bb.34:                               ;   in Loop: Header=BB12_15 Depth=1
	s_mov_b64 s[22:23], 0
	v_mov_b32_e32 v4, v12
	v_mov_b32_e32 v5, v9
	;; [unrolled: 1-line block ×3, first 2 shown]
.LBB12_35:                              ;   Parent Loop BB12_15 Depth=1
                                        ; =>  This Loop Header: Depth=2
                                        ;       Child Loop BB12_36 Depth 3
	v_mov_b32_e32 v7, 0
	s_mov_b64 s[24:25], 0
	v_mov_b32_e32 v13, v4
	v_mov_b32_e32 v14, v5
	;; [unrolled: 1-line block ×3, first 2 shown]
.LBB12_36:                              ;   Parent Loop BB12_15 Depth=1
                                        ;     Parent Loop BB12_35 Depth=2
                                        ; =>    This Inner Loop Header: Depth=3
	ds_read_b32 v16, v14
	ds_read_b32 v17, v13
	v_add_u32_e32 v15, 1, v15
	v_cmp_le_u32_e32 vcc, s14, v15
	v_add_u32_e32 v14, s34, v14
	v_add_u32_e32 v13, 4, v13
	s_or_b64 s[24:25], vcc, s[24:25]
	s_waitcnt lgkmcnt(0)
	v_fmac_f32_e32 v7, v16, v17
	s_andn2_b64 exec, exec, s[24:25]
	s_cbranch_execnz .LBB12_36
; %bb.37:                               ;   in Loop: Header=BB12_35 Depth=2
	s_or_b64 exec, exec, s[24:25]
	v_lshl_add_u32 v13, v6, 2, s44
	v_add_u32_e32 v6, s11, v6
	v_cmp_le_u32_e32 vcc, s14, v6
	v_add_u32_e32 v5, s43, v5
	s_or_b64 s[22:23], vcc, s[22:23]
	v_add_u32_e32 v4, s38, v4
	ds_write_b32 v13, v7
	s_andn2_b64 exec, exec, s[22:23]
	s_cbranch_execnz .LBB12_35
	s_branch .LBB12_14
.LBB12_38:
	s_and_saveexec_b64 s[2:3], s[0:1]
	s_cbranch_execz .LBB12_50
; %bb.39:
	s_lshl_b32 s16, s11, 1
	s_cmp_lg_u32 s30, 1
	s_cselect_b64 s[0:1], -1, 0
	s_mov_b32 s17, s10
	s_mov_b32 s18, 0
	v_lshl_add_u32 v2, v0, 2, s35
	s_lshl_b32 s19, s11, 2
	s_mov_b64 s[4:5], 0
	s_xor_b64 s[6:7], s[0:1], -1
	v_mov_b32_e32 v3, v10
	v_mov_b32_e32 v4, v0
	s_branch .LBB12_41
.LBB12_40:                              ;   in Loop: Header=BB12_41 Depth=1
	s_or_b64 exec, exec, s[2:3]
	v_add_u32_e32 v4, s11, v4
	s_add_i32 s18, s18, 1
	v_cmp_le_i32_e32 vcc, s10, v4
	v_add_u32_e32 v3, s16, v3
	v_subrev_u32_e32 v11, s11, v11
	s_or_b64 s[4:5], vcc, s[4:5]
	v_add_u32_e32 v2, s19, v2
	s_andn2_b64 exec, exec, s[4:5]
	s_cbranch_execz .LBB12_50
.LBB12_41:                              ; =>This Loop Header: Depth=1
                                        ;     Child Loop BB12_44 Depth 2
                                        ;     Child Loop BB12_49 Depth 2
	s_mul_i32 s2, s18, s11
	v_add_u32_e32 v5, s2, v0
	v_sub_u32_e32 v12, s10, v5
	v_cmp_gt_u32_e32 vcc, 4, v12
	v_cmp_lt_u32_e64 s[0:1], 3, v12
	v_mov_b32_e32 v5, v4
	s_and_saveexec_b64 s[8:9], s[0:1]
	s_cbranch_execz .LBB12_47
; %bb.42:                               ;   in Loop: Header=BB12_41 Depth=1
	s_mul_i32 s0, s16, s18
	v_add_u32_e32 v5, s0, v10
	v_subrev_u32_e32 v6, s2, v1
	v_add_u32_e32 v6, v5, v6
	v_cmp_ge_i32_e64 s[0:1], v6, v5
	s_mov_b64 s[2:3], -1
	s_and_b64 s[0:1], s[6:7], s[0:1]
	v_mov_b32_e32 v5, v4
	s_and_saveexec_b64 s[12:13], s[0:1]
	s_cbranch_execz .LBB12_46
; %bb.43:                               ;   in Loop: Header=BB12_41 Depth=1
	v_add_u32_e32 v5, 1, v4
	v_and_b32_e32 v13, -2, v11
	v_lshl_add_u32 v14, v4, 2, s35
	s_mov_b64 s[14:15], 0
	v_mov_b32_e32 v6, v3
	v_pk_mov_b32 v[8:9], v[4:5], v[4:5] op_sel:[0,1]
.LBB12_44:                              ;   Parent Loop BB12_41 Depth=1
                                        ; =>  This Inner Loop Header: Depth=2
	v_mul_lo_u32 v15, v8, s10
	v_mul_lo_u32 v5, v9, s17
	v_lshl_add_u32 v15, v15, 2, v14
	v_lshl_add_u32 v5, v5, 2, v14
	ds_read_b32 v18, v15
	ds_read_b32 v19, v5
	v_ashrrev_i32_e32 v7, 31, v6
	v_add_u32_e32 v13, -2, v13
	v_lshlrev_b64 v[16:17], 2, v[6:7]
	v_mov_b32_e32 v20, s33
	v_cmp_eq_u32_e64 s[0:1], 0, v13
	v_add_co_u32_e64 v16, s[2:3], s31, v16
	v_add_u32_e32 v9, 2, v9
	v_add_u32_e32 v8, 2, v8
	;; [unrolled: 1-line block ×3, first 2 shown]
	v_addc_co_u32_e64 v17, s[2:3], v20, v17, s[2:3]
	s_or_b64 s[14:15], s[0:1], s[14:15]
	s_waitcnt lgkmcnt(0)
	global_store_dwordx2 v[16:17], v[18:19], off
	s_andn2_b64 exec, exec, s[14:15]
	s_cbranch_execnz .LBB12_44
; %bb.45:                               ;   in Loop: Header=BB12_41 Depth=1
	s_or_b64 exec, exec, s[14:15]
	v_and_b32_e32 v6, -2, v12
	v_cmp_ne_u32_e64 s[0:1], v12, v6
	v_add_u32_e32 v5, v4, v6
	s_orn2_b64 s[2:3], s[0:1], exec
.LBB12_46:                              ;   in Loop: Header=BB12_41 Depth=1
	s_or_b64 exec, exec, s[12:13]
	s_andn2_b64 s[0:1], vcc, exec
	s_and_b64 s[2:3], s[2:3], exec
	s_or_b64 vcc, s[0:1], s[2:3]
.LBB12_47:                              ;   in Loop: Header=BB12_41 Depth=1
	s_or_b64 exec, exec, s[8:9]
	s_and_saveexec_b64 s[2:3], vcc
	s_cbranch_execz .LBB12_40
; %bb.48:                               ;   in Loop: Header=BB12_41 Depth=1
	v_mad_u64_u32 v[6:7], s[0:1], s30, v5, v[4:5]
	v_mad_u64_u32 v[8:9], s[0:1], s34, v5, v[2:3]
	s_mov_b64 s[8:9], 0
.LBB12_49:                              ;   Parent Loop BB12_41 Depth=1
                                        ; =>  This Inner Loop Header: Depth=2
	ds_read_b32 v9, v8
	v_ashrrev_i32_e32 v7, 31, v6
	v_add_u32_e32 v5, 1, v5
	v_lshlrev_b64 v[12:13], 2, v[6:7]
	v_mov_b32_e32 v14, s33
	v_cmp_le_i32_e32 vcc, s10, v5
	v_add_co_u32_e64 v12, s[0:1], s31, v12
	v_add_u32_e32 v8, s34, v8
	v_add_u32_e32 v6, s30, v6
	v_addc_co_u32_e64 v13, s[0:1], v14, v13, s[0:1]
	s_or_b64 s[8:9], vcc, s[8:9]
	s_waitcnt lgkmcnt(0)
	global_store_dword v[12:13], v9, off
	s_andn2_b64 exec, exec, s[8:9]
	s_cbranch_execnz .LBB12_49
	s_branch .LBB12_40
.LBB12_50:
	s_endpgm
	.section	.rodata,"a",@progbits
	.p2align	6, 0x0
	.amdhsa_kernel _ZN9rocsolver6v33100L20larft_kernel_forwardIfPKPfEEv15rocblas_storev_iiT0_iilPT_lS8_il
		.amdhsa_group_segment_fixed_size 0
		.amdhsa_private_segment_fixed_size 0
		.amdhsa_kernarg_size 336
		.amdhsa_user_sgpr_count 6
		.amdhsa_user_sgpr_private_segment_buffer 1
		.amdhsa_user_sgpr_dispatch_ptr 0
		.amdhsa_user_sgpr_queue_ptr 0
		.amdhsa_user_sgpr_kernarg_segment_ptr 1
		.amdhsa_user_sgpr_dispatch_id 0
		.amdhsa_user_sgpr_flat_scratch_init 0
		.amdhsa_user_sgpr_kernarg_preload_length 0
		.amdhsa_user_sgpr_kernarg_preload_offset 0
		.amdhsa_user_sgpr_private_segment_size 0
		.amdhsa_uses_dynamic_stack 0
		.amdhsa_system_sgpr_private_segment_wavefront_offset 0
		.amdhsa_system_sgpr_workgroup_id_x 1
		.amdhsa_system_sgpr_workgroup_id_y 1
		.amdhsa_system_sgpr_workgroup_id_z 0
		.amdhsa_system_sgpr_workgroup_info 0
		.amdhsa_system_vgpr_workitem_id 0
		.amdhsa_next_free_vgpr 21
		.amdhsa_next_free_sgpr 48
		.amdhsa_accum_offset 24
		.amdhsa_reserve_vcc 1
		.amdhsa_reserve_flat_scratch 0
		.amdhsa_float_round_mode_32 0
		.amdhsa_float_round_mode_16_64 0
		.amdhsa_float_denorm_mode_32 3
		.amdhsa_float_denorm_mode_16_64 3
		.amdhsa_dx10_clamp 1
		.amdhsa_ieee_mode 1
		.amdhsa_fp16_overflow 0
		.amdhsa_tg_split 0
		.amdhsa_exception_fp_ieee_invalid_op 0
		.amdhsa_exception_fp_denorm_src 0
		.amdhsa_exception_fp_ieee_div_zero 0
		.amdhsa_exception_fp_ieee_overflow 0
		.amdhsa_exception_fp_ieee_underflow 0
		.amdhsa_exception_fp_ieee_inexact 0
		.amdhsa_exception_int_div_zero 0
	.end_amdhsa_kernel
	.section	.text._ZN9rocsolver6v33100L20larft_kernel_forwardIfPKPfEEv15rocblas_storev_iiT0_iilPT_lS8_il,"axG",@progbits,_ZN9rocsolver6v33100L20larft_kernel_forwardIfPKPfEEv15rocblas_storev_iiT0_iilPT_lS8_il,comdat
.Lfunc_end12:
	.size	_ZN9rocsolver6v33100L20larft_kernel_forwardIfPKPfEEv15rocblas_storev_iiT0_iilPT_lS8_il, .Lfunc_end12-_ZN9rocsolver6v33100L20larft_kernel_forwardIfPKPfEEv15rocblas_storev_iiT0_iilPT_lS8_il
                                        ; -- End function
	.section	.AMDGPU.csdata,"",@progbits
; Kernel info:
; codeLenInByte = 2124
; NumSgprs: 52
; NumVgprs: 21
; NumAgprs: 0
; TotalNumVgprs: 21
; ScratchSize: 0
; MemoryBound: 0
; FloatMode: 240
; IeeeMode: 1
; LDSByteSize: 0 bytes/workgroup (compile time only)
; SGPRBlocks: 6
; VGPRBlocks: 2
; NumSGPRsForWavesPerEU: 52
; NumVGPRsForWavesPerEU: 21
; AccumOffset: 24
; Occupancy: 8
; WaveLimiterHint : 0
; COMPUTE_PGM_RSRC2:SCRATCH_EN: 0
; COMPUTE_PGM_RSRC2:USER_SGPR: 6
; COMPUTE_PGM_RSRC2:TRAP_HANDLER: 0
; COMPUTE_PGM_RSRC2:TGID_X_EN: 1
; COMPUTE_PGM_RSRC2:TGID_Y_EN: 1
; COMPUTE_PGM_RSRC2:TGID_Z_EN: 0
; COMPUTE_PGM_RSRC2:TIDIG_COMP_CNT: 0
; COMPUTE_PGM_RSRC3_GFX90A:ACCUM_OFFSET: 5
; COMPUTE_PGM_RSRC3_GFX90A:TG_SPLIT: 0
	.section	.text._ZN9rocsolver6v33100L13conj_in_placeIfiPKPfTnNSt9enable_ifIXnt18rocblas_is_complexIT_EEiE4typeELi0EEEvT0_S9_T1_lS9_l,"axG",@progbits,_ZN9rocsolver6v33100L13conj_in_placeIfiPKPfTnNSt9enable_ifIXnt18rocblas_is_complexIT_EEiE4typeELi0EEEvT0_S9_T1_lS9_l,comdat
	.globl	_ZN9rocsolver6v33100L13conj_in_placeIfiPKPfTnNSt9enable_ifIXnt18rocblas_is_complexIT_EEiE4typeELi0EEEvT0_S9_T1_lS9_l ; -- Begin function _ZN9rocsolver6v33100L13conj_in_placeIfiPKPfTnNSt9enable_ifIXnt18rocblas_is_complexIT_EEiE4typeELi0EEEvT0_S9_T1_lS9_l
	.p2align	8
	.type	_ZN9rocsolver6v33100L13conj_in_placeIfiPKPfTnNSt9enable_ifIXnt18rocblas_is_complexIT_EEiE4typeELi0EEEvT0_S9_T1_lS9_l,@function
_ZN9rocsolver6v33100L13conj_in_placeIfiPKPfTnNSt9enable_ifIXnt18rocblas_is_complexIT_EEiE4typeELi0EEEvT0_S9_T1_lS9_l: ; @_ZN9rocsolver6v33100L13conj_in_placeIfiPKPfTnNSt9enable_ifIXnt18rocblas_is_complexIT_EEiE4typeELi0EEEvT0_S9_T1_lS9_l
; %bb.0:
	s_endpgm
	.section	.rodata,"a",@progbits
	.p2align	6, 0x0
	.amdhsa_kernel _ZN9rocsolver6v33100L13conj_in_placeIfiPKPfTnNSt9enable_ifIXnt18rocblas_is_complexIT_EEiE4typeELi0EEEvT0_S9_T1_lS9_l
		.amdhsa_group_segment_fixed_size 0
		.amdhsa_private_segment_fixed_size 0
		.amdhsa_kernarg_size 40
		.amdhsa_user_sgpr_count 6
		.amdhsa_user_sgpr_private_segment_buffer 1
		.amdhsa_user_sgpr_dispatch_ptr 0
		.amdhsa_user_sgpr_queue_ptr 0
		.amdhsa_user_sgpr_kernarg_segment_ptr 1
		.amdhsa_user_sgpr_dispatch_id 0
		.amdhsa_user_sgpr_flat_scratch_init 0
		.amdhsa_user_sgpr_kernarg_preload_length 0
		.amdhsa_user_sgpr_kernarg_preload_offset 0
		.amdhsa_user_sgpr_private_segment_size 0
		.amdhsa_uses_dynamic_stack 0
		.amdhsa_system_sgpr_private_segment_wavefront_offset 0
		.amdhsa_system_sgpr_workgroup_id_x 1
		.amdhsa_system_sgpr_workgroup_id_y 0
		.amdhsa_system_sgpr_workgroup_id_z 0
		.amdhsa_system_sgpr_workgroup_info 0
		.amdhsa_system_vgpr_workitem_id 0
		.amdhsa_next_free_vgpr 1
		.amdhsa_next_free_sgpr 0
		.amdhsa_accum_offset 4
		.amdhsa_reserve_vcc 0
		.amdhsa_reserve_flat_scratch 0
		.amdhsa_float_round_mode_32 0
		.amdhsa_float_round_mode_16_64 0
		.amdhsa_float_denorm_mode_32 3
		.amdhsa_float_denorm_mode_16_64 3
		.amdhsa_dx10_clamp 1
		.amdhsa_ieee_mode 1
		.amdhsa_fp16_overflow 0
		.amdhsa_tg_split 0
		.amdhsa_exception_fp_ieee_invalid_op 0
		.amdhsa_exception_fp_denorm_src 0
		.amdhsa_exception_fp_ieee_div_zero 0
		.amdhsa_exception_fp_ieee_overflow 0
		.amdhsa_exception_fp_ieee_underflow 0
		.amdhsa_exception_fp_ieee_inexact 0
		.amdhsa_exception_int_div_zero 0
	.end_amdhsa_kernel
	.section	.text._ZN9rocsolver6v33100L13conj_in_placeIfiPKPfTnNSt9enable_ifIXnt18rocblas_is_complexIT_EEiE4typeELi0EEEvT0_S9_T1_lS9_l,"axG",@progbits,_ZN9rocsolver6v33100L13conj_in_placeIfiPKPfTnNSt9enable_ifIXnt18rocblas_is_complexIT_EEiE4typeELi0EEEvT0_S9_T1_lS9_l,comdat
.Lfunc_end13:
	.size	_ZN9rocsolver6v33100L13conj_in_placeIfiPKPfTnNSt9enable_ifIXnt18rocblas_is_complexIT_EEiE4typeELi0EEEvT0_S9_T1_lS9_l, .Lfunc_end13-_ZN9rocsolver6v33100L13conj_in_placeIfiPKPfTnNSt9enable_ifIXnt18rocblas_is_complexIT_EEiE4typeELi0EEEvT0_S9_T1_lS9_l
                                        ; -- End function
	.section	.AMDGPU.csdata,"",@progbits
; Kernel info:
; codeLenInByte = 4
; NumSgprs: 4
; NumVgprs: 0
; NumAgprs: 0
; TotalNumVgprs: 0
; ScratchSize: 0
; MemoryBound: 0
; FloatMode: 240
; IeeeMode: 1
; LDSByteSize: 0 bytes/workgroup (compile time only)
; SGPRBlocks: 0
; VGPRBlocks: 0
; NumSGPRsForWavesPerEU: 4
; NumVGPRsForWavesPerEU: 1
; AccumOffset: 4
; Occupancy: 8
; WaveLimiterHint : 0
; COMPUTE_PGM_RSRC2:SCRATCH_EN: 0
; COMPUTE_PGM_RSRC2:USER_SGPR: 6
; COMPUTE_PGM_RSRC2:TRAP_HANDLER: 0
; COMPUTE_PGM_RSRC2:TGID_X_EN: 1
; COMPUTE_PGM_RSRC2:TGID_Y_EN: 0
; COMPUTE_PGM_RSRC2:TGID_Z_EN: 0
; COMPUTE_PGM_RSRC2:TIDIG_COMP_CNT: 0
; COMPUTE_PGM_RSRC3_GFX90A:ACCUM_OFFSET: 0
; COMPUTE_PGM_RSRC3_GFX90A:TG_SPLIT: 0
	.section	.text._ZN9rocsolver6v33100L21larft_kernel_backwardIfPKPfEEv15rocblas_storev_iiT0_iilPT_lS8_il,"axG",@progbits,_ZN9rocsolver6v33100L21larft_kernel_backwardIfPKPfEEv15rocblas_storev_iiT0_iilPT_lS8_il,comdat
	.globl	_ZN9rocsolver6v33100L21larft_kernel_backwardIfPKPfEEv15rocblas_storev_iiT0_iilPT_lS8_il ; -- Begin function _ZN9rocsolver6v33100L21larft_kernel_backwardIfPKPfEEv15rocblas_storev_iiT0_iilPT_lS8_il
	.p2align	8
	.type	_ZN9rocsolver6v33100L21larft_kernel_backwardIfPKPfEEv15rocblas_storev_iiT0_iilPT_lS8_il,@function
_ZN9rocsolver6v33100L21larft_kernel_backwardIfPKPfEEv15rocblas_storev_iiT0_iilPT_lS8_il: ; @_ZN9rocsolver6v33100L21larft_kernel_backwardIfPKPfEEv15rocblas_storev_iiT0_iilPT_lS8_il
; %bb.0:
	s_mov_b32 s6, s7
	s_load_dword s33, s[4:5], 0x40
	s_load_dwordx2 s[0:1], s[4:5], 0x48
	s_load_dword s7, s[4:5], 0x5c
	s_load_dwordx4 s[8:11], s[4:5], 0x0
	s_load_dwordx2 s[2:3], s[4:5], 0x10
	s_load_dwordx4 s[12:15], s[4:5], 0x28
	s_load_dwordx2 s[18:19], s[4:5], 0x38
	s_waitcnt lgkmcnt(0)
	s_and_b32 s11, s7, 0xffff
	s_ashr_i32 s7, s6, 31
	s_lshl_b64 s[16:17], s[6:7], 3
	s_add_u32 s2, s2, s16
	s_addc_u32 s3, s3, s17
	s_load_dwordx2 s[16:17], s[2:3], 0x0
	s_mul_i32 s1, s6, s1
	s_mul_hi_u32 s2, s6, s0
	s_add_i32 s1, s2, s1
	s_mul_i32 s2, s7, s0
	s_add_i32 s1, s1, s2
	s_mul_i32 s0, s6, s0
	s_lshl_b64 s[0:1], s[0:1], 2
	s_add_u32 s34, s18, s0
	s_addc_u32 s35, s19, s1
	v_cmp_gt_i32_e64 s[0:1], s10, v0
	v_add_u32_e32 v1, 1, v0
	s_and_saveexec_b64 s[18:19], s[0:1]
	s_cbranch_execz .LBB14_12
; %bb.1:
	s_cmp_lg_u32 s33, 1
	s_cselect_b64 s[20:21], -1, 0
	s_cmp_lg_u32 s10, 1
	s_cselect_b64 s[22:23], -1, 0
	s_lshl_b32 s36, s10, 2
	s_add_i32 s2, s36, 0
	v_add_u32_e32 v3, 1, v0
	v_lshl_add_u32 v6, v0, 2, s2
	s_lshl_b32 s37, s11, 2
	s_mov_b64 s[24:25], 0
	v_mov_b32_e32 v2, v0
	s_branch .LBB14_3
.LBB14_2:                               ;   in Loop: Header=BB14_3 Depth=1
	s_or_b64 exec, exec, s[2:3]
	v_add_u32_e32 v2, s11, v2
	v_cmp_le_i32_e32 vcc, s10, v2
	v_add_u32_e32 v3, s11, v3
	s_or_b64 s[24:25], vcc, s[24:25]
	v_add_u32_e32 v6, s37, v6
	s_andn2_b64 exec, exec, s[24:25]
	s_cbranch_execz .LBB14_12
.LBB14_3:                               ; =>This Loop Header: Depth=1
                                        ;     Child Loop BB14_6 Depth 2
                                        ;     Child Loop BB14_11 Depth 2
	v_cmp_gt_u32_e32 vcc, 6, v3
	v_cmp_lt_u32_e64 s[2:3], 5, v3
	v_mov_b32_e32 v7, 0
	s_and_saveexec_b64 s[26:27], s[2:3]
	s_cbranch_execz .LBB14_9
; %bb.4:                                ;   in Loop: Header=BB14_3 Depth=1
	v_lshlrev_b32_e32 v4, 1, v2
	v_cmp_lt_i32_e64 s[2:3], v4, v2
	s_or_b64 s[2:3], s[20:21], s[2:3]
	s_or_b64 s[28:29], s[2:3], s[22:23]
	s_mov_b64 s[2:3], -1
	s_xor_b64 s[30:31], s[28:29], -1
	v_mov_b32_e32 v7, 0
	s_and_saveexec_b64 s[28:29], s[30:31]
	s_cbranch_execz .LBB14_8
; %bb.5:                                ;   in Loop: Header=BB14_3 Depth=1
	v_and_b32_e32 v7, -4, v3
	s_mov_b32 s38, 0
	s_mov_b64 s[30:31], 0
	v_mov_b32_e32 v4, v6
.LBB14_6:                               ;   Parent Loop BB14_3 Depth=1
                                        ; =>  This Inner Loop Header: Depth=2
	v_add_u32_e32 v8, s38, v2
	v_ashrrev_i32_e32 v9, 31, v8
	v_lshlrev_b64 v[8:9], 2, v[8:9]
	v_mov_b32_e32 v5, s35
	v_add_co_u32_e64 v8, s[2:3], s34, v8
	v_addc_co_u32_e64 v9, s[2:3], v5, v9, s[2:3]
	global_load_dwordx4 v[8:11], v[8:9], off
	s_add_i32 s38, s38, 4
	v_cmp_eq_u32_e64 s[2:3], s38, v7
	s_or_b64 s[30:31], s[2:3], s[30:31]
	s_waitcnt vmcnt(0)
	ds_write2_b32 v4, v8, v9 offset1:1
	ds_write2_b32 v4, v10, v11 offset0:2 offset1:3
	v_add_u32_e32 v4, 16, v4
	s_andn2_b64 exec, exec, s[30:31]
	s_cbranch_execnz .LBB14_6
; %bb.7:                                ;   in Loop: Header=BB14_3 Depth=1
	s_or_b64 exec, exec, s[30:31]
	v_cmp_ne_u32_e64 s[2:3], v3, v7
	s_orn2_b64 s[2:3], s[2:3], exec
.LBB14_8:                               ;   in Loop: Header=BB14_3 Depth=1
	s_or_b64 exec, exec, s[28:29]
	s_andn2_b64 s[28:29], vcc, exec
	s_and_b64 s[2:3], s[2:3], exec
	s_or_b64 vcc, s[28:29], s[2:3]
.LBB14_9:                               ;   in Loop: Header=BB14_3 Depth=1
	s_or_b64 exec, exec, s[26:27]
	s_and_saveexec_b64 s[2:3], vcc
	s_cbranch_execz .LBB14_2
; %bb.10:                               ;   in Loop: Header=BB14_3 Depth=1
	v_mad_u64_u32 v[4:5], s[26:27], s33, v7, v[2:3]
	v_mul_lo_u32 v8, s36, v7
	s_mov_b64 s[26:27], 0
.LBB14_11:                              ;   Parent Loop BB14_3 Depth=1
                                        ; =>  This Inner Loop Header: Depth=2
	v_ashrrev_i32_e32 v5, 31, v4
	v_lshlrev_b64 v[10:11], 2, v[4:5]
	v_mov_b32_e32 v9, s35
	v_add_co_u32_e32 v10, vcc, s34, v10
	v_addc_co_u32_e32 v11, vcc, v9, v11, vcc
	global_load_dword v5, v[10:11], off
	v_add_u32_e32 v7, 1, v7
	v_cmp_eq_u32_e32 vcc, v3, v7
	v_add_u32_e32 v9, v6, v8
	v_add_u32_e32 v8, s36, v8
	;; [unrolled: 1-line block ×3, first 2 shown]
	s_or_b64 s[26:27], vcc, s[26:27]
	s_waitcnt vmcnt(0)
	ds_write_b32 v9, v5
	s_andn2_b64 exec, exec, s[26:27]
	s_cbranch_execnz .LBB14_11
	s_branch .LBB14_2
.LBB14_12:
	s_or_b64 exec, exec, s[18:19]
	s_cmp_lt_i32 s10, 2
	s_waitcnt lgkmcnt(0)
	s_barrier
	s_cbranch_scc1 .LBB14_38
; %bb.13:
	s_load_dwordx2 s[4:5], s[4:5], 0x18
	s_mul_i32 s2, s6, s15
	s_mul_hi_u32 s3, s6, s14
	s_add_i32 s15, s3, s2
	s_mul_i32 s6, s6, s14
	s_waitcnt lgkmcnt(0)
	s_ashr_i32 s3, s4, 31
	s_mov_b32 s2, s4
	s_mul_i32 s4, s7, s14
	s_add_i32 s7, s15, s4
	s_lshl_b64 s[6:7], s[6:7], 2
	s_add_u32 s4, s12, s6
	s_addc_u32 s26, s13, s7
	s_lshl_b32 s27, s10, 2
	s_add_i32 s28, s27, 0
	s_add_i32 s6, s10, -2
	s_sub_i32 s29, s9, s10
	s_mov_b32 s7, 0
	s_cmpk_lg_i32 s8, 0xb5
	s_cselect_b64 s[8:9], -1, 0
	s_lshl_b64 s[2:3], s[2:3], 2
	s_lshl_b64 s[14:15], s[6:7], 2
	s_add_u32 s12, s2, s14
	s_addc_u32 s13, s3, s15
	s_add_u32 s30, s16, s12
	s_addc_u32 s31, s17, s13
	s_ashr_i32 s13, s5, 31
	s_mov_b32 s12, s5
	s_lshl_b64 s[12:13], s[12:13], 2
	s_add_u32 s36, s16, s2
	s_addc_u32 s37, s17, s3
	v_lshlrev_b32_e32 v4, 2, v0
	s_add_u32 s2, s36, s14
	s_addc_u32 s3, s37, s15
	v_add_co_u32_e32 v3, vcc, s2, v4
	s_add_i32 s2, s10, -1
	v_mov_b32_e32 v2, s3
	s_mul_i32 s14, s5, s2
	s_add_i32 s2, s27, 4
	v_addc_co_u32_e32 v5, vcc, 0, v2, vcc
	s_mul_i32 s2, s10, s2
	v_add_co_u32_e32 v2, vcc, 4, v3
	s_add_i32 s2, s2, 0
	v_addc_co_u32_e32 v3, vcc, 0, v5, vcc
	s_lshl_b32 s38, s11, 2
	s_mov_b32 s39, s7
	v_mul_lo_u32 v8, v0, s5
	s_mul_i32 s40, s5, s11
	s_mul_i32 s16, s5, s6
	v_add3_u32 v9, s2, v4, -4
	s_xor_b32 s41, s27, -4
	s_branch .LBB14_15
.LBB14_14:                              ;   in Loop: Header=BB14_15 Depth=1
	s_or_b64 exec, exec, s[2:3]
	s_add_i32 s2, s6, -1
	s_add_u32 s30, s30, -4
	s_addc_u32 s31, s31, -1
	v_add_co_u32_e32 v2, vcc, -4, v2
	s_sub_i32 s14, s14, s5
	s_sub_i32 s16, s16, s5
	v_addc_co_u32_e32 v3, vcc, -1, v3, vcc
	v_add_u32_e32 v9, s41, v9
	s_cmp_lt_i32 s6, 1
	s_mov_b32 s6, s2
	s_waitcnt lgkmcnt(0)
	s_barrier
	s_cbranch_scc1 .LBB14_38
.LBB14_15:                              ; =>This Loop Header: Depth=1
                                        ;     Child Loop BB14_20 Depth 2
                                        ;       Child Loop BB14_22 Depth 3
                                        ;     Child Loop BB14_29 Depth 2
                                        ;       Child Loop BB14_31 Depth 3
                                        ;     Child Loop BB14_35 Depth 2
                                        ;       Child Loop BB14_36 Depth 3
	s_lshl_b32 s2, s6, 2
	s_not_b32 s42, s6
	s_add_i32 s43, s28, s2
	s_mul_i32 s2, s6, s10
	s_add_i32 s42, s42, s10
	s_lshl_b32 s2, s2, 2
	s_add_i32 s44, s6, s29
	s_add_i32 s43, s43, s2
	s_mov_b64 s[18:19], -1
	s_and_b64 vcc, exec, s[8:9]
	v_cmp_gt_i32_e64 s[2:3], s42, v0
	s_cbranch_vccz .LBB14_24
; %bb.16:                               ;   in Loop: Header=BB14_15 Depth=1
	s_and_saveexec_b64 s[18:19], s[2:3]
	s_cbranch_execz .LBB14_23
; %bb.17:                               ;   in Loop: Header=BB14_15 Depth=1
	s_cmp_gt_i32 s44, 0
	s_cselect_b64 s[2:3], -1, 0
	s_lshl_b64 s[20:21], s[6:7], 2
	s_add_u32 s20, s4, s20
	s_addc_u32 s21, s26, s21
	s_load_dword s15, s[20:21], 0x0
	v_cndmask_b32_e64 v4, 0, 1, s[2:3]
	s_add_i32 s17, s43, 4
	s_mov_b64 s[20:21], 0
	v_cmp_ne_u32_e64 s[2:3], 1, v4
	v_pk_mov_b32 v[4:5], v[2:3], v[2:3] op_sel:[0,1]
	v_mov_b32_e32 v6, v0
	s_branch .LBB14_20
.LBB14_18:                              ;   in Loop: Header=BB14_20 Depth=2
	v_mov_b32_e32 v7, 0
.LBB14_19:                              ;   in Loop: Header=BB14_20 Depth=2
	v_lshlrev_b32_e32 v10, 2, v6
	v_add_u32_e32 v11, s17, v10
	ds_read_b32 v11, v11
	v_add_u32_e32 v6, s11, v6
	v_cmp_le_i32_e32 vcc, s42, v6
	v_mov_b32_e32 v12, s39
	s_or_b64 s[20:21], vcc, s[20:21]
	v_add_co_u32_e32 v4, vcc, s38, v4
	v_add_u32_e32 v10, 0, v10
	s_waitcnt lgkmcnt(0)
	v_fmac_f32_e32 v11, s15, v7
	v_addc_co_u32_e32 v5, vcc, v5, v12, vcc
	ds_write_b32 v10, v11
	s_andn2_b64 exec, exec, s[20:21]
	s_cbranch_execz .LBB14_23
.LBB14_20:                              ;   Parent Loop BB14_15 Depth=1
                                        ; =>  This Loop Header: Depth=2
                                        ;       Child Loop BB14_22 Depth 3
	s_and_b64 vcc, exec, s[2:3]
	s_cbranch_vccnz .LBB14_18
; %bb.21:                               ;   in Loop: Header=BB14_20 Depth=2
	s_mov_b32 s24, 0
	s_mov_b64 s[22:23], 0
	v_mov_b32_e32 v7, 0
.LBB14_22:                              ;   Parent Loop BB14_15 Depth=1
                                        ;     Parent Loop BB14_20 Depth=2
                                        ; =>    This Inner Loop Header: Depth=3
	v_mov_b32_e32 v11, s23
	v_add_co_u32_e32 v10, vcc, s22, v4
	v_addc_co_u32_e32 v11, vcc, v5, v11, vcc
	global_load_dword v10, v[10:11], off
	s_add_u32 s46, s30, s22
	s_addc_u32 s47, s31, s23
	s_load_dword s25, s[46:47], 0x0
	s_add_i32 s24, s24, 1
	s_add_u32 s22, s22, s12
	s_addc_u32 s23, s23, s13
	s_cmp_ge_i32 s24, s44
	s_waitcnt vmcnt(0) lgkmcnt(0)
	v_fmac_f32_e32 v7, s25, v10
	s_cbranch_scc0 .LBB14_22
	s_branch .LBB14_19
.LBB14_23:                              ;   in Loop: Header=BB14_15 Depth=1
	s_or_b64 exec, exec, s[18:19]
	s_mov_b64 s[18:19], 0
.LBB14_24:                              ;   in Loop: Header=BB14_15 Depth=1
	s_andn2_b64 vcc, exec, s[18:19]
	s_cbranch_vccnz .LBB14_33
; %bb.25:                               ;   in Loop: Header=BB14_15 Depth=1
	v_cmp_gt_i32_e32 vcc, s42, v0
	s_and_saveexec_b64 s[2:3], vcc
	s_cbranch_execz .LBB14_32
; %bb.26:                               ;   in Loop: Header=BB14_15 Depth=1
	s_ashr_i32 s15, s14, 31
	s_ashr_i32 s17, s16, 31
	s_lshl_b64 s[22:23], s[14:15], 2
	s_lshl_b64 s[18:19], s[16:17], 2
	s_add_u32 s18, s36, s18
	s_addc_u32 s19, s37, s19
	s_cmp_gt_i32 s44, 0
	s_cselect_b64 s[20:21], -1, 0
	s_lshl_b64 s[24:25], s[6:7], 2
	s_add_u32 s24, s4, s24
	s_addc_u32 s25, s26, s25
	s_load_dword s15, s[24:25], 0x0
	s_add_i32 s17, s43, 4
	s_add_u32 s45, s36, s22
	s_addc_u32 s46, s37, s23
	s_mov_b64 s[22:23], 0
	v_mov_b32_e32 v4, v8
	v_mov_b32_e32 v10, v0
	s_branch .LBB14_29
.LBB14_27:                              ;   in Loop: Header=BB14_29 Depth=2
	v_mov_b32_e32 v5, 0
.LBB14_28:                              ;   in Loop: Header=BB14_29 Depth=2
	v_lshlrev_b32_e32 v6, 2, v10
	v_add_u32_e32 v7, s17, v6
	ds_read_b32 v7, v7
	v_add_u32_e32 v10, s11, v10
	v_cmp_le_i32_e32 vcc, s42, v10
	v_add_u32_e32 v6, 0, v6
	s_or_b64 s[22:23], vcc, s[22:23]
	s_waitcnt lgkmcnt(0)
	v_fmac_f32_e32 v7, s15, v5
	v_add_u32_e32 v4, s40, v4
	ds_write_b32 v6, v7
	s_andn2_b64 exec, exec, s[22:23]
	s_cbranch_execz .LBB14_32
.LBB14_29:                              ;   Parent Loop BB14_15 Depth=1
                                        ; =>  This Loop Header: Depth=2
                                        ;       Child Loop BB14_31 Depth 3
	s_andn2_b64 vcc, exec, s[20:21]
	s_cbranch_vccnz .LBB14_27
; %bb.30:                               ;   in Loop: Header=BB14_29 Depth=2
	v_ashrrev_i32_e32 v5, 31, v4
	v_lshlrev_b64 v[6:7], 2, v[4:5]
	v_mov_b32_e32 v5, s46
	v_add_co_u32_e32 v6, vcc, s45, v6
	v_addc_co_u32_e32 v7, vcc, v5, v7, vcc
	s_mov_b32 s47, 0
	v_mov_b32_e32 v5, 0
	s_mov_b64 s[24:25], s[18:19]
.LBB14_31:                              ;   Parent Loop BB14_15 Depth=1
                                        ;     Parent Loop BB14_29 Depth=2
                                        ; =>    This Inner Loop Header: Depth=3
	global_load_dword v11, v[6:7], off
	s_load_dword s48, s[24:25], 0x0
	s_add_i32 s47, s47, 1
	s_add_u32 s24, s24, 4
	v_add_co_u32_e32 v6, vcc, 4, v6
	s_addc_u32 s25, s25, 0
	v_addc_co_u32_e32 v7, vcc, 0, v7, vcc
	s_cmp_ge_i32 s47, s44
	s_waitcnt vmcnt(0) lgkmcnt(0)
	v_fmac_f32_e32 v5, s48, v11
	s_cbranch_scc0 .LBB14_31
	s_branch .LBB14_28
.LBB14_32:                              ;   in Loop: Header=BB14_15 Depth=1
	s_or_b64 exec, exec, s[2:3]
.LBB14_33:                              ;   in Loop: Header=BB14_15 Depth=1
	v_cmp_gt_i32_e32 vcc, s42, v0
	s_waitcnt lgkmcnt(0)
	s_barrier
	s_and_saveexec_b64 s[2:3], vcc
	s_cbranch_execz .LBB14_14
; %bb.34:                               ;   in Loop: Header=BB14_15 Depth=1
	s_add_i32 s43, s43, 4
	s_mov_b64 s[18:19], 0
	v_mov_b32_e32 v4, v9
	v_mov_b32_e32 v5, v0
.LBB14_35:                              ;   Parent Loop BB14_15 Depth=1
                                        ; =>  This Loop Header: Depth=2
                                        ;       Child Loop BB14_36 Depth 3
	s_mov_b32 s15, -1
	s_mov_b32 s17, 0
	v_mov_b32_e32 v6, 0
	s_mov_b64 s[20:21], 0
	v_mov_b32_e32 v7, v4
.LBB14_36:                              ;   Parent Loop BB14_15 Depth=1
                                        ;     Parent Loop BB14_35 Depth=2
                                        ; =>    This Inner Loop Header: Depth=3
	v_mov_b32_e32 v11, s17
	ds_read_b32 v10, v7
	ds_read_b32 v11, v11
	s_add_i32 s15, s15, 1
	s_add_i32 s17, s17, 4
	v_cmp_eq_u32_e32 vcc, s15, v5
	v_add_u32_e32 v7, s27, v7
	s_or_b64 s[20:21], vcc, s[20:21]
	s_waitcnt lgkmcnt(0)
	v_fmac_f32_e32 v6, v10, v11
	s_andn2_b64 exec, exec, s[20:21]
	s_cbranch_execnz .LBB14_36
; %bb.37:                               ;   in Loop: Header=BB14_35 Depth=2
	s_or_b64 exec, exec, s[20:21]
	v_lshl_add_u32 v7, v5, 2, s43
	v_add_u32_e32 v5, s11, v5
	v_cmp_le_i32_e32 vcc, s42, v5
	s_or_b64 s[18:19], vcc, s[18:19]
	v_add_u32_e32 v4, s38, v4
	ds_write_b32 v7, v6
	s_andn2_b64 exec, exec, s[18:19]
	s_cbranch_execnz .LBB14_35
	s_branch .LBB14_14
.LBB14_38:
	s_and_saveexec_b64 s[2:3], s[0:1]
	s_cbranch_execz .LBB14_50
; %bb.39:
	s_cmp_lg_u32 s10, 1
	s_cselect_b64 s[0:1], -1, 0
	s_cmp_lg_u32 s33, 1
	s_cselect_b64 s[2:3], -1, 0
	s_lshl_b32 s14, s10, 2
	s_or_b64 s[0:1], s[0:1], s[2:3]
	s_add_i32 s2, s14, 0
	v_lshl_add_u32 v4, v0, 2, s2
	s_lshl_b32 s15, s11, 2
	s_mov_b64 s[2:3], 0
	s_xor_b64 s[4:5], s[0:1], -1
	s_branch .LBB14_41
.LBB14_40:                              ;   in Loop: Header=BB14_41 Depth=1
	s_or_b64 exec, exec, s[6:7]
	v_add_u32_e32 v0, s11, v0
	v_cmp_le_i32_e32 vcc, s10, v0
	v_add_u32_e32 v1, s11, v1
	s_or_b64 s[2:3], vcc, s[2:3]
	v_add_u32_e32 v4, s15, v4
	s_andn2_b64 exec, exec, s[2:3]
	s_cbranch_execz .LBB14_50
.LBB14_41:                              ; =>This Loop Header: Depth=1
                                        ;     Child Loop BB14_44 Depth 2
                                        ;     Child Loop BB14_49 Depth 2
	v_cmp_gt_u32_e32 vcc, 6, v1
	v_cmp_lt_u32_e64 s[0:1], 5, v1
	v_mov_b32_e32 v5, 0
	s_and_saveexec_b64 s[6:7], s[0:1]
	s_cbranch_execz .LBB14_47
; %bb.42:                               ;   in Loop: Header=BB14_41 Depth=1
	v_lshlrev_b32_e32 v2, 1, v0
	v_cmp_ge_i32_e64 s[0:1], v2, v0
	s_mov_b64 s[12:13], -1
	s_and_b64 s[0:1], s[4:5], s[0:1]
	v_mov_b32_e32 v5, 0
	s_and_saveexec_b64 s[8:9], s[0:1]
	s_cbranch_execz .LBB14_46
; %bb.43:                               ;   in Loop: Header=BB14_41 Depth=1
	v_and_b32_e32 v5, -4, v1
	s_mov_b32 s16, 0
	s_mov_b64 s[12:13], 0
	v_mov_b32_e32 v2, v4
.LBB14_44:                              ;   Parent Loop BB14_41 Depth=1
                                        ; =>  This Inner Loop Header: Depth=2
	ds_read2_b32 v[6:7], v2 offset1:1
	ds_read2_b32 v[8:9], v2 offset0:2 offset1:3
	v_add_u32_e32 v10, s16, v0
	s_add_i32 s16, s16, 4
	v_ashrrev_i32_e32 v11, 31, v10
	v_cmp_eq_u32_e64 s[0:1], s16, v5
	v_lshlrev_b64 v[10:11], 2, v[10:11]
	v_mov_b32_e32 v3, s35
	s_or_b64 s[12:13], s[0:1], s[12:13]
	v_add_co_u32_e64 v10, s[0:1], s34, v10
	v_add_u32_e32 v2, 16, v2
	v_addc_co_u32_e64 v11, s[0:1], v3, v11, s[0:1]
	s_waitcnt lgkmcnt(0)
	global_store_dwordx4 v[10:11], v[6:9], off
	s_andn2_b64 exec, exec, s[12:13]
	s_cbranch_execnz .LBB14_44
; %bb.45:                               ;   in Loop: Header=BB14_41 Depth=1
	s_or_b64 exec, exec, s[12:13]
	v_cmp_ne_u32_e64 s[0:1], v1, v5
	s_orn2_b64 s[12:13], s[0:1], exec
.LBB14_46:                              ;   in Loop: Header=BB14_41 Depth=1
	s_or_b64 exec, exec, s[8:9]
	s_andn2_b64 s[0:1], vcc, exec
	s_and_b64 s[8:9], s[12:13], exec
	s_or_b64 vcc, s[0:1], s[8:9]
.LBB14_47:                              ;   in Loop: Header=BB14_41 Depth=1
	s_or_b64 exec, exec, s[6:7]
	s_and_saveexec_b64 s[6:7], vcc
	s_cbranch_execz .LBB14_40
; %bb.48:                               ;   in Loop: Header=BB14_41 Depth=1
	v_mad_u64_u32 v[2:3], s[0:1], s33, v5, v[0:1]
	v_mul_lo_u32 v6, s14, v5
	s_mov_b64 s[8:9], 0
.LBB14_49:                              ;   Parent Loop BB14_41 Depth=1
                                        ; =>  This Inner Loop Header: Depth=2
	v_add_u32_e32 v7, v4, v6
	ds_read_b32 v7, v7
	v_ashrrev_i32_e32 v3, 31, v2
	v_add_u32_e32 v5, 1, v5
	v_lshlrev_b64 v[8:9], 2, v[2:3]
	v_mov_b32_e32 v10, s35
	v_cmp_eq_u32_e32 vcc, v1, v5
	v_add_co_u32_e64 v8, s[0:1], s34, v8
	v_add_u32_e32 v6, s14, v6
	v_add_u32_e32 v2, s33, v2
	v_addc_co_u32_e64 v9, s[0:1], v10, v9, s[0:1]
	s_or_b64 s[8:9], vcc, s[8:9]
	s_waitcnt lgkmcnt(0)
	global_store_dword v[8:9], v7, off
	s_andn2_b64 exec, exec, s[8:9]
	s_cbranch_execnz .LBB14_49
	s_branch .LBB14_40
.LBB14_50:
	s_endpgm
	.section	.rodata,"a",@progbits
	.p2align	6, 0x0
	.amdhsa_kernel _ZN9rocsolver6v33100L21larft_kernel_backwardIfPKPfEEv15rocblas_storev_iiT0_iilPT_lS8_il
		.amdhsa_group_segment_fixed_size 0
		.amdhsa_private_segment_fixed_size 0
		.amdhsa_kernarg_size 336
		.amdhsa_user_sgpr_count 6
		.amdhsa_user_sgpr_private_segment_buffer 1
		.amdhsa_user_sgpr_dispatch_ptr 0
		.amdhsa_user_sgpr_queue_ptr 0
		.amdhsa_user_sgpr_kernarg_segment_ptr 1
		.amdhsa_user_sgpr_dispatch_id 0
		.amdhsa_user_sgpr_flat_scratch_init 0
		.amdhsa_user_sgpr_kernarg_preload_length 0
		.amdhsa_user_sgpr_kernarg_preload_offset 0
		.amdhsa_user_sgpr_private_segment_size 0
		.amdhsa_uses_dynamic_stack 0
		.amdhsa_system_sgpr_private_segment_wavefront_offset 0
		.amdhsa_system_sgpr_workgroup_id_x 1
		.amdhsa_system_sgpr_workgroup_id_y 1
		.amdhsa_system_sgpr_workgroup_id_z 0
		.amdhsa_system_sgpr_workgroup_info 0
		.amdhsa_system_vgpr_workitem_id 0
		.amdhsa_next_free_vgpr 13
		.amdhsa_next_free_sgpr 49
		.amdhsa_accum_offset 16
		.amdhsa_reserve_vcc 1
		.amdhsa_reserve_flat_scratch 0
		.amdhsa_float_round_mode_32 0
		.amdhsa_float_round_mode_16_64 0
		.amdhsa_float_denorm_mode_32 3
		.amdhsa_float_denorm_mode_16_64 3
		.amdhsa_dx10_clamp 1
		.amdhsa_ieee_mode 1
		.amdhsa_fp16_overflow 0
		.amdhsa_tg_split 0
		.amdhsa_exception_fp_ieee_invalid_op 0
		.amdhsa_exception_fp_denorm_src 0
		.amdhsa_exception_fp_ieee_div_zero 0
		.amdhsa_exception_fp_ieee_overflow 0
		.amdhsa_exception_fp_ieee_underflow 0
		.amdhsa_exception_fp_ieee_inexact 0
		.amdhsa_exception_int_div_zero 0
	.end_amdhsa_kernel
	.section	.text._ZN9rocsolver6v33100L21larft_kernel_backwardIfPKPfEEv15rocblas_storev_iiT0_iilPT_lS8_il,"axG",@progbits,_ZN9rocsolver6v33100L21larft_kernel_backwardIfPKPfEEv15rocblas_storev_iiT0_iilPT_lS8_il,comdat
.Lfunc_end14:
	.size	_ZN9rocsolver6v33100L21larft_kernel_backwardIfPKPfEEv15rocblas_storev_iiT0_iilPT_lS8_il, .Lfunc_end14-_ZN9rocsolver6v33100L21larft_kernel_backwardIfPKPfEEv15rocblas_storev_iiT0_iilPT_lS8_il
                                        ; -- End function
	.section	.AMDGPU.csdata,"",@progbits
; Kernel info:
; codeLenInByte = 1984
; NumSgprs: 53
; NumVgprs: 13
; NumAgprs: 0
; TotalNumVgprs: 13
; ScratchSize: 0
; MemoryBound: 0
; FloatMode: 240
; IeeeMode: 1
; LDSByteSize: 0 bytes/workgroup (compile time only)
; SGPRBlocks: 6
; VGPRBlocks: 1
; NumSGPRsForWavesPerEU: 53
; NumVGPRsForWavesPerEU: 13
; AccumOffset: 16
; Occupancy: 8
; WaveLimiterHint : 0
; COMPUTE_PGM_RSRC2:SCRATCH_EN: 0
; COMPUTE_PGM_RSRC2:USER_SGPR: 6
; COMPUTE_PGM_RSRC2:TRAP_HANDLER: 0
; COMPUTE_PGM_RSRC2:TGID_X_EN: 1
; COMPUTE_PGM_RSRC2:TGID_Y_EN: 1
; COMPUTE_PGM_RSRC2:TGID_Z_EN: 0
; COMPUTE_PGM_RSRC2:TIDIG_COMP_CNT: 0
; COMPUTE_PGM_RSRC3_GFX90A:ACCUM_OFFSET: 3
; COMPUTE_PGM_RSRC3_GFX90A:TG_SPLIT: 0
	.section	.text._ZN9rocsolver6v33100L9copymatA1IfPKPfEEviiT0_iilPT_,"axG",@progbits,_ZN9rocsolver6v33100L9copymatA1IfPKPfEEviiT0_iilPT_,comdat
	.globl	_ZN9rocsolver6v33100L9copymatA1IfPKPfEEviiT0_iilPT_ ; -- Begin function _ZN9rocsolver6v33100L9copymatA1IfPKPfEEviiT0_iilPT_
	.p2align	8
	.type	_ZN9rocsolver6v33100L9copymatA1IfPKPfEEviiT0_iilPT_,@function
_ZN9rocsolver6v33100L9copymatA1IfPKPfEEviiT0_iilPT_: ; @_ZN9rocsolver6v33100L9copymatA1IfPKPfEEviiT0_iilPT_
; %bb.0:
	s_load_dword s0, s[4:5], 0x34
	s_load_dwordx2 s[2:3], s[4:5], 0x0
	v_and_b32_e32 v1, 0x3ff, v0
	v_bfe_u32 v0, v0, 10, 10
	s_waitcnt lgkmcnt(0)
	s_lshr_b32 s1, s0, 16
	s_and_b32 s0, s0, 0xffff
	s_mul_i32 s6, s6, s0
	s_mul_i32 s7, s7, s1
	v_add_u32_e32 v1, s6, v1
	v_add_u32_e32 v0, s7, v0
	v_cmp_gt_u32_e32 vcc, s2, v0
	v_cmp_gt_u32_e64 s[0:1], s3, v1
	s_and_b64 s[0:1], s[0:1], vcc
	s_and_saveexec_b64 s[6:7], s[0:1]
	s_cbranch_execz .LBB15_2
; %bb.1:
	s_load_dwordx4 s[12:15], s[4:5], 0x8
	s_load_dwordx2 s[0:1], s[4:5], 0x20
	s_ashr_i32 s4, s2, 31
	s_mul_hi_u32 s6, s2, s8
	s_mul_i32 s4, s4, s8
	s_ashr_i32 s5, s3, 31
	s_add_i32 s4, s6, s4
	s_mul_i32 s6, s2, s8
	s_mul_i32 s5, s6, s5
	s_mul_hi_u32 s7, s6, s3
	s_add_i32 s5, s7, s5
	s_mul_i32 s4, s4, s3
	s_add_i32 s5, s5, s4
	s_mul_i32 s4, s6, s3
	s_lshl_b64 s[4:5], s[4:5], 2
	s_mov_b32 s9, 0
	s_waitcnt lgkmcnt(0)
	s_add_u32 s3, s0, s4
	s_addc_u32 s6, s1, s5
	s_ashr_i32 s1, s14, 31
	s_lshl_b64 s[4:5], s[8:9], 3
	s_add_u32 s4, s12, s4
	s_addc_u32 s5, s13, s5
	s_load_dwordx2 s[4:5], s[4:5], 0x0
	s_mov_b32 s0, s14
	s_lshl_b64 s[0:1], s[0:1], 2
	s_waitcnt lgkmcnt(0)
	s_add_u32 s4, s4, s0
	s_addc_u32 s5, s5, s1
	v_mad_u64_u32 v[2:3], s[0:1], v1, s15, v[0:1]
	v_mov_b32_e32 v3, 0
	v_lshlrev_b64 v[4:5], 2, v[2:3]
	v_mov_b32_e32 v2, s5
	v_add_co_u32_e32 v4, vcc, s4, v4
	v_addc_co_u32_e32 v5, vcc, v2, v5, vcc
	global_load_dword v2, v[4:5], off
	v_mad_u64_u32 v[0:1], s[0:1], v1, s2, v[0:1]
	v_mov_b32_e32 v1, v3
	v_lshlrev_b64 v[0:1], 2, v[0:1]
	v_mov_b32_e32 v3, s6
	v_add_co_u32_e32 v0, vcc, s3, v0
	v_addc_co_u32_e32 v1, vcc, v3, v1, vcc
	s_waitcnt vmcnt(0)
	global_store_dword v[0:1], v2, off
.LBB15_2:
	s_endpgm
	.section	.rodata,"a",@progbits
	.p2align	6, 0x0
	.amdhsa_kernel _ZN9rocsolver6v33100L9copymatA1IfPKPfEEviiT0_iilPT_
		.amdhsa_group_segment_fixed_size 0
		.amdhsa_private_segment_fixed_size 0
		.amdhsa_kernarg_size 296
		.amdhsa_user_sgpr_count 6
		.amdhsa_user_sgpr_private_segment_buffer 1
		.amdhsa_user_sgpr_dispatch_ptr 0
		.amdhsa_user_sgpr_queue_ptr 0
		.amdhsa_user_sgpr_kernarg_segment_ptr 1
		.amdhsa_user_sgpr_dispatch_id 0
		.amdhsa_user_sgpr_flat_scratch_init 0
		.amdhsa_user_sgpr_kernarg_preload_length 0
		.amdhsa_user_sgpr_kernarg_preload_offset 0
		.amdhsa_user_sgpr_private_segment_size 0
		.amdhsa_uses_dynamic_stack 0
		.amdhsa_system_sgpr_private_segment_wavefront_offset 0
		.amdhsa_system_sgpr_workgroup_id_x 1
		.amdhsa_system_sgpr_workgroup_id_y 1
		.amdhsa_system_sgpr_workgroup_id_z 1
		.amdhsa_system_sgpr_workgroup_info 0
		.amdhsa_system_vgpr_workitem_id 1
		.amdhsa_next_free_vgpr 6
		.amdhsa_next_free_sgpr 16
		.amdhsa_accum_offset 8
		.amdhsa_reserve_vcc 1
		.amdhsa_reserve_flat_scratch 0
		.amdhsa_float_round_mode_32 0
		.amdhsa_float_round_mode_16_64 0
		.amdhsa_float_denorm_mode_32 3
		.amdhsa_float_denorm_mode_16_64 3
		.amdhsa_dx10_clamp 1
		.amdhsa_ieee_mode 1
		.amdhsa_fp16_overflow 0
		.amdhsa_tg_split 0
		.amdhsa_exception_fp_ieee_invalid_op 0
		.amdhsa_exception_fp_denorm_src 0
		.amdhsa_exception_fp_ieee_div_zero 0
		.amdhsa_exception_fp_ieee_overflow 0
		.amdhsa_exception_fp_ieee_underflow 0
		.amdhsa_exception_fp_ieee_inexact 0
		.amdhsa_exception_int_div_zero 0
	.end_amdhsa_kernel
	.section	.text._ZN9rocsolver6v33100L9copymatA1IfPKPfEEviiT0_iilPT_,"axG",@progbits,_ZN9rocsolver6v33100L9copymatA1IfPKPfEEviiT0_iilPT_,comdat
.Lfunc_end15:
	.size	_ZN9rocsolver6v33100L9copymatA1IfPKPfEEviiT0_iilPT_, .Lfunc_end15-_ZN9rocsolver6v33100L9copymatA1IfPKPfEEviiT0_iilPT_
                                        ; -- End function
	.section	.AMDGPU.csdata,"",@progbits
; Kernel info:
; codeLenInByte = 304
; NumSgprs: 20
; NumVgprs: 6
; NumAgprs: 0
; TotalNumVgprs: 6
; ScratchSize: 0
; MemoryBound: 0
; FloatMode: 240
; IeeeMode: 1
; LDSByteSize: 0 bytes/workgroup (compile time only)
; SGPRBlocks: 2
; VGPRBlocks: 0
; NumSGPRsForWavesPerEU: 20
; NumVGPRsForWavesPerEU: 6
; AccumOffset: 8
; Occupancy: 8
; WaveLimiterHint : 1
; COMPUTE_PGM_RSRC2:SCRATCH_EN: 0
; COMPUTE_PGM_RSRC2:USER_SGPR: 6
; COMPUTE_PGM_RSRC2:TRAP_HANDLER: 0
; COMPUTE_PGM_RSRC2:TGID_X_EN: 1
; COMPUTE_PGM_RSRC2:TGID_Y_EN: 1
; COMPUTE_PGM_RSRC2:TGID_Z_EN: 1
; COMPUTE_PGM_RSRC2:TIDIG_COMP_CNT: 1
; COMPUTE_PGM_RSRC3_GFX90A:ACCUM_OFFSET: 1
; COMPUTE_PGM_RSRC3_GFX90A:TG_SPLIT: 0
	.section	.text._ZN9rocsolver6v33100L8addmatA1IfPKPfEEviiT0_iilPT_,"axG",@progbits,_ZN9rocsolver6v33100L8addmatA1IfPKPfEEviiT0_iilPT_,comdat
	.globl	_ZN9rocsolver6v33100L8addmatA1IfPKPfEEviiT0_iilPT_ ; -- Begin function _ZN9rocsolver6v33100L8addmatA1IfPKPfEEviiT0_iilPT_
	.p2align	8
	.type	_ZN9rocsolver6v33100L8addmatA1IfPKPfEEviiT0_iilPT_,@function
_ZN9rocsolver6v33100L8addmatA1IfPKPfEEviiT0_iilPT_: ; @_ZN9rocsolver6v33100L8addmatA1IfPKPfEEviiT0_iilPT_
; %bb.0:
	s_load_dword s0, s[4:5], 0x34
	s_load_dwordx2 s[10:11], s[4:5], 0x0
	v_and_b32_e32 v1, 0x3ff, v0
	v_bfe_u32 v0, v0, 10, 10
	s_waitcnt lgkmcnt(0)
	s_lshr_b32 s1, s0, 16
	s_and_b32 s0, s0, 0xffff
	s_mul_i32 s6, s6, s0
	s_mul_i32 s7, s7, s1
	v_add_u32_e32 v1, s6, v1
	v_add_u32_e32 v0, s7, v0
	v_cmp_gt_u32_e32 vcc, s10, v0
	v_cmp_gt_u32_e64 s[0:1], s11, v1
	s_and_b64 s[0:1], s[0:1], vcc
	s_and_saveexec_b64 s[2:3], s[0:1]
	s_cbranch_execz .LBB16_2
; %bb.1:
	s_load_dwordx4 s[0:3], s[4:5], 0x8
	s_load_dwordx2 s[6:7], s[4:5], 0x20
	s_ashr_i32 s4, s10, 31
	s_mul_hi_u32 s12, s10, s8
	s_mul_i32 s4, s4, s8
	s_ashr_i32 s5, s11, 31
	s_add_i32 s4, s12, s4
	s_mul_i32 s12, s10, s8
	s_mul_i32 s5, s12, s5
	s_mul_hi_u32 s13, s12, s11
	s_add_i32 s5, s13, s5
	s_mul_i32 s4, s4, s11
	s_add_i32 s5, s5, s4
	s_mul_i32 s4, s12, s11
	s_lshl_b64 s[4:5], s[4:5], 2
	s_mov_b32 s9, 0
	s_waitcnt lgkmcnt(0)
	s_add_u32 s11, s6, s4
	s_addc_u32 s12, s7, s5
	s_ashr_i32 s5, s2, 31
	s_lshl_b64 s[6:7], s[8:9], 3
	s_add_u32 s0, s0, s6
	s_addc_u32 s1, s1, s7
	s_load_dwordx2 s[0:1], s[0:1], 0x0
	s_mov_b32 s4, s2
	s_lshl_b64 s[4:5], s[4:5], 2
	s_waitcnt lgkmcnt(0)
	s_add_u32 s2, s0, s4
	s_addc_u32 s4, s1, s5
	v_mad_u64_u32 v[2:3], s[0:1], v1, s10, v[0:1]
	v_mov_b32_e32 v3, 0
	v_lshlrev_b64 v[4:5], 2, v[2:3]
	v_mad_u64_u32 v[0:1], s[0:1], v1, s3, v[0:1]
	v_mov_b32_e32 v2, s12
	v_add_co_u32_e32 v4, vcc, s11, v4
	v_mov_b32_e32 v1, v3
	v_addc_co_u32_e32 v5, vcc, v2, v5, vcc
	v_lshlrev_b64 v[0:1], 2, v[0:1]
	v_mov_b32_e32 v3, s4
	v_add_co_u32_e32 v0, vcc, s2, v0
	v_addc_co_u32_e32 v1, vcc, v3, v1, vcc
	global_load_dword v2, v[4:5], off
	global_load_dword v3, v[0:1], off
	s_waitcnt vmcnt(0)
	v_sub_f32_e32 v2, v3, v2
	global_store_dword v[0:1], v2, off
.LBB16_2:
	s_endpgm
	.section	.rodata,"a",@progbits
	.p2align	6, 0x0
	.amdhsa_kernel _ZN9rocsolver6v33100L8addmatA1IfPKPfEEviiT0_iilPT_
		.amdhsa_group_segment_fixed_size 0
		.amdhsa_private_segment_fixed_size 0
		.amdhsa_kernarg_size 296
		.amdhsa_user_sgpr_count 6
		.amdhsa_user_sgpr_private_segment_buffer 1
		.amdhsa_user_sgpr_dispatch_ptr 0
		.amdhsa_user_sgpr_queue_ptr 0
		.amdhsa_user_sgpr_kernarg_segment_ptr 1
		.amdhsa_user_sgpr_dispatch_id 0
		.amdhsa_user_sgpr_flat_scratch_init 0
		.amdhsa_user_sgpr_kernarg_preload_length 0
		.amdhsa_user_sgpr_kernarg_preload_offset 0
		.amdhsa_user_sgpr_private_segment_size 0
		.amdhsa_uses_dynamic_stack 0
		.amdhsa_system_sgpr_private_segment_wavefront_offset 0
		.amdhsa_system_sgpr_workgroup_id_x 1
		.amdhsa_system_sgpr_workgroup_id_y 1
		.amdhsa_system_sgpr_workgroup_id_z 1
		.amdhsa_system_sgpr_workgroup_info 0
		.amdhsa_system_vgpr_workitem_id 1
		.amdhsa_next_free_vgpr 6
		.amdhsa_next_free_sgpr 14
		.amdhsa_accum_offset 8
		.amdhsa_reserve_vcc 1
		.amdhsa_reserve_flat_scratch 0
		.amdhsa_float_round_mode_32 0
		.amdhsa_float_round_mode_16_64 0
		.amdhsa_float_denorm_mode_32 3
		.amdhsa_float_denorm_mode_16_64 3
		.amdhsa_dx10_clamp 1
		.amdhsa_ieee_mode 1
		.amdhsa_fp16_overflow 0
		.amdhsa_tg_split 0
		.amdhsa_exception_fp_ieee_invalid_op 0
		.amdhsa_exception_fp_denorm_src 0
		.amdhsa_exception_fp_ieee_div_zero 0
		.amdhsa_exception_fp_ieee_overflow 0
		.amdhsa_exception_fp_ieee_underflow 0
		.amdhsa_exception_fp_ieee_inexact 0
		.amdhsa_exception_int_div_zero 0
	.end_amdhsa_kernel
	.section	.text._ZN9rocsolver6v33100L8addmatA1IfPKPfEEviiT0_iilPT_,"axG",@progbits,_ZN9rocsolver6v33100L8addmatA1IfPKPfEEviiT0_iilPT_,comdat
.Lfunc_end16:
	.size	_ZN9rocsolver6v33100L8addmatA1IfPKPfEEviiT0_iilPT_, .Lfunc_end16-_ZN9rocsolver6v33100L8addmatA1IfPKPfEEviiT0_iilPT_
                                        ; -- End function
	.section	.AMDGPU.csdata,"",@progbits
; Kernel info:
; codeLenInByte = 316
; NumSgprs: 18
; NumVgprs: 6
; NumAgprs: 0
; TotalNumVgprs: 6
; ScratchSize: 0
; MemoryBound: 0
; FloatMode: 240
; IeeeMode: 1
; LDSByteSize: 0 bytes/workgroup (compile time only)
; SGPRBlocks: 2
; VGPRBlocks: 0
; NumSGPRsForWavesPerEU: 18
; NumVGPRsForWavesPerEU: 6
; AccumOffset: 8
; Occupancy: 8
; WaveLimiterHint : 1
; COMPUTE_PGM_RSRC2:SCRATCH_EN: 0
; COMPUTE_PGM_RSRC2:USER_SGPR: 6
; COMPUTE_PGM_RSRC2:TRAP_HANDLER: 0
; COMPUTE_PGM_RSRC2:TGID_X_EN: 1
; COMPUTE_PGM_RSRC2:TGID_Y_EN: 1
; COMPUTE_PGM_RSRC2:TGID_Z_EN: 1
; COMPUTE_PGM_RSRC2:TIDIG_COMP_CNT: 1
; COMPUTE_PGM_RSRC3_GFX90A:ACCUM_OFFSET: 1
; COMPUTE_PGM_RSRC3_GFX90A:TG_SPLIT: 0
	.section	.text._ZN9rocsolver6v33100L8set_zeroIfPKPfEEviiT0_iil13rocblas_fill_,"axG",@progbits,_ZN9rocsolver6v33100L8set_zeroIfPKPfEEviiT0_iil13rocblas_fill_,comdat
	.globl	_ZN9rocsolver6v33100L8set_zeroIfPKPfEEviiT0_iil13rocblas_fill_ ; -- Begin function _ZN9rocsolver6v33100L8set_zeroIfPKPfEEviiT0_iil13rocblas_fill_
	.p2align	8
	.type	_ZN9rocsolver6v33100L8set_zeroIfPKPfEEviiT0_iil13rocblas_fill_,@function
_ZN9rocsolver6v33100L8set_zeroIfPKPfEEviiT0_iil13rocblas_fill_: ; @_ZN9rocsolver6v33100L8set_zeroIfPKPfEEviiT0_iil13rocblas_fill_
; %bb.0:
	s_load_dword s2, s[4:5], 0x34
	s_load_dwordx2 s[0:1], s[4:5], 0x0
	v_and_b32_e32 v1, 0x3ff, v0
	v_bfe_u32 v0, v0, 10, 10
	s_waitcnt lgkmcnt(0)
	s_lshr_b32 s3, s2, 16
	s_and_b32 s2, s2, 0xffff
	s_mul_i32 s6, s6, s2
	s_mul_i32 s7, s7, s3
	v_add_u32_e32 v2, s6, v1
	v_add_u32_e32 v0, s7, v0
	v_cmp_gt_u32_e32 vcc, s0, v2
	v_cmp_gt_u32_e64 s[0:1], s1, v0
	s_and_b64 s[0:1], vcc, s[0:1]
	s_and_saveexec_b64 s[2:3], s[0:1]
	s_cbranch_execz .LBB17_12
; %bb.1:
	s_load_dword s6, s[4:5], 0x20
	s_waitcnt lgkmcnt(0)
	s_cmpk_lt_i32 s6, 0x7a
	s_cbranch_scc1 .LBB17_4
; %bb.2:
	s_cmpk_gt_i32 s6, 0x7a
	s_cbranch_scc0 .LBB17_5
; %bb.3:
	s_cmpk_eq_i32 s6, 0x7b
	s_cselect_b64 s[0:1], -1, 0
	s_cbranch_execz .LBB17_6
	s_branch .LBB17_7
.LBB17_4:
	s_mov_b64 s[0:1], 0
	s_cbranch_execnz .LBB17_8
	s_branch .LBB17_10
.LBB17_5:
	s_mov_b64 s[0:1], 0
.LBB17_6:
	v_cmp_gt_u32_e32 vcc, v0, v2
	s_andn2_b64 s[0:1], s[0:1], exec
	s_and_b64 s[2:3], vcc, exec
	s_or_b64 s[0:1], s[0:1], s[2:3]
.LBB17_7:
	s_branch .LBB17_10
.LBB17_8:
	s_cmpk_eq_i32 s6, 0x79
	s_cbranch_scc0 .LBB17_10
; %bb.9:
	v_cmp_gt_u32_e32 vcc, v2, v0
	s_andn2_b64 s[0:1], s[0:1], exec
	s_and_b64 s[2:3], vcc, exec
	s_or_b64 s[0:1], s[0:1], s[2:3]
.LBB17_10:
	s_and_b64 exec, exec, s[0:1]
	s_cbranch_execz .LBB17_12
; %bb.11:
	s_load_dwordx4 s[0:3], s[4:5], 0x8
	s_mov_b32 s9, 0
	s_lshl_b64 s[4:5], s[8:9], 3
	s_waitcnt lgkmcnt(0)
	s_ashr_i32 s7, s2, 31
	s_add_u32 s0, s0, s4
	s_addc_u32 s1, s1, s5
	s_load_dwordx2 s[0:1], s[0:1], 0x0
	s_mov_b32 s6, s2
	v_mad_u64_u32 v[0:1], s[2:3], v0, s3, v[2:3]
	s_lshl_b64 s[2:3], s[6:7], 2
	v_mov_b32_e32 v1, 0
	s_waitcnt lgkmcnt(0)
	s_add_u32 s0, s0, s2
	v_lshlrev_b64 v[2:3], 2, v[0:1]
	s_addc_u32 s1, s1, s3
	v_mov_b32_e32 v0, s1
	v_add_co_u32_e32 v2, vcc, s0, v2
	v_addc_co_u32_e32 v3, vcc, v0, v3, vcc
	global_store_dword v[2:3], v1, off
.LBB17_12:
	s_endpgm
	.section	.rodata,"a",@progbits
	.p2align	6, 0x0
	.amdhsa_kernel _ZN9rocsolver6v33100L8set_zeroIfPKPfEEviiT0_iil13rocblas_fill_
		.amdhsa_group_segment_fixed_size 0
		.amdhsa_private_segment_fixed_size 0
		.amdhsa_kernarg_size 296
		.amdhsa_user_sgpr_count 6
		.amdhsa_user_sgpr_private_segment_buffer 1
		.amdhsa_user_sgpr_dispatch_ptr 0
		.amdhsa_user_sgpr_queue_ptr 0
		.amdhsa_user_sgpr_kernarg_segment_ptr 1
		.amdhsa_user_sgpr_dispatch_id 0
		.amdhsa_user_sgpr_flat_scratch_init 0
		.amdhsa_user_sgpr_kernarg_preload_length 0
		.amdhsa_user_sgpr_kernarg_preload_offset 0
		.amdhsa_user_sgpr_private_segment_size 0
		.amdhsa_uses_dynamic_stack 0
		.amdhsa_system_sgpr_private_segment_wavefront_offset 0
		.amdhsa_system_sgpr_workgroup_id_x 1
		.amdhsa_system_sgpr_workgroup_id_y 1
		.amdhsa_system_sgpr_workgroup_id_z 1
		.amdhsa_system_sgpr_workgroup_info 0
		.amdhsa_system_vgpr_workitem_id 1
		.amdhsa_next_free_vgpr 4
		.amdhsa_next_free_sgpr 10
		.amdhsa_accum_offset 4
		.amdhsa_reserve_vcc 1
		.amdhsa_reserve_flat_scratch 0
		.amdhsa_float_round_mode_32 0
		.amdhsa_float_round_mode_16_64 0
		.amdhsa_float_denorm_mode_32 3
		.amdhsa_float_denorm_mode_16_64 3
		.amdhsa_dx10_clamp 1
		.amdhsa_ieee_mode 1
		.amdhsa_fp16_overflow 0
		.amdhsa_tg_split 0
		.amdhsa_exception_fp_ieee_invalid_op 0
		.amdhsa_exception_fp_denorm_src 0
		.amdhsa_exception_fp_ieee_div_zero 0
		.amdhsa_exception_fp_ieee_overflow 0
		.amdhsa_exception_fp_ieee_underflow 0
		.amdhsa_exception_fp_ieee_inexact 0
		.amdhsa_exception_int_div_zero 0
	.end_amdhsa_kernel
	.section	.text._ZN9rocsolver6v33100L8set_zeroIfPKPfEEviiT0_iil13rocblas_fill_,"axG",@progbits,_ZN9rocsolver6v33100L8set_zeroIfPKPfEEviiT0_iil13rocblas_fill_,comdat
.Lfunc_end17:
	.size	_ZN9rocsolver6v33100L8set_zeroIfPKPfEEviiT0_iil13rocblas_fill_, .Lfunc_end17-_ZN9rocsolver6v33100L8set_zeroIfPKPfEEviiT0_iil13rocblas_fill_
                                        ; -- End function
	.section	.AMDGPU.csdata,"",@progbits
; Kernel info:
; codeLenInByte = 304
; NumSgprs: 14
; NumVgprs: 4
; NumAgprs: 0
; TotalNumVgprs: 4
; ScratchSize: 0
; MemoryBound: 0
; FloatMode: 240
; IeeeMode: 1
; LDSByteSize: 0 bytes/workgroup (compile time only)
; SGPRBlocks: 1
; VGPRBlocks: 0
; NumSGPRsForWavesPerEU: 14
; NumVGPRsForWavesPerEU: 4
; AccumOffset: 4
; Occupancy: 8
; WaveLimiterHint : 1
; COMPUTE_PGM_RSRC2:SCRATCH_EN: 0
; COMPUTE_PGM_RSRC2:USER_SGPR: 6
; COMPUTE_PGM_RSRC2:TRAP_HANDLER: 0
; COMPUTE_PGM_RSRC2:TGID_X_EN: 1
; COMPUTE_PGM_RSRC2:TGID_Y_EN: 1
; COMPUTE_PGM_RSRC2:TGID_Z_EN: 1
; COMPUTE_PGM_RSRC2:TIDIG_COMP_CNT: 1
; COMPUTE_PGM_RSRC3_GFX90A:ACCUM_OFFSET: 0
; COMPUTE_PGM_RSRC3_GFX90A:TG_SPLIT: 0
	.section	.text._ZN9rocsolver6v33100L16org2r_init_identIfPKPfEEviiiT0_iil,"axG",@progbits,_ZN9rocsolver6v33100L16org2r_init_identIfPKPfEEviiiT0_iil,comdat
	.globl	_ZN9rocsolver6v33100L16org2r_init_identIfPKPfEEviiiT0_iil ; -- Begin function _ZN9rocsolver6v33100L16org2r_init_identIfPKPfEEviiiT0_iil
	.p2align	8
	.type	_ZN9rocsolver6v33100L16org2r_init_identIfPKPfEEviiiT0_iil,@function
_ZN9rocsolver6v33100L16org2r_init_identIfPKPfEEviiiT0_iil: ; @_ZN9rocsolver6v33100L16org2r_init_identIfPKPfEEviiiT0_iil
; %bb.0:
	s_load_dword s0, s[4:5], 0x34
	s_load_dwordx4 s[12:15], s[4:5], 0x0
	v_bfe_u32 v1, v0, 10, 10
	v_and_b32_e32 v0, 0x3ff, v0
	s_waitcnt lgkmcnt(0)
	s_lshr_b32 s1, s0, 16
	s_and_b32 s0, s0, 0xffff
	s_mul_i32 s7, s7, s1
	s_mul_i32 s6, s6, s0
	v_add_u32_e32 v2, s7, v1
	v_add_u32_e32 v4, s6, v0
	v_cmp_gt_u32_e32 vcc, s12, v4
	v_cmp_gt_u32_e64 s[0:1], s13, v2
	s_and_b64 s[0:1], vcc, s[0:1]
	s_and_saveexec_b64 s[2:3], s[0:1]
	s_cbranch_execz .LBB18_5
; %bb.1:
	s_load_dwordx4 s[0:3], s[4:5], 0x10
	s_mov_b32 s9, 0
	s_lshl_b64 s[4:5], s[8:9], 3
	v_cmp_ne_u32_e32 vcc, v4, v2
	s_mov_b64 s[6:7], 0
	s_waitcnt lgkmcnt(0)
	s_add_u32 s0, s0, s4
	s_addc_u32 s1, s1, s5
	s_load_dwordx2 s[0:1], s[0:1], 0x0
                                        ; implicit-def: $vgpr3
                                        ; implicit-def: $vgpr0
	s_and_saveexec_b64 s[4:5], vcc
	s_xor_b64 s[4:5], exec, s[4:5]
	s_cbranch_execnz .LBB18_6
; %bb.2:
	s_andn2_saveexec_b64 s[4:5], s[4:5]
	s_cbranch_execnz .LBB18_13
.LBB18_3:
	s_or_b64 exec, exec, s[4:5]
	s_and_b64 exec, exec, s[6:7]
	s_cbranch_execz .LBB18_5
.LBB18_4:
	s_ashr_i32 s3, s2, 31
	s_lshl_b64 s[2:3], s[2:3], 2
	s_waitcnt lgkmcnt(0)
	s_add_u32 s0, s0, s2
	v_mov_b32_e32 v1, 0
	s_addc_u32 s1, s1, s3
	v_lshlrev_b64 v[0:1], 2, v[0:1]
	v_mov_b32_e32 v2, s1
	v_add_co_u32_e32 v0, vcc, s0, v0
	v_addc_co_u32_e32 v1, vcc, v2, v1, vcc
	global_store_dword v[0:1], v3, off
.LBB18_5:
	s_endpgm
.LBB18_6:
	v_cmp_le_u32_e32 vcc, v2, v4
                                        ; implicit-def: $sgpr12
                                        ; implicit-def: $vgpr0
	s_and_saveexec_b64 s[8:9], vcc
	s_xor_b64 s[8:9], exec, s[8:9]
	s_cbranch_execz .LBB18_10
; %bb.7:
	v_cmp_le_u32_e32 vcc, s14, v2
                                        ; implicit-def: $sgpr12
                                        ; implicit-def: $vgpr0
	s_and_saveexec_b64 s[10:11], vcc
	s_xor_b64 s[10:11], exec, s[10:11]
; %bb.8:
	v_mad_u64_u32 v[0:1], s[12:13], v2, s3, v[4:5]
	s_mov_b64 s[6:7], exec
	s_mov_b32 s12, 0
; %bb.9:
	s_or_b64 exec, exec, s[10:11]
	s_and_b64 s[6:7], s[6:7], exec
                                        ; implicit-def: $vgpr4
                                        ; implicit-def: $vgpr2
.LBB18_10:
	s_or_saveexec_b64 s[8:9], s[8:9]
	v_mov_b32_e32 v3, s12
	s_xor_b64 exec, exec, s[8:9]
; %bb.11:
	v_mad_u64_u32 v[0:1], s[10:11], v2, s3, v[4:5]
	v_mov_b32_e32 v3, 0
	s_or_b64 s[6:7], s[6:7], exec
; %bb.12:
	s_or_b64 exec, exec, s[8:9]
	s_and_b64 s[6:7], s[6:7], exec
                                        ; implicit-def: $vgpr2
	s_andn2_saveexec_b64 s[4:5], s[4:5]
	s_cbranch_execz .LBB18_3
.LBB18_13:
	v_mad_u64_u32 v[0:1], s[8:9], v2, s3, v[2:3]
	v_mov_b32_e32 v3, 1.0
	s_or_b64 s[6:7], s[6:7], exec
	s_or_b64 exec, exec, s[4:5]
	s_and_b64 exec, exec, s[6:7]
	s_cbranch_execnz .LBB18_4
	s_branch .LBB18_5
	.section	.rodata,"a",@progbits
	.p2align	6, 0x0
	.amdhsa_kernel _ZN9rocsolver6v33100L16org2r_init_identIfPKPfEEviiiT0_iil
		.amdhsa_group_segment_fixed_size 0
		.amdhsa_private_segment_fixed_size 0
		.amdhsa_kernarg_size 296
		.amdhsa_user_sgpr_count 6
		.amdhsa_user_sgpr_private_segment_buffer 1
		.amdhsa_user_sgpr_dispatch_ptr 0
		.amdhsa_user_sgpr_queue_ptr 0
		.amdhsa_user_sgpr_kernarg_segment_ptr 1
		.amdhsa_user_sgpr_dispatch_id 0
		.amdhsa_user_sgpr_flat_scratch_init 0
		.amdhsa_user_sgpr_kernarg_preload_length 0
		.amdhsa_user_sgpr_kernarg_preload_offset 0
		.amdhsa_user_sgpr_private_segment_size 0
		.amdhsa_uses_dynamic_stack 0
		.amdhsa_system_sgpr_private_segment_wavefront_offset 0
		.amdhsa_system_sgpr_workgroup_id_x 1
		.amdhsa_system_sgpr_workgroup_id_y 1
		.amdhsa_system_sgpr_workgroup_id_z 1
		.amdhsa_system_sgpr_workgroup_info 0
		.amdhsa_system_vgpr_workitem_id 1
		.amdhsa_next_free_vgpr 6
		.amdhsa_next_free_sgpr 16
		.amdhsa_accum_offset 8
		.amdhsa_reserve_vcc 1
		.amdhsa_reserve_flat_scratch 0
		.amdhsa_float_round_mode_32 0
		.amdhsa_float_round_mode_16_64 0
		.amdhsa_float_denorm_mode_32 3
		.amdhsa_float_denorm_mode_16_64 3
		.amdhsa_dx10_clamp 1
		.amdhsa_ieee_mode 1
		.amdhsa_fp16_overflow 0
		.amdhsa_tg_split 0
		.amdhsa_exception_fp_ieee_invalid_op 0
		.amdhsa_exception_fp_denorm_src 0
		.amdhsa_exception_fp_ieee_div_zero 0
		.amdhsa_exception_fp_ieee_overflow 0
		.amdhsa_exception_fp_ieee_underflow 0
		.amdhsa_exception_fp_ieee_inexact 0
		.amdhsa_exception_int_div_zero 0
	.end_amdhsa_kernel
	.section	.text._ZN9rocsolver6v33100L16org2r_init_identIfPKPfEEviiiT0_iil,"axG",@progbits,_ZN9rocsolver6v33100L16org2r_init_identIfPKPfEEviiiT0_iil,comdat
.Lfunc_end18:
	.size	_ZN9rocsolver6v33100L16org2r_init_identIfPKPfEEviiiT0_iil, .Lfunc_end18-_ZN9rocsolver6v33100L16org2r_init_identIfPKPfEEviiiT0_iil
                                        ; -- End function
	.section	.AMDGPU.csdata,"",@progbits
; Kernel info:
; codeLenInByte = 348
; NumSgprs: 20
; NumVgprs: 6
; NumAgprs: 0
; TotalNumVgprs: 6
; ScratchSize: 0
; MemoryBound: 0
; FloatMode: 240
; IeeeMode: 1
; LDSByteSize: 0 bytes/workgroup (compile time only)
; SGPRBlocks: 2
; VGPRBlocks: 0
; NumSGPRsForWavesPerEU: 20
; NumVGPRsForWavesPerEU: 6
; AccumOffset: 8
; Occupancy: 8
; WaveLimiterHint : 1
; COMPUTE_PGM_RSRC2:SCRATCH_EN: 0
; COMPUTE_PGM_RSRC2:USER_SGPR: 6
; COMPUTE_PGM_RSRC2:TRAP_HANDLER: 0
; COMPUTE_PGM_RSRC2:TGID_X_EN: 1
; COMPUTE_PGM_RSRC2:TGID_Y_EN: 1
; COMPUTE_PGM_RSRC2:TGID_Z_EN: 1
; COMPUTE_PGM_RSRC2:TIDIG_COMP_CNT: 1
; COMPUTE_PGM_RSRC3_GFX90A:ACCUM_OFFSET: 1
; COMPUTE_PGM_RSRC3_GFX90A:TG_SPLIT: 0
	.section	.text._ZN9rocsolver6v33100L12subtract_tauIfPKPfEEviiT0_iilPT_l,"axG",@progbits,_ZN9rocsolver6v33100L12subtract_tauIfPKPfEEviiT0_iilPT_l,comdat
	.globl	_ZN9rocsolver6v33100L12subtract_tauIfPKPfEEviiT0_iilPT_l ; -- Begin function _ZN9rocsolver6v33100L12subtract_tauIfPKPfEEviiT0_iilPT_l
	.p2align	8
	.type	_ZN9rocsolver6v33100L12subtract_tauIfPKPfEEviiT0_iilPT_l,@function
_ZN9rocsolver6v33100L12subtract_tauIfPKPfEEviiT0_iilPT_l: ; @_ZN9rocsolver6v33100L12subtract_tauIfPKPfEEviiT0_iilPT_l
; %bb.0:
	s_load_dwordx2 s[12:13], s[4:5], 0x10
	s_load_dwordx4 s[0:3], s[4:5], 0x0
	s_mov_b32 s7, 0
	s_load_dwordx4 s[8:11], s[4:5], 0x20
	s_lshl_b64 s[14:15], s[6:7], 3
	s_waitcnt lgkmcnt(0)
	s_ashr_i32 s5, s12, 31
	s_add_u32 s2, s2, s14
	s_addc_u32 s3, s3, s15
	s_load_dwordx2 s[2:3], s[2:3], 0x0
	s_mov_b32 s4, s12
	s_lshl_b64 s[4:5], s[4:5], 2
	s_mul_i32 s7, s6, s11
	s_mul_i32 s1, s13, s1
	s_waitcnt lgkmcnt(0)
	s_add_u32 s4, s2, s4
	s_mul_hi_u32 s2, s6, s10
	s_addc_u32 s5, s3, s5
	s_add_i32 s3, s2, s7
	s_mul_i32 s2, s6, s10
	s_lshl_b64 s[2:3], s[2:3], 2
	s_add_u32 s2, s8, s2
	s_addc_u32 s3, s9, s3
	s_load_dword s6, s[2:3], 0x0
	s_add_i32 s0, s1, s0
	s_ashr_i32 s1, s0, 31
	s_lshl_b64 s[0:1], s[0:1], 2
	v_mov_b32_e32 v0, 0
	s_waitcnt lgkmcnt(0)
	s_xor_b32 s7, s6, 0x80000000
	v_mov_b32_e32 v1, s7
	s_add_u32 s0, s4, s0
	global_store_dword v0, v1, s[2:3]
	v_sub_f32_e64 v1, 1.0, s6
	s_addc_u32 s1, s5, s1
	global_store_dword v0, v1, s[0:1]
	s_endpgm
	.section	.rodata,"a",@progbits
	.p2align	6, 0x0
	.amdhsa_kernel _ZN9rocsolver6v33100L12subtract_tauIfPKPfEEviiT0_iilPT_l
		.amdhsa_group_segment_fixed_size 0
		.amdhsa_private_segment_fixed_size 0
		.amdhsa_kernarg_size 48
		.amdhsa_user_sgpr_count 6
		.amdhsa_user_sgpr_private_segment_buffer 1
		.amdhsa_user_sgpr_dispatch_ptr 0
		.amdhsa_user_sgpr_queue_ptr 0
		.amdhsa_user_sgpr_kernarg_segment_ptr 1
		.amdhsa_user_sgpr_dispatch_id 0
		.amdhsa_user_sgpr_flat_scratch_init 0
		.amdhsa_user_sgpr_kernarg_preload_length 0
		.amdhsa_user_sgpr_kernarg_preload_offset 0
		.amdhsa_user_sgpr_private_segment_size 0
		.amdhsa_uses_dynamic_stack 0
		.amdhsa_system_sgpr_private_segment_wavefront_offset 0
		.amdhsa_system_sgpr_workgroup_id_x 1
		.amdhsa_system_sgpr_workgroup_id_y 0
		.amdhsa_system_sgpr_workgroup_id_z 0
		.amdhsa_system_sgpr_workgroup_info 0
		.amdhsa_system_vgpr_workitem_id 0
		.amdhsa_next_free_vgpr 2
		.amdhsa_next_free_sgpr 16
		.amdhsa_accum_offset 4
		.amdhsa_reserve_vcc 0
		.amdhsa_reserve_flat_scratch 0
		.amdhsa_float_round_mode_32 0
		.amdhsa_float_round_mode_16_64 0
		.amdhsa_float_denorm_mode_32 3
		.amdhsa_float_denorm_mode_16_64 3
		.amdhsa_dx10_clamp 1
		.amdhsa_ieee_mode 1
		.amdhsa_fp16_overflow 0
		.amdhsa_tg_split 0
		.amdhsa_exception_fp_ieee_invalid_op 0
		.amdhsa_exception_fp_denorm_src 0
		.amdhsa_exception_fp_ieee_div_zero 0
		.amdhsa_exception_fp_ieee_overflow 0
		.amdhsa_exception_fp_ieee_underflow 0
		.amdhsa_exception_fp_ieee_inexact 0
		.amdhsa_exception_int_div_zero 0
	.end_amdhsa_kernel
	.section	.text._ZN9rocsolver6v33100L12subtract_tauIfPKPfEEviiT0_iilPT_l,"axG",@progbits,_ZN9rocsolver6v33100L12subtract_tauIfPKPfEEviiT0_iilPT_l,comdat
.Lfunc_end19:
	.size	_ZN9rocsolver6v33100L12subtract_tauIfPKPfEEviiT0_iilPT_l, .Lfunc_end19-_ZN9rocsolver6v33100L12subtract_tauIfPKPfEEviiT0_iilPT_l
                                        ; -- End function
	.section	.AMDGPU.csdata,"",@progbits
; Kernel info:
; codeLenInByte = 184
; NumSgprs: 20
; NumVgprs: 2
; NumAgprs: 0
; TotalNumVgprs: 2
; ScratchSize: 0
; MemoryBound: 0
; FloatMode: 240
; IeeeMode: 1
; LDSByteSize: 0 bytes/workgroup (compile time only)
; SGPRBlocks: 2
; VGPRBlocks: 0
; NumSGPRsForWavesPerEU: 20
; NumVGPRsForWavesPerEU: 2
; AccumOffset: 4
; Occupancy: 8
; WaveLimiterHint : 1
; COMPUTE_PGM_RSRC2:SCRATCH_EN: 0
; COMPUTE_PGM_RSRC2:USER_SGPR: 6
; COMPUTE_PGM_RSRC2:TRAP_HANDLER: 0
; COMPUTE_PGM_RSRC2:TGID_X_EN: 1
; COMPUTE_PGM_RSRC2:TGID_Y_EN: 0
; COMPUTE_PGM_RSRC2:TGID_Z_EN: 0
; COMPUTE_PGM_RSRC2:TIDIG_COMP_CNT: 0
; COMPUTE_PGM_RSRC3_GFX90A:ACCUM_OFFSET: 0
; COMPUTE_PGM_RSRC3_GFX90A:TG_SPLIT: 0
	.section	.text._ZN9rocsolver6v33100L6restauIfEEviPT_l,"axG",@progbits,_ZN9rocsolver6v33100L6restauIfEEviPT_l,comdat
	.globl	_ZN9rocsolver6v33100L6restauIfEEviPT_l ; -- Begin function _ZN9rocsolver6v33100L6restauIfEEviPT_l
	.p2align	8
	.type	_ZN9rocsolver6v33100L6restauIfEEviPT_l,@function
_ZN9rocsolver6v33100L6restauIfEEviPT_l: ; @_ZN9rocsolver6v33100L6restauIfEEviPT_l
; %bb.0:
	s_load_dword s0, s[4:5], 0x24
	s_load_dword s1, s[4:5], 0x0
	s_waitcnt lgkmcnt(0)
	s_and_b32 s0, s0, 0xffff
	s_mul_i32 s6, s6, s0
	v_add_u32_e32 v0, s6, v0
	v_cmp_gt_u32_e32 vcc, s1, v0
	s_and_saveexec_b64 s[0:1], vcc
	s_cbranch_execz .LBB20_2
; %bb.1:
	s_load_dwordx4 s[0:3], s[4:5], 0x8
	v_mov_b32_e32 v1, 0
	v_lshlrev_b64 v[0:1], 2, v[0:1]
	s_waitcnt lgkmcnt(0)
	s_mul_i32 s3, s7, s3
	s_mul_hi_u32 s4, s7, s2
	s_mul_i32 s2, s7, s2
	s_add_i32 s3, s4, s3
	s_lshl_b64 s[2:3], s[2:3], 2
	s_add_u32 s0, s0, s2
	s_addc_u32 s1, s1, s3
	v_mov_b32_e32 v2, s1
	v_add_co_u32_e32 v0, vcc, s0, v0
	v_addc_co_u32_e32 v1, vcc, v2, v1, vcc
	global_load_dword v2, v[0:1], off
	s_waitcnt vmcnt(0)
	v_xor_b32_e32 v2, 0x80000000, v2
	global_store_dword v[0:1], v2, off
.LBB20_2:
	s_endpgm
	.section	.rodata,"a",@progbits
	.p2align	6, 0x0
	.amdhsa_kernel _ZN9rocsolver6v33100L6restauIfEEviPT_l
		.amdhsa_group_segment_fixed_size 0
		.amdhsa_private_segment_fixed_size 0
		.amdhsa_kernarg_size 280
		.amdhsa_user_sgpr_count 6
		.amdhsa_user_sgpr_private_segment_buffer 1
		.amdhsa_user_sgpr_dispatch_ptr 0
		.amdhsa_user_sgpr_queue_ptr 0
		.amdhsa_user_sgpr_kernarg_segment_ptr 1
		.amdhsa_user_sgpr_dispatch_id 0
		.amdhsa_user_sgpr_flat_scratch_init 0
		.amdhsa_user_sgpr_kernarg_preload_length 0
		.amdhsa_user_sgpr_kernarg_preload_offset 0
		.amdhsa_user_sgpr_private_segment_size 0
		.amdhsa_uses_dynamic_stack 0
		.amdhsa_system_sgpr_private_segment_wavefront_offset 0
		.amdhsa_system_sgpr_workgroup_id_x 1
		.amdhsa_system_sgpr_workgroup_id_y 1
		.amdhsa_system_sgpr_workgroup_id_z 0
		.amdhsa_system_sgpr_workgroup_info 0
		.amdhsa_system_vgpr_workitem_id 0
		.amdhsa_next_free_vgpr 3
		.amdhsa_next_free_sgpr 8
		.amdhsa_accum_offset 4
		.amdhsa_reserve_vcc 1
		.amdhsa_reserve_flat_scratch 0
		.amdhsa_float_round_mode_32 0
		.amdhsa_float_round_mode_16_64 0
		.amdhsa_float_denorm_mode_32 3
		.amdhsa_float_denorm_mode_16_64 3
		.amdhsa_dx10_clamp 1
		.amdhsa_ieee_mode 1
		.amdhsa_fp16_overflow 0
		.amdhsa_tg_split 0
		.amdhsa_exception_fp_ieee_invalid_op 0
		.amdhsa_exception_fp_denorm_src 0
		.amdhsa_exception_fp_ieee_div_zero 0
		.amdhsa_exception_fp_ieee_overflow 0
		.amdhsa_exception_fp_ieee_underflow 0
		.amdhsa_exception_fp_ieee_inexact 0
		.amdhsa_exception_int_div_zero 0
	.end_amdhsa_kernel
	.section	.text._ZN9rocsolver6v33100L6restauIfEEviPT_l,"axG",@progbits,_ZN9rocsolver6v33100L6restauIfEEviPT_l,comdat
.Lfunc_end20:
	.size	_ZN9rocsolver6v33100L6restauIfEEviPT_l, .Lfunc_end20-_ZN9rocsolver6v33100L6restauIfEEviPT_l
                                        ; -- End function
	.section	.AMDGPU.csdata,"",@progbits
; Kernel info:
; codeLenInByte = 144
; NumSgprs: 12
; NumVgprs: 3
; NumAgprs: 0
; TotalNumVgprs: 3
; ScratchSize: 0
; MemoryBound: 0
; FloatMode: 240
; IeeeMode: 1
; LDSByteSize: 0 bytes/workgroup (compile time only)
; SGPRBlocks: 1
; VGPRBlocks: 0
; NumSGPRsForWavesPerEU: 12
; NumVGPRsForWavesPerEU: 3
; AccumOffset: 4
; Occupancy: 8
; WaveLimiterHint : 0
; COMPUTE_PGM_RSRC2:SCRATCH_EN: 0
; COMPUTE_PGM_RSRC2:USER_SGPR: 6
; COMPUTE_PGM_RSRC2:TRAP_HANDLER: 0
; COMPUTE_PGM_RSRC2:TGID_X_EN: 1
; COMPUTE_PGM_RSRC2:TGID_Y_EN: 1
; COMPUTE_PGM_RSRC2:TGID_Z_EN: 0
; COMPUTE_PGM_RSRC2:TIDIG_COMP_CNT: 0
; COMPUTE_PGM_RSRC3_GFX90A:ACCUM_OFFSET: 0
; COMPUTE_PGM_RSRC3_GFX90A:TG_SPLIT: 0
	.section	.text._ZN9rocsolver6v33100L15copyshift_rightIfPKPfEEvbiT0_iilPT_iil,"axG",@progbits,_ZN9rocsolver6v33100L15copyshift_rightIfPKPfEEvbiT0_iilPT_iil,comdat
	.globl	_ZN9rocsolver6v33100L15copyshift_rightIfPKPfEEvbiT0_iilPT_iil ; -- Begin function _ZN9rocsolver6v33100L15copyshift_rightIfPKPfEEvbiT0_iilPT_iil
	.p2align	8
	.type	_ZN9rocsolver6v33100L15copyshift_rightIfPKPfEEvbiT0_iilPT_iil,@function
_ZN9rocsolver6v33100L15copyshift_rightIfPKPfEEvbiT0_iilPT_iil: ; @_ZN9rocsolver6v33100L15copyshift_rightIfPKPfEEvbiT0_iilPT_iil
; %bb.0:
	s_load_dwordx4 s[0:3], s[4:5], 0x0
	s_load_dword s9, s[4:5], 0x44
	s_load_dwordx2 s[10:11], s[4:5], 0x10
	v_and_b32_e32 v1, 0x3ff, v0
	v_bfe_u32 v0, v0, 10, 10
	s_waitcnt lgkmcnt(0)
	s_bitcmp1_b32 s0, 0
	s_cselect_b64 s[12:13], -1, 0
	s_and_b32 s0, s9, 0xffff
	s_lshr_b32 s9, s9, 16
	s_mul_i32 s16, s7, s9
	s_mov_b32 s9, 0
	s_xor_b64 s[12:13], s[12:13], -1
	s_ashr_i32 s7, s10, 31
	s_lshl_b64 s[14:15], s[8:9], 3
	s_add_u32 s2, s2, s14
	s_addc_u32 s3, s3, s15
	s_load_dwordx2 s[2:3], s[2:3], 0x0
	s_mul_i32 s6, s6, s0
	v_add_u32_e32 v2, s6, v1
	v_add_u32_e32 v0, s16, v0
	s_mov_b32 s6, s10
	s_lshl_b64 s[6:7], s[6:7], 2
	v_or_b32_e32 v1, v2, v0
	s_waitcnt lgkmcnt(0)
	s_add_u32 s6, s2, s6
	v_cmp_eq_u32_e32 vcc, 0, v1
	s_addc_u32 s7, s3, s7
	s_and_b64 s[14:15], vcc, s[12:13]
	s_and_saveexec_b64 s[2:3], s[14:15]
	s_cbranch_execz .LBB21_2
; %bb.1:
	v_mov_b32_e32 v1, 0
	v_mov_b32_e32 v3, 1.0
	global_store_dword v1, v3, s[6:7]
.LBB21_2:
	s_or_b64 exec, exec, s[2:3]
	v_max_u32_e32 v1, v0, v2
	v_cmp_gt_u32_e32 vcc, s1, v1
	v_cmp_le_u32_e64 s[0:1], v0, v2
	s_and_b64 s[0:1], s[0:1], vcc
	s_and_saveexec_b64 s[2:3], s[0:1]
	s_cbranch_execz .LBB21_13
; %bb.3:
	s_load_dwordx4 s[0:3], s[4:5], 0x20
	s_load_dwordx2 s[14:15], s[4:5], 0x30
	s_waitcnt lgkmcnt(0)
	s_ashr_i32 s5, s2, 31
	s_mov_b32 s4, s2
	s_mul_i32 s2, s8, s15
	s_mul_hi_u32 s9, s8, s14
	s_add_i32 s9, s9, s2
	s_mul_i32 s8, s8, s14
	s_lshl_b64 s[8:9], s[8:9], 2
	s_add_u32 s2, s0, s8
	s_addc_u32 s8, s1, s9
	s_lshl_b64 s[0:1], s[4:5], 2
	s_add_u32 s4, s2, s0
	s_addc_u32 s5, s8, s1
	v_mad_u64_u32 v[4:5], s[0:1], v0, v0, v[0:1]
	v_lshrrev_b32_e32 v1, 1, v4
	s_and_b64 vcc, exec, s[12:13]
	s_cbranch_vccz .LBB21_7
; %bb.4:
	v_mad_u64_u32 v[4:5], s[0:1], v0, s3, v[2:3]
	v_sub_u32_e32 v4, v4, v1
	v_mov_b32_e32 v5, 0
	v_lshlrev_b64 v[6:7], 2, v[4:5]
	v_mov_b32_e32 v3, s5
	v_add_co_u32_e32 v6, vcc, s4, v6
	v_addc_co_u32_e32 v7, vcc, v3, v7, vcc
	global_load_dword v6, v[6:7], off
	v_mul_lo_u32 v3, v0, s11
	v_add3_u32 v4, v2, v3, 1
	v_lshlrev_b64 v[4:5], 2, v[4:5]
	v_mov_b32_e32 v7, s7
	v_add_co_u32_e64 v4, s[0:1], s6, v4
	v_addc_co_u32_e64 v5, s[0:1], v7, v5, s[0:1]
	s_mov_b32 s2, 0
	v_cmp_eq_u32_e32 vcc, v2, v0
	s_mov_b64 s[8:9], 0
	s_mov_b64 s[0:1], 0
	s_waitcnt vmcnt(0)
	global_store_dword v[4:5], v6, off
                                        ; implicit-def: $vgpr4
	s_and_saveexec_b64 s[12:13], vcc
	s_xor_b64 s[12:13], exec, s[12:13]
; %bb.5:
	s_mov_b64 s[0:1], exec
	v_add_u32_e32 v4, s11, v3
; %bb.6:
	s_or_b64 exec, exec, s[12:13]
	s_and_b64 vcc, exec, s[8:9]
	v_mov_b32_e32 v3, s2
	s_cbranch_vccnz .LBB21_8
	s_branch .LBB21_11
.LBB21_7:
	s_mov_b64 s[0:1], 0
                                        ; implicit-def: $sgpr2
                                        ; implicit-def: $vgpr4
	v_mov_b32_e32 v3, s2
	s_cbranch_execz .LBB21_11
.LBB21_8:
	v_cmp_ne_u32_e32 vcc, 0, v0
	v_mov_b32_e32 v3, 0
	s_and_saveexec_b64 s[0:1], vcc
	s_cbranch_execz .LBB21_10
; %bb.9:
	v_add_u32_e32 v3, -1, v0
	v_mul_lo_u32 v3, v3, s11
	v_add3_u32 v4, v2, v3, 1
	v_mov_b32_e32 v5, 0
	v_lshlrev_b64 v[4:5], 2, v[4:5]
	v_mov_b32_e32 v3, s7
	v_add_co_u32_e32 v4, vcc, s6, v4
	v_addc_co_u32_e32 v5, vcc, v3, v5, vcc
	global_load_dword v3, v[4:5], off
.LBB21_10:
	s_or_b64 exec, exec, s[0:1]
	s_waitcnt vmcnt(0)
	v_mad_u64_u32 v[4:5], s[0:1], v0, s3, v[2:3]
	v_sub_u32_e32 v4, v4, v1
	s_mov_b64 s[0:1], -1
	s_mov_b64 s[6:7], s[4:5]
.LBB21_11:
	s_and_b64 exec, exec, s[0:1]
	s_cbranch_execz .LBB21_13
; %bb.12:
	v_mov_b32_e32 v5, 0
	v_lshlrev_b64 v[0:1], 2, v[4:5]
	v_mov_b32_e32 v2, s7
	v_add_co_u32_e32 v0, vcc, s6, v0
	v_addc_co_u32_e32 v1, vcc, v2, v1, vcc
	global_store_dword v[0:1], v3, off
.LBB21_13:
	s_endpgm
	.section	.rodata,"a",@progbits
	.p2align	6, 0x0
	.amdhsa_kernel _ZN9rocsolver6v33100L15copyshift_rightIfPKPfEEvbiT0_iilPT_iil
		.amdhsa_group_segment_fixed_size 0
		.amdhsa_private_segment_fixed_size 0
		.amdhsa_kernarg_size 312
		.amdhsa_user_sgpr_count 6
		.amdhsa_user_sgpr_private_segment_buffer 1
		.amdhsa_user_sgpr_dispatch_ptr 0
		.amdhsa_user_sgpr_queue_ptr 0
		.amdhsa_user_sgpr_kernarg_segment_ptr 1
		.amdhsa_user_sgpr_dispatch_id 0
		.amdhsa_user_sgpr_flat_scratch_init 0
		.amdhsa_user_sgpr_kernarg_preload_length 0
		.amdhsa_user_sgpr_kernarg_preload_offset 0
		.amdhsa_user_sgpr_private_segment_size 0
		.amdhsa_uses_dynamic_stack 0
		.amdhsa_system_sgpr_private_segment_wavefront_offset 0
		.amdhsa_system_sgpr_workgroup_id_x 1
		.amdhsa_system_sgpr_workgroup_id_y 1
		.amdhsa_system_sgpr_workgroup_id_z 1
		.amdhsa_system_sgpr_workgroup_info 0
		.amdhsa_system_vgpr_workitem_id 1
		.amdhsa_next_free_vgpr 8
		.amdhsa_next_free_sgpr 17
		.amdhsa_accum_offset 8
		.amdhsa_reserve_vcc 1
		.amdhsa_reserve_flat_scratch 0
		.amdhsa_float_round_mode_32 0
		.amdhsa_float_round_mode_16_64 0
		.amdhsa_float_denorm_mode_32 3
		.amdhsa_float_denorm_mode_16_64 3
		.amdhsa_dx10_clamp 1
		.amdhsa_ieee_mode 1
		.amdhsa_fp16_overflow 0
		.amdhsa_tg_split 0
		.amdhsa_exception_fp_ieee_invalid_op 0
		.amdhsa_exception_fp_denorm_src 0
		.amdhsa_exception_fp_ieee_div_zero 0
		.amdhsa_exception_fp_ieee_overflow 0
		.amdhsa_exception_fp_ieee_underflow 0
		.amdhsa_exception_fp_ieee_inexact 0
		.amdhsa_exception_int_div_zero 0
	.end_amdhsa_kernel
	.section	.text._ZN9rocsolver6v33100L15copyshift_rightIfPKPfEEvbiT0_iilPT_iil,"axG",@progbits,_ZN9rocsolver6v33100L15copyshift_rightIfPKPfEEvbiT0_iilPT_iil,comdat
.Lfunc_end21:
	.size	_ZN9rocsolver6v33100L15copyshift_rightIfPKPfEEvbiT0_iilPT_iil, .Lfunc_end21-_ZN9rocsolver6v33100L15copyshift_rightIfPKPfEEvbiT0_iilPT_iil
                                        ; -- End function
	.section	.AMDGPU.csdata,"",@progbits
; Kernel info:
; codeLenInByte = 592
; NumSgprs: 21
; NumVgprs: 8
; NumAgprs: 0
; TotalNumVgprs: 8
; ScratchSize: 0
; MemoryBound: 0
; FloatMode: 240
; IeeeMode: 1
; LDSByteSize: 0 bytes/workgroup (compile time only)
; SGPRBlocks: 2
; VGPRBlocks: 0
; NumSGPRsForWavesPerEU: 21
; NumVGPRsForWavesPerEU: 8
; AccumOffset: 8
; Occupancy: 8
; WaveLimiterHint : 1
; COMPUTE_PGM_RSRC2:SCRATCH_EN: 0
; COMPUTE_PGM_RSRC2:USER_SGPR: 6
; COMPUTE_PGM_RSRC2:TRAP_HANDLER: 0
; COMPUTE_PGM_RSRC2:TGID_X_EN: 1
; COMPUTE_PGM_RSRC2:TGID_Y_EN: 1
; COMPUTE_PGM_RSRC2:TGID_Z_EN: 1
; COMPUTE_PGM_RSRC2:TIDIG_COMP_CNT: 1
; COMPUTE_PGM_RSRC3_GFX90A:ACCUM_OFFSET: 1
; COMPUTE_PGM_RSRC3_GFX90A:TG_SPLIT: 0
	.section	.text._ZN9rocsolver6v33100L16orgl2_init_identIfPKPfEEviiiT0_iil,"axG",@progbits,_ZN9rocsolver6v33100L16orgl2_init_identIfPKPfEEviiiT0_iil,comdat
	.globl	_ZN9rocsolver6v33100L16orgl2_init_identIfPKPfEEviiiT0_iil ; -- Begin function _ZN9rocsolver6v33100L16orgl2_init_identIfPKPfEEviiiT0_iil
	.p2align	8
	.type	_ZN9rocsolver6v33100L16orgl2_init_identIfPKPfEEviiiT0_iil,@function
_ZN9rocsolver6v33100L16orgl2_init_identIfPKPfEEviiiT0_iil: ; @_ZN9rocsolver6v33100L16orgl2_init_identIfPKPfEEviiiT0_iil
; %bb.0:
	s_load_dword s0, s[4:5], 0x34
	s_load_dwordx4 s[12:15], s[4:5], 0x0
	v_bfe_u32 v1, v0, 10, 10
	v_and_b32_e32 v0, 0x3ff, v0
	s_waitcnt lgkmcnt(0)
	s_lshr_b32 s1, s0, 16
	s_and_b32 s0, s0, 0xffff
	s_mul_i32 s7, s7, s1
	s_mul_i32 s6, s6, s0
	v_add_u32_e32 v2, s7, v1
	v_add_u32_e32 v4, s6, v0
	v_cmp_gt_u32_e32 vcc, s12, v4
	v_cmp_gt_u32_e64 s[0:1], s13, v2
	s_and_b64 s[0:1], vcc, s[0:1]
	s_and_saveexec_b64 s[2:3], s[0:1]
	s_cbranch_execz .LBB22_5
; %bb.1:
	s_load_dwordx4 s[0:3], s[4:5], 0x10
	s_mov_b32 s9, 0
	s_lshl_b64 s[4:5], s[8:9], 3
	v_cmp_ne_u32_e32 vcc, v4, v2
	s_mov_b64 s[6:7], 0
	s_waitcnt lgkmcnt(0)
	s_add_u32 s0, s0, s4
	s_addc_u32 s1, s1, s5
	s_load_dwordx2 s[0:1], s[0:1], 0x0
                                        ; implicit-def: $vgpr3
                                        ; implicit-def: $vgpr0
	s_and_saveexec_b64 s[4:5], vcc
	s_xor_b64 s[4:5], exec, s[4:5]
	s_cbranch_execnz .LBB22_6
; %bb.2:
	s_andn2_saveexec_b64 s[4:5], s[4:5]
	s_cbranch_execnz .LBB22_13
.LBB22_3:
	s_or_b64 exec, exec, s[4:5]
	s_and_b64 exec, exec, s[6:7]
	s_cbranch_execz .LBB22_5
.LBB22_4:
	s_ashr_i32 s3, s2, 31
	s_lshl_b64 s[2:3], s[2:3], 2
	s_waitcnt lgkmcnt(0)
	s_add_u32 s0, s0, s2
	v_mov_b32_e32 v1, 0
	s_addc_u32 s1, s1, s3
	v_lshlrev_b64 v[0:1], 2, v[0:1]
	v_mov_b32_e32 v2, s1
	v_add_co_u32_e32 v0, vcc, s0, v0
	v_addc_co_u32_e32 v1, vcc, v2, v1, vcc
	global_store_dword v[0:1], v3, off
.LBB22_5:
	s_endpgm
.LBB22_6:
	v_cmp_ge_u32_e32 vcc, v2, v4
                                        ; implicit-def: $sgpr12
                                        ; implicit-def: $vgpr0
	s_and_saveexec_b64 s[8:9], vcc
	s_xor_b64 s[8:9], exec, s[8:9]
	s_cbranch_execz .LBB22_10
; %bb.7:
	v_cmp_le_u32_e32 vcc, s14, v4
                                        ; implicit-def: $sgpr12
                                        ; implicit-def: $vgpr0
	s_and_saveexec_b64 s[10:11], vcc
	s_xor_b64 s[10:11], exec, s[10:11]
; %bb.8:
	v_mad_u64_u32 v[0:1], s[12:13], v2, s3, v[4:5]
	s_mov_b64 s[6:7], exec
	s_mov_b32 s12, 0
; %bb.9:
	s_or_b64 exec, exec, s[10:11]
	s_and_b64 s[6:7], s[6:7], exec
                                        ; implicit-def: $vgpr4
                                        ; implicit-def: $vgpr2
.LBB22_10:
	s_or_saveexec_b64 s[8:9], s[8:9]
	v_mov_b32_e32 v3, s12
	s_xor_b64 exec, exec, s[8:9]
; %bb.11:
	v_mad_u64_u32 v[0:1], s[10:11], v2, s3, v[4:5]
	v_mov_b32_e32 v3, 0
	s_or_b64 s[6:7], s[6:7], exec
; %bb.12:
	s_or_b64 exec, exec, s[8:9]
	s_and_b64 s[6:7], s[6:7], exec
                                        ; implicit-def: $vgpr2
	s_andn2_saveexec_b64 s[4:5], s[4:5]
	s_cbranch_execz .LBB22_3
.LBB22_13:
	v_mad_u64_u32 v[0:1], s[8:9], v2, s3, v[2:3]
	v_mov_b32_e32 v3, 1.0
	s_or_b64 s[6:7], s[6:7], exec
	s_or_b64 exec, exec, s[4:5]
	s_and_b64 exec, exec, s[6:7]
	s_cbranch_execnz .LBB22_4
	s_branch .LBB22_5
	.section	.rodata,"a",@progbits
	.p2align	6, 0x0
	.amdhsa_kernel _ZN9rocsolver6v33100L16orgl2_init_identIfPKPfEEviiiT0_iil
		.amdhsa_group_segment_fixed_size 0
		.amdhsa_private_segment_fixed_size 0
		.amdhsa_kernarg_size 296
		.amdhsa_user_sgpr_count 6
		.amdhsa_user_sgpr_private_segment_buffer 1
		.amdhsa_user_sgpr_dispatch_ptr 0
		.amdhsa_user_sgpr_queue_ptr 0
		.amdhsa_user_sgpr_kernarg_segment_ptr 1
		.amdhsa_user_sgpr_dispatch_id 0
		.amdhsa_user_sgpr_flat_scratch_init 0
		.amdhsa_user_sgpr_kernarg_preload_length 0
		.amdhsa_user_sgpr_kernarg_preload_offset 0
		.amdhsa_user_sgpr_private_segment_size 0
		.amdhsa_uses_dynamic_stack 0
		.amdhsa_system_sgpr_private_segment_wavefront_offset 0
		.amdhsa_system_sgpr_workgroup_id_x 1
		.amdhsa_system_sgpr_workgroup_id_y 1
		.amdhsa_system_sgpr_workgroup_id_z 1
		.amdhsa_system_sgpr_workgroup_info 0
		.amdhsa_system_vgpr_workitem_id 1
		.amdhsa_next_free_vgpr 6
		.amdhsa_next_free_sgpr 16
		.amdhsa_accum_offset 8
		.amdhsa_reserve_vcc 1
		.amdhsa_reserve_flat_scratch 0
		.amdhsa_float_round_mode_32 0
		.amdhsa_float_round_mode_16_64 0
		.amdhsa_float_denorm_mode_32 3
		.amdhsa_float_denorm_mode_16_64 3
		.amdhsa_dx10_clamp 1
		.amdhsa_ieee_mode 1
		.amdhsa_fp16_overflow 0
		.amdhsa_tg_split 0
		.amdhsa_exception_fp_ieee_invalid_op 0
		.amdhsa_exception_fp_denorm_src 0
		.amdhsa_exception_fp_ieee_div_zero 0
		.amdhsa_exception_fp_ieee_overflow 0
		.amdhsa_exception_fp_ieee_underflow 0
		.amdhsa_exception_fp_ieee_inexact 0
		.amdhsa_exception_int_div_zero 0
	.end_amdhsa_kernel
	.section	.text._ZN9rocsolver6v33100L16orgl2_init_identIfPKPfEEviiiT0_iil,"axG",@progbits,_ZN9rocsolver6v33100L16orgl2_init_identIfPKPfEEviiiT0_iil,comdat
.Lfunc_end22:
	.size	_ZN9rocsolver6v33100L16orgl2_init_identIfPKPfEEviiiT0_iil, .Lfunc_end22-_ZN9rocsolver6v33100L16orgl2_init_identIfPKPfEEviiiT0_iil
                                        ; -- End function
	.section	.AMDGPU.csdata,"",@progbits
; Kernel info:
; codeLenInByte = 348
; NumSgprs: 20
; NumVgprs: 6
; NumAgprs: 0
; TotalNumVgprs: 6
; ScratchSize: 0
; MemoryBound: 0
; FloatMode: 240
; IeeeMode: 1
; LDSByteSize: 0 bytes/workgroup (compile time only)
; SGPRBlocks: 2
; VGPRBlocks: 0
; NumSGPRsForWavesPerEU: 20
; NumVGPRsForWavesPerEU: 6
; AccumOffset: 8
; Occupancy: 8
; WaveLimiterHint : 1
; COMPUTE_PGM_RSRC2:SCRATCH_EN: 0
; COMPUTE_PGM_RSRC2:USER_SGPR: 6
; COMPUTE_PGM_RSRC2:TRAP_HANDLER: 0
; COMPUTE_PGM_RSRC2:TGID_X_EN: 1
; COMPUTE_PGM_RSRC2:TGID_Y_EN: 1
; COMPUTE_PGM_RSRC2:TGID_Z_EN: 1
; COMPUTE_PGM_RSRC2:TIDIG_COMP_CNT: 1
; COMPUTE_PGM_RSRC3_GFX90A:ACCUM_OFFSET: 1
; COMPUTE_PGM_RSRC3_GFX90A:TG_SPLIT: 0
	.section	.text._ZN9rocsolver6v33100L14copyshift_downIfPKPfEEvbiT0_iilPT_iil,"axG",@progbits,_ZN9rocsolver6v33100L14copyshift_downIfPKPfEEvbiT0_iilPT_iil,comdat
	.globl	_ZN9rocsolver6v33100L14copyshift_downIfPKPfEEvbiT0_iilPT_iil ; -- Begin function _ZN9rocsolver6v33100L14copyshift_downIfPKPfEEvbiT0_iilPT_iil
	.p2align	8
	.type	_ZN9rocsolver6v33100L14copyshift_downIfPKPfEEvbiT0_iilPT_iil,@function
_ZN9rocsolver6v33100L14copyshift_downIfPKPfEEvbiT0_iilPT_iil: ; @_ZN9rocsolver6v33100L14copyshift_downIfPKPfEEvbiT0_iilPT_iil
; %bb.0:
	s_load_dwordx4 s[0:3], s[4:5], 0x0
	s_load_dword s9, s[4:5], 0x44
	s_load_dwordx2 s[10:11], s[4:5], 0x10
	v_and_b32_e32 v1, 0x3ff, v0
	v_bfe_u32 v0, v0, 10, 10
	s_waitcnt lgkmcnt(0)
	s_bitcmp1_b32 s0, 0
	s_cselect_b64 s[12:13], -1, 0
	s_and_b32 s0, s9, 0xffff
	s_lshr_b32 s9, s9, 16
	s_mul_i32 s16, s7, s9
	s_mov_b32 s9, 0
	s_xor_b64 s[12:13], s[12:13], -1
	s_ashr_i32 s7, s10, 31
	s_lshl_b64 s[14:15], s[8:9], 3
	s_add_u32 s2, s2, s14
	s_addc_u32 s3, s3, s15
	s_load_dwordx2 s[2:3], s[2:3], 0x0
	s_mul_i32 s6, s6, s0
	v_add_u32_e32 v2, s6, v1
	v_add_u32_e32 v3, s16, v0
	s_mov_b32 s6, s10
	s_lshl_b64 s[6:7], s[6:7], 2
	v_or_b32_e32 v0, v2, v3
	s_waitcnt lgkmcnt(0)
	s_add_u32 s2, s2, s6
	v_cmp_eq_u32_e32 vcc, 0, v0
	s_addc_u32 s3, s3, s7
	s_and_b64 s[14:15], vcc, s[12:13]
	s_and_saveexec_b64 s[6:7], s[14:15]
	s_cbranch_execz .LBB23_2
; %bb.1:
	v_mov_b32_e32 v0, 0
	v_mov_b32_e32 v1, 1.0
	global_store_dword v0, v1, s[2:3]
.LBB23_2:
	s_or_b64 exec, exec, s[6:7]
	v_max_u32_e32 v0, v3, v2
	v_cmp_gt_u32_e32 vcc, s1, v0
	v_cmp_le_u32_e64 s[0:1], v2, v3
	s_and_b64 s[0:1], s[0:1], vcc
	s_and_saveexec_b64 s[6:7], s[0:1]
	s_cbranch_execz .LBB23_11
; %bb.3:
	s_load_dword s0, s[4:5], 0x28
	s_load_dwordx2 s[6:7], s[4:5], 0x30
	s_load_dwordx2 s[14:15], s[4:5], 0x20
	v_add_u32_e32 v0, 1, v3
	v_mul_lo_u32 v1, v0, v3
	s_waitcnt lgkmcnt(0)
	s_ashr_i32 s1, s0, 31
	s_mul_i32 s4, s8, s7
	s_mul_hi_u32 s5, s8, s6
	s_add_i32 s5, s5, s4
	s_mul_i32 s4, s8, s6
	s_lshl_b64 s[4:5], s[4:5], 2
	s_add_u32 s4, s14, s4
	s_addc_u32 s5, s15, s5
	s_lshl_b64 s[0:1], s[0:1], 2
	s_add_u32 s4, s4, s0
	v_lshrrev_b32_e32 v4, 1, v1
	s_addc_u32 s5, s5, s1
	s_and_b64 vcc, exec, s[12:13]
	v_add_u32_e32 v1, v2, v4
	s_cbranch_vccz .LBB23_5
; %bb.4:
	v_add_u32_e32 v4, v2, v4
	v_mov_b32_e32 v5, 0
	v_lshlrev_b64 v[6:7], 2, v[4:5]
	v_mov_b32_e32 v4, s5
	v_add_co_u32_e32 v6, vcc, s4, v6
	v_addc_co_u32_e32 v7, vcc, v4, v7, vcc
	global_load_dword v8, v[6:7], off
	v_mad_u64_u32 v[6:7], s[0:1], v0, s11, v[2:3]
	v_mov_b32_e32 v7, v5
	v_lshlrev_b64 v[4:5], 2, v[6:7]
	v_mov_b32_e32 v9, s3
	v_add_co_u32_e64 v4, s[0:1], s2, v4
	v_cmp_eq_u32_e32 vcc, v2, v3
	v_addc_co_u32_e64 v5, s[0:1], v9, v5, s[0:1]
	s_mov_b32 s8, 0
	s_and_b64 s[0:1], vcc, exec
	s_waitcnt vmcnt(0)
	global_store_dword v[4:5], v8, off
	v_mov_b32_e32 v3, s8
	s_cbranch_execz .LBB23_6
	s_branch .LBB23_9
.LBB23_5:
	s_mov_b64 s[0:1], 0
                                        ; implicit-def: $sgpr8
	v_mov_b32_e32 v3, s8
.LBB23_6:
	v_cmp_ne_u32_e32 vcc, 0, v2
	v_mov_b32_e32 v3, 0
	s_and_saveexec_b64 s[0:1], vcc
	s_cbranch_execz .LBB23_8
; %bb.7:
	v_mul_lo_u32 v0, v0, s11
	v_add3_u32 v2, v2, v0, -1
	v_mov_b32_e32 v3, 0
	v_lshlrev_b64 v[2:3], 2, v[2:3]
	v_mov_b32_e32 v0, s3
	v_add_co_u32_e32 v2, vcc, s2, v2
	v_addc_co_u32_e32 v3, vcc, v0, v3, vcc
	global_load_dword v3, v[2:3], off
.LBB23_8:
	s_or_b64 exec, exec, s[0:1]
	s_mov_b64 s[0:1], -1
	s_mov_b64 s[2:3], s[4:5]
	v_mov_b32_e32 v0, v1
.LBB23_9:
	s_and_b64 exec, exec, s[0:1]
	s_cbranch_execz .LBB23_11
; %bb.10:
	v_mov_b32_e32 v1, 0
	v_lshlrev_b64 v[0:1], 2, v[0:1]
	v_mov_b32_e32 v2, s3
	v_add_co_u32_e32 v0, vcc, s2, v0
	v_addc_co_u32_e32 v1, vcc, v2, v1, vcc
	s_waitcnt vmcnt(0)
	global_store_dword v[0:1], v3, off
.LBB23_11:
	s_endpgm
	.section	.rodata,"a",@progbits
	.p2align	6, 0x0
	.amdhsa_kernel _ZN9rocsolver6v33100L14copyshift_downIfPKPfEEvbiT0_iilPT_iil
		.amdhsa_group_segment_fixed_size 0
		.amdhsa_private_segment_fixed_size 0
		.amdhsa_kernarg_size 312
		.amdhsa_user_sgpr_count 6
		.amdhsa_user_sgpr_private_segment_buffer 1
		.amdhsa_user_sgpr_dispatch_ptr 0
		.amdhsa_user_sgpr_queue_ptr 0
		.amdhsa_user_sgpr_kernarg_segment_ptr 1
		.amdhsa_user_sgpr_dispatch_id 0
		.amdhsa_user_sgpr_flat_scratch_init 0
		.amdhsa_user_sgpr_kernarg_preload_length 0
		.amdhsa_user_sgpr_kernarg_preload_offset 0
		.amdhsa_user_sgpr_private_segment_size 0
		.amdhsa_uses_dynamic_stack 0
		.amdhsa_system_sgpr_private_segment_wavefront_offset 0
		.amdhsa_system_sgpr_workgroup_id_x 1
		.amdhsa_system_sgpr_workgroup_id_y 1
		.amdhsa_system_sgpr_workgroup_id_z 1
		.amdhsa_system_sgpr_workgroup_info 0
		.amdhsa_system_vgpr_workitem_id 1
		.amdhsa_next_free_vgpr 10
		.amdhsa_next_free_sgpr 17
		.amdhsa_accum_offset 12
		.amdhsa_reserve_vcc 1
		.amdhsa_reserve_flat_scratch 0
		.amdhsa_float_round_mode_32 0
		.amdhsa_float_round_mode_16_64 0
		.amdhsa_float_denorm_mode_32 3
		.amdhsa_float_denorm_mode_16_64 3
		.amdhsa_dx10_clamp 1
		.amdhsa_ieee_mode 1
		.amdhsa_fp16_overflow 0
		.amdhsa_tg_split 0
		.amdhsa_exception_fp_ieee_invalid_op 0
		.amdhsa_exception_fp_denorm_src 0
		.amdhsa_exception_fp_ieee_div_zero 0
		.amdhsa_exception_fp_ieee_overflow 0
		.amdhsa_exception_fp_ieee_underflow 0
		.amdhsa_exception_fp_ieee_inexact 0
		.amdhsa_exception_int_div_zero 0
	.end_amdhsa_kernel
	.section	.text._ZN9rocsolver6v33100L14copyshift_downIfPKPfEEvbiT0_iilPT_iil,"axG",@progbits,_ZN9rocsolver6v33100L14copyshift_downIfPKPfEEvbiT0_iilPT_iil,comdat
.Lfunc_end23:
	.size	_ZN9rocsolver6v33100L14copyshift_downIfPKPfEEvbiT0_iilPT_iil, .Lfunc_end23-_ZN9rocsolver6v33100L14copyshift_downIfPKPfEEvbiT0_iilPT_iil
                                        ; -- End function
	.section	.AMDGPU.csdata,"",@progbits
; Kernel info:
; codeLenInByte = 548
; NumSgprs: 21
; NumVgprs: 10
; NumAgprs: 0
; TotalNumVgprs: 10
; ScratchSize: 0
; MemoryBound: 0
; FloatMode: 240
; IeeeMode: 1
; LDSByteSize: 0 bytes/workgroup (compile time only)
; SGPRBlocks: 2
; VGPRBlocks: 1
; NumSGPRsForWavesPerEU: 21
; NumVGPRsForWavesPerEU: 10
; AccumOffset: 12
; Occupancy: 8
; WaveLimiterHint : 1
; COMPUTE_PGM_RSRC2:SCRATCH_EN: 0
; COMPUTE_PGM_RSRC2:USER_SGPR: 6
; COMPUTE_PGM_RSRC2:TRAP_HANDLER: 0
; COMPUTE_PGM_RSRC2:TGID_X_EN: 1
; COMPUTE_PGM_RSRC2:TGID_Y_EN: 1
; COMPUTE_PGM_RSRC2:TGID_Z_EN: 1
; COMPUTE_PGM_RSRC2:TIDIG_COMP_CNT: 1
; COMPUTE_PGM_RSRC3_GFX90A:ACCUM_OFFSET: 2
; COMPUTE_PGM_RSRC3_GFX90A:TG_SPLIT: 0
	.section	.text._ZN9rocsolver6v33100L10reset_infoIiiiEEvPT_T0_T1_S4_,"axG",@progbits,_ZN9rocsolver6v33100L10reset_infoIiiiEEvPT_T0_T1_S4_,comdat
	.globl	_ZN9rocsolver6v33100L10reset_infoIiiiEEvPT_T0_T1_S4_ ; -- Begin function _ZN9rocsolver6v33100L10reset_infoIiiiEEvPT_T0_T1_S4_
	.p2align	8
	.type	_ZN9rocsolver6v33100L10reset_infoIiiiEEvPT_T0_T1_S4_,@function
_ZN9rocsolver6v33100L10reset_infoIiiiEEvPT_T0_T1_S4_: ; @_ZN9rocsolver6v33100L10reset_infoIiiiEEvPT_T0_T1_S4_
; %bb.0:
	s_load_dword s7, s[4:5], 0x24
	s_load_dwordx4 s[0:3], s[4:5], 0x8
	s_waitcnt lgkmcnt(0)
	s_and_b32 s3, s7, 0xffff
	s_mul_i32 s6, s6, s3
	v_add_u32_e32 v0, s6, v0
	v_cmp_gt_i32_e32 vcc, s0, v0
	s_and_saveexec_b64 s[6:7], vcc
	s_cbranch_execz .LBB24_2
; %bb.1:
	s_load_dwordx2 s[4:5], s[4:5], 0x0
	v_ashrrev_i32_e32 v1, 31, v0
	v_lshlrev_b64 v[2:3], 2, v[0:1]
	v_mul_lo_u32 v0, v0, s2
	v_add_u32_e32 v0, s1, v0
	s_waitcnt lgkmcnt(0)
	v_mov_b32_e32 v1, s5
	v_add_co_u32_e32 v2, vcc, s4, v2
	v_addc_co_u32_e32 v3, vcc, v1, v3, vcc
	global_store_dword v[2:3], v0, off
.LBB24_2:
	s_endpgm
	.section	.rodata,"a",@progbits
	.p2align	6, 0x0
	.amdhsa_kernel _ZN9rocsolver6v33100L10reset_infoIiiiEEvPT_T0_T1_S4_
		.amdhsa_group_segment_fixed_size 0
		.amdhsa_private_segment_fixed_size 0
		.amdhsa_kernarg_size 280
		.amdhsa_user_sgpr_count 6
		.amdhsa_user_sgpr_private_segment_buffer 1
		.amdhsa_user_sgpr_dispatch_ptr 0
		.amdhsa_user_sgpr_queue_ptr 0
		.amdhsa_user_sgpr_kernarg_segment_ptr 1
		.amdhsa_user_sgpr_dispatch_id 0
		.amdhsa_user_sgpr_flat_scratch_init 0
		.amdhsa_user_sgpr_kernarg_preload_length 0
		.amdhsa_user_sgpr_kernarg_preload_offset 0
		.amdhsa_user_sgpr_private_segment_size 0
		.amdhsa_uses_dynamic_stack 0
		.amdhsa_system_sgpr_private_segment_wavefront_offset 0
		.amdhsa_system_sgpr_workgroup_id_x 1
		.amdhsa_system_sgpr_workgroup_id_y 0
		.amdhsa_system_sgpr_workgroup_id_z 0
		.amdhsa_system_sgpr_workgroup_info 0
		.amdhsa_system_vgpr_workitem_id 0
		.amdhsa_next_free_vgpr 4
		.amdhsa_next_free_sgpr 8
		.amdhsa_accum_offset 4
		.amdhsa_reserve_vcc 1
		.amdhsa_reserve_flat_scratch 0
		.amdhsa_float_round_mode_32 0
		.amdhsa_float_round_mode_16_64 0
		.amdhsa_float_denorm_mode_32 3
		.amdhsa_float_denorm_mode_16_64 3
		.amdhsa_dx10_clamp 1
		.amdhsa_ieee_mode 1
		.amdhsa_fp16_overflow 0
		.amdhsa_tg_split 0
		.amdhsa_exception_fp_ieee_invalid_op 0
		.amdhsa_exception_fp_denorm_src 0
		.amdhsa_exception_fp_ieee_div_zero 0
		.amdhsa_exception_fp_ieee_overflow 0
		.amdhsa_exception_fp_ieee_underflow 0
		.amdhsa_exception_fp_ieee_inexact 0
		.amdhsa_exception_int_div_zero 0
	.end_amdhsa_kernel
	.section	.text._ZN9rocsolver6v33100L10reset_infoIiiiEEvPT_T0_T1_S4_,"axG",@progbits,_ZN9rocsolver6v33100L10reset_infoIiiiEEvPT_T0_T1_S4_,comdat
.Lfunc_end24:
	.size	_ZN9rocsolver6v33100L10reset_infoIiiiEEvPT_T0_T1_S4_, .Lfunc_end24-_ZN9rocsolver6v33100L10reset_infoIiiiEEvPT_T0_T1_S4_
                                        ; -- End function
	.section	.AMDGPU.csdata,"",@progbits
; Kernel info:
; codeLenInByte = 108
; NumSgprs: 12
; NumVgprs: 4
; NumAgprs: 0
; TotalNumVgprs: 4
; ScratchSize: 0
; MemoryBound: 0
; FloatMode: 240
; IeeeMode: 1
; LDSByteSize: 0 bytes/workgroup (compile time only)
; SGPRBlocks: 1
; VGPRBlocks: 0
; NumSGPRsForWavesPerEU: 12
; NumVGPRsForWavesPerEU: 4
; AccumOffset: 4
; Occupancy: 8
; WaveLimiterHint : 0
; COMPUTE_PGM_RSRC2:SCRATCH_EN: 0
; COMPUTE_PGM_RSRC2:USER_SGPR: 6
; COMPUTE_PGM_RSRC2:TRAP_HANDLER: 0
; COMPUTE_PGM_RSRC2:TGID_X_EN: 1
; COMPUTE_PGM_RSRC2:TGID_Y_EN: 0
; COMPUTE_PGM_RSRC2:TGID_Z_EN: 0
; COMPUTE_PGM_RSRC2:TIDIG_COMP_CNT: 0
; COMPUTE_PGM_RSRC3_GFX90A:ACCUM_OFFSET: 0
; COMPUTE_PGM_RSRC3_GFX90A:TG_SPLIT: 0
	.section	.text._ZN9rocsolver6v33100L10bdsqr_initIffEEviPT0_lS3_lPiiS2_S2_S4_S3_lS4_,"axG",@progbits,_ZN9rocsolver6v33100L10bdsqr_initIffEEviPT0_lS3_lPiiS2_S2_S4_S3_lS4_,comdat
	.globl	_ZN9rocsolver6v33100L10bdsqr_initIffEEviPT0_lS3_lPiiS2_S2_S4_S3_lS4_ ; -- Begin function _ZN9rocsolver6v33100L10bdsqr_initIffEEviPT0_lS3_lPiiS2_S2_S4_S3_lS4_
	.p2align	8
	.type	_ZN9rocsolver6v33100L10bdsqr_initIffEEviPT0_lS3_lPiiS2_S2_S4_S3_lS4_,@function
_ZN9rocsolver6v33100L10bdsqr_initIffEEviPT0_lS3_lPiiS2_S2_S4_S3_lS4_: ; @_ZN9rocsolver6v33100L10bdsqr_initIffEEviPT0_lS3_lPiiS2_S2_S4_S3_lS4_
; %bb.0:
	s_load_dword s6, s[4:5], 0x0
	s_load_dwordx8 s[8:15], s[4:5], 0x8
	s_mov_b32 s16, s7
	s_ashr_i32 s17, s7, 31
	s_waitcnt lgkmcnt(0)
	s_ashr_i32 s7, s6, 31
	s_mul_i32 s0, s16, s11
	s_mul_hi_u32 s1, s16, s10
	s_add_i32 s0, s1, s0
	s_mul_i32 s1, s17, s10
	s_add_i32 s1, s0, s1
	s_mul_i32 s0, s16, s10
	s_lshl_b64 s[0:1], s[0:1], 2
	s_add_u32 s18, s8, s0
	s_addc_u32 s19, s9, s1
	s_mul_i32 s0, s16, s15
	s_mul_hi_u32 s1, s16, s14
	s_add_i32 s0, s1, s0
	s_mul_i32 s1, s17, s14
	s_add_i32 s1, s0, s1
	s_mul_i32 s0, s16, s14
	s_lshl_b64 s[0:1], s[0:1], 2
	s_add_u32 s20, s12, s0
	s_addc_u32 s21, s13, s1
	s_lshl_b64 s[0:1], s[6:7], 2
	s_add_u32 s22, s18, s0
	s_addc_u32 s23, s19, s1
	s_add_u32 s0, s22, -4
	s_addc_u32 s1, s23, -1
	s_load_dword s8, s[0:1], 0x0
	s_load_dword s9, s[18:19], 0x0
	s_load_dwordx2 s[24:25], s[4:5], 0x28
	v_cmp_lt_i64_e64 s[2:3], s[6:7], 2
	v_cmp_gt_i64_e64 s[26:27], s[6:7], 1
	s_waitcnt lgkmcnt(0)
	v_mov_b32_e32 v0, s8
	v_mov_b32_e32 v1, s9
	v_cmp_ge_f32_e64 s[0:1], s9, v0
	v_cndmask_b32_e64 v0, v0, v1, s[0:1]
	v_and_b32_e32 v4, 0x7fffffff, v0
	s_and_b64 vcc, exec, s[2:3]
	s_cbranch_vccnz .LBB25_3
; %bb.1:
	s_add_i32 s2, s6, -2
	s_mov_b32 s3, 1
	v_mov_b32_e32 v0, v4
.LBB25_2:                               ; =>This Inner Loop Header: Depth=1
	s_and_b64 s[8:9], s[0:1], exec
	s_cselect_b32 s8, s3, s2
	s_add_i32 s7, s3, -1
	s_and_b64 s[10:11], s[0:1], exec
	s_cselect_b32 s10, s7, s2
	s_ashr_i32 s11, s10, 31
	s_lshl_b64 s[10:11], s[10:11], 2
	s_add_u32 s10, s20, s10
	s_addc_u32 s11, s21, s11
	s_load_dword s7, s[10:11], 0x0
	s_ashr_i32 s9, s8, 31
	s_lshl_b64 s[8:9], s[8:9], 2
	s_add_u32 s8, s18, s8
	s_addc_u32 s9, s19, s9
	s_waitcnt lgkmcnt(0)
	v_add_f32_e64 v1, v0, |s7|
	s_load_dword s10, s[8:9], 0x0
	v_div_scale_f32 v2, s[8:9], v1, v1, v0
	v_rcp_f32_e32 v3, v2
	v_div_scale_f32 v5, vcc, v0, v1, v0
	s_add_i32 s2, s2, -1
	v_fma_f32 v6, -v2, v3, 1.0
	v_fmac_f32_e32 v3, v6, v3
	v_mul_f32_e32 v6, v5, v3
	v_fma_f32 v7, -v2, v6, v5
	v_fmac_f32_e32 v6, v7, v3
	v_fma_f32 v2, -v2, v6, v5
	v_div_fmas_f32 v2, v2, v3, v6
	v_div_fixup_f32 v0, v2, v1, v0
	s_waitcnt lgkmcnt(0)
	v_mul_f32_e64 v0, |s10|, v0
	s_add_i32 s3, s3, 1
	v_cmp_lt_f32_e32 vcc, v0, v4
	s_cmp_lg_u32 s3, s6
	v_cndmask_b32_e32 v4, v4, v0, vcc
	s_cbranch_scc1 .LBB25_2
.LBB25_3:
	s_load_dwordx4 s[0:3], s[4:5], 0x30
	s_load_dwordx8 s[8:15], s[4:5], 0x40
	s_lshl_b32 s31, s6, 1
	s_mul_i32 s4, s31, s16
	s_ashr_i32 s5, s4, 31
	s_lshl_b64 s[4:5], s[4:5], 2
	s_waitcnt lgkmcnt(0)
	s_add_u32 s29, s8, s4
	s_addc_u32 s30, s9, s5
	s_mov_b32 s8, 0
	v_cvt_f64_i32_e32 v[0:1], s6
	s_brev_b32 s9, 8
	v_cmp_gt_f64_e32 vcc, s[8:9], v[0:1]
	v_cndmask_b32_e64 v2, 0, 1, vcc
	v_lshlrev_b32_e32 v2, 8, v2
	v_ldexp_f64 v[0:1], v[0:1], v2
	v_rsq_f64_e32 v[2:3], v[0:1]
	s_mul_i32 s3, s16, s13
	s_mul_hi_u32 s4, s16, s12
	s_add_i32 s3, s4, s3
	s_mul_i32 s4, s17, s12
	v_mul_f64 v[6:7], v[0:1], v[2:3]
	v_mul_f64 v[2:3], v[2:3], 0.5
	s_add_i32 s5, s3, s4
	s_mul_i32 s4, s16, s12
	v_fma_f64 v[8:9], -v[2:3], v[6:7], 0.5
	s_lshl_b64 s[4:5], s[4:5], 2
	v_fmac_f64_e32 v[6:7], v[6:7], v[8:9]
	s_add_u32 s4, s10, s4
	v_fma_f64 v[10:11], -v[6:7], v[6:7], v[0:1]
	v_fmac_f64_e32 v[2:3], v[2:3], v[8:9]
	s_addc_u32 s5, s11, s5
	s_add_i32 s7, s6, -1
	v_fmac_f64_e32 v[6:7], v[10:11], v[2:3]
	v_mul_f32_e32 v5, s2, v4
	v_fma_f64 v[8:9], -v[6:7], v[6:7], v[0:1]
	s_and_b64 s[2:3], vcc, exec
	v_fmac_f64_e32 v[6:7], v[8:9], v[2:3]
	s_cselect_b32 s2, 0xffffff80, 0
	v_ldexp_f64 v[2:3], v[6:7], s2
	v_mov_b32_e32 v6, 0x260
	v_cmp_class_f64_e32 vcc, v[0:1], v6
	v_cndmask_b32_e32 v1, v3, v1, vcc
	v_cndmask_b32_e32 v0, v2, v0, vcc
	v_cvt_f32_f64_e32 v1, v[0:1]
	v_div_scale_f32 v2, s[2:3], v1, v1, v5
	v_rcp_f32_e32 v3, v2
	v_mov_b32_e32 v0, 0
	s_mov_b32 s28, 0
	s_mov_b64 s[2:3], 0
	v_fma_f32 v6, -v2, v3, 1.0
	v_fmac_f32_e32 v3, v6, v3
	v_div_scale_f32 v6, vcc, v5, v1, v5
	v_mul_f32_e32 v7, v6, v3
	v_fma_f32 v8, -v2, v7, v6
	v_fmac_f32_e32 v7, v8, v3
	v_fma_f32 v2, -v2, v7, v6
	v_cvt_f32_i32_e32 v6, s0
	v_div_fmas_f32 v2, v2, v3, v7
	v_div_fixup_f32 v1, v2, v1, v5
	s_mov_b32 s8, 0
	v_mul_f32_e32 v2, s1, v6
	v_cmp_lt_f32_e32 vcc, v1, v2
	v_cndmask_b32_e32 v5, v1, v2, vcc
	v_cndmask_b32_e64 v1, 0, 1, s[26:27]
	v_cmp_ne_u32_e64 s[0:1], 1, v1
	s_andn2_b64 vcc, exec, s[26:27]
	global_store_dwordx2 v0, v[4:5], s[4:5]
	s_cbranch_vccnz .LBB25_20
; %bb.4:
	s_add_u32 s33, s29, 4
	s_mov_b32 s11, 0
	s_addc_u32 s34, s30, 0
	s_movk_i32 s35, 0x1f8
	s_mov_b32 s8, s11
	s_mov_b32 s10, s11
	s_lshl_b32 s12, s10, 2
	s_or_b32 s9, s12, 3
	s_cmp_ge_i32 s9, s31
	s_cbranch_scc1 .LBB25_6
.LBB25_5:
	s_mov_b32 s13, s11
	s_lshl_b64 s[12:13], s[12:13], 2
	s_add_u32 s12, s29, s12
	s_addc_u32 s13, s30, s13
	s_waitcnt vmcnt(0)
	v_mov_b32_e32 v1, v0
	v_mov_b32_e32 v2, v0
	;; [unrolled: 1-line block ×3, first 2 shown]
	global_store_dwordx4 v0, v[0:3], s[12:13]
	s_waitcnt vmcnt(0)
	buffer_wbinvl1_vol
.LBB25_6:                               ; =>This Inner Loop Header: Depth=1
	s_lshl_b64 s[12:13], s[10:11], 2
	s_add_u32 s26, s18, s12
	s_addc_u32 s27, s19, s13
	global_load_dword v2, v0, s[26:27]
	s_add_u32 s12, s20, s12
	s_addc_u32 s13, s21, s13
	global_load_dword v1, v0, s[12:13]
	s_waitcnt vmcnt(1)
	v_cmp_class_f32_e64 s[26:27], v2, s35
	s_and_b64 vcc, exec, s[26:27]
	s_cbranch_vccz .LBB25_19
; %bb.7:                                ;   in Loop: Header=BB25_6 Depth=1
	s_waitcnt vmcnt(0)
	v_cmp_class_f32_e64 s[26:27], v1, s35
	s_and_b64 vcc, exec, s[26:27]
	s_cbranch_vccnz .LBB25_9
; %bb.8:                                ;   in Loop: Header=BB25_6 Depth=1
	s_mov_b64 s[2:3], -1
.LBB25_9:                               ;   in Loop: Header=BB25_6 Depth=1
	v_and_b32_e32 v2, 0x7fffffff, v1
	s_cbranch_execnz .LBB25_11
.LBB25_10:                              ;   in Loop: Header=BB25_6 Depth=1
	s_waitcnt vmcnt(0)
	v_and_b32_e32 v2, 0x7fffffff, v1
	s_mov_b64 s[2:3], -1
.LBB25_11:                              ;   in Loop: Header=BB25_6 Depth=1
	v_cmp_lt_f32_e32 vcc, v2, v5
	s_mov_b64 s[26:27], -1
                                        ; implicit-def: $sgpr9
	s_cbranch_vccz .LBB25_14
; %bb.12:                               ;   in Loop: Header=BB25_6 Depth=1
	s_andn2_b64 vcc, exec, s[26:27]
	s_cbranch_vccz .LBB25_15
.LBB25_13:                              ;   in Loop: Header=BB25_6 Depth=1
	s_cmp_eq_u32 s9, s7
	s_cbranch_scc0 .LBB25_18
	s_branch .LBB25_20
.LBB25_14:                              ;   in Loop: Header=BB25_6 Depth=1
	s_add_i32 s9, s10, 1
	s_cbranch_execnz .LBB25_13
.LBB25_15:                              ;   in Loop: Header=BB25_6 Depth=1
	s_cmp_ge_i32 s8, s10
	global_store_dword v0, v0, s[12:13]
	s_cbranch_scc1 .LBB25_17
; %bb.16:                               ;   in Loop: Header=BB25_6 Depth=1
	s_lshl_b32 s12, s28, 2
	s_ashr_i32 s13, s12, 31
	s_lshl_b64 s[12:13], s[12:13], 2
	s_mov_b32 s9, s10
	s_add_u32 s12, s33, s12
	s_addc_u32 s13, s34, s13
	v_pk_mov_b32 v[2:3], s[8:9], s[8:9] op_sel:[0,1]
	s_add_i32 s28, s28, 1
	global_store_dwordx2 v0, v[2:3], s[12:13]
.LBB25_17:                              ;   in Loop: Header=BB25_6 Depth=1
	s_add_i32 s9, s10, 1
	s_mov_b32 s8, s9
	s_cmp_eq_u32 s9, s7
	s_cbranch_scc1 .LBB25_20
.LBB25_18:                              ;   in Loop: Header=BB25_6 Depth=1
	s_mov_b32 s10, s9
	s_lshl_b32 s12, s10, 2
	s_or_b32 s9, s12, 3
	s_cmp_ge_i32 s9, s31
	s_cbranch_scc0 .LBB25_5
	s_branch .LBB25_6
.LBB25_19:                              ;   in Loop: Header=BB25_6 Depth=1
                                        ; implicit-def: $sgpr2_sgpr3
                                        ; implicit-def: $vgpr2
	s_branch .LBB25_10
.LBB25_20:
	s_waitcnt vmcnt(0)
	v_mov_b32_e32 v1, 0
	global_load_dword v0, v1, s[22:23] offset:-4
	s_cmp_lt_i32 s8, s7
	s_cbranch_scc0 .LBB25_22
; %bb.21:
	s_lshl_b32 s10, s28, 2
	s_ashr_i32 s11, s10, 31
	s_lshl_b64 s[10:11], s[10:11], 2
	s_add_u32 s10, s29, s10
	s_addc_u32 s11, s30, s11
	v_mov_b32_e32 v2, s8
	v_mov_b32_e32 v3, s7
	global_store_dwordx2 v1, v[2:3], s[10:11] offset:4
.LBB25_22:
	s_mov_b32 s8, 0x7f800000
	s_waitcnt vmcnt(0)
	v_cmp_nlg_f32_e64 s[8:9], |v0|, s8
	s_or_b64 s[2:3], s[8:9], s[2:3]
	s_andn2_b64 vcc, exec, s[2:3]
	s_mov_b64 s[2:3], -1
	s_cbranch_vccz .LBB25_28
; %bb.23:
	s_add_i32 s8, s28, 1
	v_cvt_f32_i32_e32 v0, s8
	s_lshl_b64 s[2:3], s[16:17], 2
	s_add_u32 s2, s24, s2
	s_addc_u32 s3, s25, s3
	v_mov_b32_e32 v1, 0
	s_cmp_lt_i32 s28, 0
	global_store_dwordx2 v1, v[0:1], s[4:5] offset:8
	global_store_dword v1, v1, s[2:3]
	s_cbranch_scc1 .LBB25_27
; %bb.24:
	s_mov_b64 s[2:3], 0
	v_mov_b32_e32 v3, 0
.LBB25_25:                              ; =>This Inner Loop Header: Depth=1
	v_mov_b32_e32 v2, s8
	global_atomic_cmpswap v3, v1, v[2:3], s[14:15] offset:4 glc
	s_waitcnt vmcnt(0)
	v_cmp_lt_i32_e32 vcc, s28, v3
	s_or_b64 s[2:3], vcc, s[2:3]
	s_andn2_b64 exec, exec, s[2:3]
	s_cbranch_execnz .LBB25_25
; %bb.26:
	s_or_b64 exec, exec, s[2:3]
.LBB25_27:
	s_mov_b64 s[2:3], 0
.LBB25_28:
	s_andn2_b64 vcc, exec, s[2:3]
	s_cbranch_vccnz .LBB25_34
; %bb.29:
	s_and_b64 vcc, exec, s[0:1]
	s_cbranch_vccnz .LBB25_32
; %bb.30:
	v_mov_b32_e32 v0, 0
	v_mov_b32_e32 v1, 0x7fc00000
.LBB25_31:                              ; =>This Inner Loop Header: Depth=1
	s_add_i32 s7, s7, -1
	global_store_dword v0, v1, s[18:19]
	global_store_dword v0, v1, s[20:21]
	s_add_u32 s18, s18, 4
	s_addc_u32 s19, s19, 0
	s_add_u32 s20, s20, 4
	s_addc_u32 s21, s21, 0
	s_cmp_eq_u32 s7, 0
	s_cbranch_scc0 .LBB25_31
.LBB25_32:
	s_lshl_b64 s[2:3], s[16:17], 2
	s_add_u32 s4, s24, s2
	v_mov_b32_e32 v0, 0
	v_mov_b32_e32 v1, 0x7fc00000
	s_addc_u32 s5, s25, s3
	global_store_dword v0, v1, s[22:23] offset:-4
	v_mov_b32_e32 v1, s6
	s_add_u32 s2, s14, s2
	s_mov_b64 s[0:1], exec
	global_store_dword v0, v1, s[4:5]
	s_addc_u32 s3, s15, s3
	v_mov_b32_e32 v1, 2
	global_store_dword v0, v1, s[2:3] offset:8
	v_mbcnt_lo_u32_b32 v1, s0, 0
	v_mbcnt_hi_u32_b32 v1, s1, v1
	v_cmp_eq_u32_e32 vcc, 0, v1
	s_and_saveexec_b64 s[2:3], vcc
	s_cbranch_execz .LBB25_34
; %bb.33:
	s_bcnt1_i32_b64 s0, s[0:1]
	v_mov_b32_e32 v1, s0
	global_atomic_add v0, v1, s[14:15]
.LBB25_34:
	s_endpgm
	.section	.rodata,"a",@progbits
	.p2align	6, 0x0
	.amdhsa_kernel _ZN9rocsolver6v33100L10bdsqr_initIffEEviPT0_lS3_lPiiS2_S2_S4_S3_lS4_
		.amdhsa_group_segment_fixed_size 0
		.amdhsa_private_segment_fixed_size 0
		.amdhsa_kernarg_size 96
		.amdhsa_user_sgpr_count 6
		.amdhsa_user_sgpr_private_segment_buffer 1
		.amdhsa_user_sgpr_dispatch_ptr 0
		.amdhsa_user_sgpr_queue_ptr 0
		.amdhsa_user_sgpr_kernarg_segment_ptr 1
		.amdhsa_user_sgpr_dispatch_id 0
		.amdhsa_user_sgpr_flat_scratch_init 0
		.amdhsa_user_sgpr_kernarg_preload_length 0
		.amdhsa_user_sgpr_kernarg_preload_offset 0
		.amdhsa_user_sgpr_private_segment_size 0
		.amdhsa_uses_dynamic_stack 0
		.amdhsa_system_sgpr_private_segment_wavefront_offset 0
		.amdhsa_system_sgpr_workgroup_id_x 1
		.amdhsa_system_sgpr_workgroup_id_y 1
		.amdhsa_system_sgpr_workgroup_id_z 0
		.amdhsa_system_sgpr_workgroup_info 0
		.amdhsa_system_vgpr_workitem_id 0
		.amdhsa_next_free_vgpr 12
		.amdhsa_next_free_sgpr 36
		.amdhsa_accum_offset 12
		.amdhsa_reserve_vcc 1
		.amdhsa_reserve_flat_scratch 0
		.amdhsa_float_round_mode_32 0
		.amdhsa_float_round_mode_16_64 0
		.amdhsa_float_denorm_mode_32 3
		.amdhsa_float_denorm_mode_16_64 3
		.amdhsa_dx10_clamp 1
		.amdhsa_ieee_mode 1
		.amdhsa_fp16_overflow 0
		.amdhsa_tg_split 0
		.amdhsa_exception_fp_ieee_invalid_op 0
		.amdhsa_exception_fp_denorm_src 0
		.amdhsa_exception_fp_ieee_div_zero 0
		.amdhsa_exception_fp_ieee_overflow 0
		.amdhsa_exception_fp_ieee_underflow 0
		.amdhsa_exception_fp_ieee_inexact 0
		.amdhsa_exception_int_div_zero 0
	.end_amdhsa_kernel
	.section	.text._ZN9rocsolver6v33100L10bdsqr_initIffEEviPT0_lS3_lPiiS2_S2_S4_S3_lS4_,"axG",@progbits,_ZN9rocsolver6v33100L10bdsqr_initIffEEviPT0_lS3_lPiiS2_S2_S4_S3_lS4_,comdat
.Lfunc_end25:
	.size	_ZN9rocsolver6v33100L10bdsqr_initIffEEviPT0_lS3_lPiiS2_S2_S4_S3_lS4_, .Lfunc_end25-_ZN9rocsolver6v33100L10bdsqr_initIffEEviPT0_lS3_lPiiS2_S2_S4_S3_lS4_
                                        ; -- End function
	.section	.AMDGPU.csdata,"",@progbits
; Kernel info:
; codeLenInByte = 1496
; NumSgprs: 40
; NumVgprs: 12
; NumAgprs: 0
; TotalNumVgprs: 12
; ScratchSize: 0
; MemoryBound: 0
; FloatMode: 240
; IeeeMode: 1
; LDSByteSize: 0 bytes/workgroup (compile time only)
; SGPRBlocks: 4
; VGPRBlocks: 1
; NumSGPRsForWavesPerEU: 40
; NumVGPRsForWavesPerEU: 12
; AccumOffset: 12
; Occupancy: 8
; WaveLimiterHint : 0
; COMPUTE_PGM_RSRC2:SCRATCH_EN: 0
; COMPUTE_PGM_RSRC2:USER_SGPR: 6
; COMPUTE_PGM_RSRC2:TRAP_HANDLER: 0
; COMPUTE_PGM_RSRC2:TGID_X_EN: 1
; COMPUTE_PGM_RSRC2:TGID_Y_EN: 1
; COMPUTE_PGM_RSRC2:TGID_Z_EN: 0
; COMPUTE_PGM_RSRC2:TIDIG_COMP_CNT: 0
; COMPUTE_PGM_RSRC3_GFX90A:ACCUM_OFFSET: 2
; COMPUTE_PGM_RSRC3_GFX90A:TG_SPLIT: 0
	.section	.text._ZN9rocsolver6v33100L11swap_kernelIfiEEvT0_PT_S2_S4_S2_,"axG",@progbits,_ZN9rocsolver6v33100L11swap_kernelIfiEEvT0_PT_S2_S4_S2_,comdat
	.globl	_ZN9rocsolver6v33100L11swap_kernelIfiEEvT0_PT_S2_S4_S2_ ; -- Begin function _ZN9rocsolver6v33100L11swap_kernelIfiEEvT0_PT_S2_S4_S2_
	.p2align	8
	.type	_ZN9rocsolver6v33100L11swap_kernelIfiEEvT0_PT_S2_S4_S2_,@function
_ZN9rocsolver6v33100L11swap_kernelIfiEEvT0_PT_S2_S4_S2_: ; @_ZN9rocsolver6v33100L11swap_kernelIfiEEvT0_PT_S2_S4_S2_
; %bb.0:
	s_load_dword s16, s[4:5], 0x0
	s_waitcnt lgkmcnt(0)
	s_cmp_lt_i32 s16, 1
	s_cbranch_scc1 .LBB26_10
; %bb.1:
	s_load_dword s0, s[4:5], 0x28
	s_load_dword s1, s[4:5], 0x34
	s_load_dwordx2 s[2:3], s[4:5], 0x8
	s_load_dword s12, s[4:5], 0x10
	s_load_dwordx2 s[8:9], s[4:5], 0x18
	s_load_dword s10, s[4:5], 0x20
	s_waitcnt lgkmcnt(0)
	s_and_b32 s1, s1, 0xffff
	s_mul_i32 s6, s6, s1
	s_cmp_eq_u32 s12, 1
	s_mul_i32 s4, s0, s1
	s_cselect_b64 s[0:1], -1, 0
	s_cmp_eq_u32 s10, 1
	v_add_u32_e32 v0, s6, v0
	s_cselect_b64 s[6:7], -1, 0
	s_and_b64 s[14:15], s[0:1], s[6:7]
	v_cmp_gt_i32_e64 s[0:1], s16, v0
	s_mov_b64 s[6:7], -1
	s_and_b64 vcc, exec, s[14:15]
	s_cbranch_vccnz .LBB26_6
; %bb.2:
	s_and_saveexec_b64 s[6:7], s[0:1]
	s_cbranch_execz .LBB26_5
; %bb.3:
	v_mad_i64_i32 v[2:3], s[14:15], s10, v0, 0
	v_lshlrev_b64 v[2:3], 2, v[2:3]
	v_mov_b32_e32 v1, s9
	v_add_co_u32_e32 v2, vcc, s8, v2
	v_mad_i64_i32 v[4:5], s[14:15], s12, v0, 0
	v_addc_co_u32_e32 v3, vcc, v1, v3, vcc
	s_mul_hi_i32 s11, s10, s4
	s_mul_i32 s10, s10, s4
	v_lshlrev_b64 v[4:5], 2, v[4:5]
	s_mul_hi_i32 s13, s12, s4
	s_mul_i32 s12, s12, s4
	s_lshl_b64 s[10:11], s[10:11], 2
	v_mov_b32_e32 v1, s3
	v_add_co_u32_e32 v4, vcc, s2, v4
	s_lshl_b64 s[12:13], s[12:13], 2
	v_addc_co_u32_e32 v5, vcc, v1, v5, vcc
	s_mov_b64 s[14:15], 0
	v_mov_b32_e32 v1, s11
	v_mov_b32_e32 v6, s13
	;; [unrolled: 1-line block ×3, first 2 shown]
.LBB26_4:                               ; =>This Inner Loop Header: Depth=1
	global_load_dword v8, v[4:5], off
	global_load_dword v9, v[2:3], off
	v_add_u32_e32 v7, s4, v7
	v_cmp_le_i32_e32 vcc, s16, v7
	s_or_b64 s[14:15], vcc, s[14:15]
	s_waitcnt vmcnt(1)
	global_store_dword v[2:3], v8, off
	s_waitcnt vmcnt(1)
	global_store_dword v[4:5], v9, off
	v_add_co_u32_e32 v2, vcc, s10, v2
	v_addc_co_u32_e32 v3, vcc, v3, v1, vcc
	v_add_co_u32_e32 v4, vcc, s12, v4
	v_addc_co_u32_e32 v5, vcc, v5, v6, vcc
	s_andn2_b64 exec, exec, s[14:15]
	s_cbranch_execnz .LBB26_4
.LBB26_5:
	s_or_b64 exec, exec, s[6:7]
	s_mov_b64 s[6:7], 0
.LBB26_6:
	s_andn2_b64 vcc, exec, s[6:7]
	s_cbranch_vccnz .LBB26_10
; %bb.7:
	s_and_saveexec_b64 s[6:7], s[0:1]
	s_cbranch_execz .LBB26_10
; %bb.8:
	s_ashr_i32 s5, s4, 31
	v_ashrrev_i32_e32 v1, 31, v0
	s_lshl_b64 s[0:1], s[4:5], 2
	v_lshlrev_b64 v[2:3], 2, v[0:1]
	s_mov_b64 s[6:7], 0
	v_mov_b32_e32 v1, s9
	v_mov_b32_e32 v4, s3
	;; [unrolled: 1-line block ×3, first 2 shown]
.LBB26_9:                               ; =>This Inner Loop Header: Depth=1
	v_add_co_u32_e32 v6, vcc, s8, v2
	v_addc_co_u32_e32 v7, vcc, v1, v3, vcc
	v_add_co_u32_e32 v8, vcc, s2, v2
	v_addc_co_u32_e32 v9, vcc, v4, v3, vcc
	global_load_dword v10, v[8:9], off
	global_load_dword v11, v[6:7], off
	v_add_co_u32_e32 v2, vcc, s0, v2
	v_add_u32_e32 v0, s4, v0
	v_addc_co_u32_e32 v3, vcc, v3, v5, vcc
	v_cmp_le_i32_e32 vcc, s16, v0
	s_or_b64 s[6:7], vcc, s[6:7]
	s_waitcnt vmcnt(1)
	global_store_dword v[6:7], v10, off
	s_waitcnt vmcnt(1)
	global_store_dword v[8:9], v11, off
	s_andn2_b64 exec, exec, s[6:7]
	s_cbranch_execnz .LBB26_9
.LBB26_10:
	s_endpgm
	.section	.rodata,"a",@progbits
	.p2align	6, 0x0
	.amdhsa_kernel _ZN9rocsolver6v33100L11swap_kernelIfiEEvT0_PT_S2_S4_S2_
		.amdhsa_group_segment_fixed_size 0
		.amdhsa_private_segment_fixed_size 0
		.amdhsa_kernarg_size 296
		.amdhsa_user_sgpr_count 6
		.amdhsa_user_sgpr_private_segment_buffer 1
		.amdhsa_user_sgpr_dispatch_ptr 0
		.amdhsa_user_sgpr_queue_ptr 0
		.amdhsa_user_sgpr_kernarg_segment_ptr 1
		.amdhsa_user_sgpr_dispatch_id 0
		.amdhsa_user_sgpr_flat_scratch_init 0
		.amdhsa_user_sgpr_kernarg_preload_length 0
		.amdhsa_user_sgpr_kernarg_preload_offset 0
		.amdhsa_user_sgpr_private_segment_size 0
		.amdhsa_uses_dynamic_stack 0
		.amdhsa_system_sgpr_private_segment_wavefront_offset 0
		.amdhsa_system_sgpr_workgroup_id_x 1
		.amdhsa_system_sgpr_workgroup_id_y 0
		.amdhsa_system_sgpr_workgroup_id_z 0
		.amdhsa_system_sgpr_workgroup_info 0
		.amdhsa_system_vgpr_workitem_id 0
		.amdhsa_next_free_vgpr 12
		.amdhsa_next_free_sgpr 17
		.amdhsa_accum_offset 12
		.amdhsa_reserve_vcc 1
		.amdhsa_reserve_flat_scratch 0
		.amdhsa_float_round_mode_32 0
		.amdhsa_float_round_mode_16_64 0
		.amdhsa_float_denorm_mode_32 3
		.amdhsa_float_denorm_mode_16_64 3
		.amdhsa_dx10_clamp 1
		.amdhsa_ieee_mode 1
		.amdhsa_fp16_overflow 0
		.amdhsa_tg_split 0
		.amdhsa_exception_fp_ieee_invalid_op 0
		.amdhsa_exception_fp_denorm_src 0
		.amdhsa_exception_fp_ieee_div_zero 0
		.amdhsa_exception_fp_ieee_overflow 0
		.amdhsa_exception_fp_ieee_underflow 0
		.amdhsa_exception_fp_ieee_inexact 0
		.amdhsa_exception_int_div_zero 0
	.end_amdhsa_kernel
	.section	.text._ZN9rocsolver6v33100L11swap_kernelIfiEEvT0_PT_S2_S4_S2_,"axG",@progbits,_ZN9rocsolver6v33100L11swap_kernelIfiEEvT0_PT_S2_S4_S2_,comdat
.Lfunc_end26:
	.size	_ZN9rocsolver6v33100L11swap_kernelIfiEEvT0_PT_S2_S4_S2_, .Lfunc_end26-_ZN9rocsolver6v33100L11swap_kernelIfiEEvT0_PT_S2_S4_S2_
                                        ; -- End function
	.section	.AMDGPU.csdata,"",@progbits
; Kernel info:
; codeLenInByte = 460
; NumSgprs: 21
; NumVgprs: 12
; NumAgprs: 0
; TotalNumVgprs: 12
; ScratchSize: 0
; MemoryBound: 0
; FloatMode: 240
; IeeeMode: 1
; LDSByteSize: 0 bytes/workgroup (compile time only)
; SGPRBlocks: 2
; VGPRBlocks: 1
; NumSGPRsForWavesPerEU: 21
; NumVGPRsForWavesPerEU: 12
; AccumOffset: 12
; Occupancy: 8
; WaveLimiterHint : 0
; COMPUTE_PGM_RSRC2:SCRATCH_EN: 0
; COMPUTE_PGM_RSRC2:USER_SGPR: 6
; COMPUTE_PGM_RSRC2:TRAP_HANDLER: 0
; COMPUTE_PGM_RSRC2:TGID_X_EN: 1
; COMPUTE_PGM_RSRC2:TGID_Y_EN: 0
; COMPUTE_PGM_RSRC2:TGID_Z_EN: 0
; COMPUTE_PGM_RSRC2:TIDIG_COMP_CNT: 0
; COMPUTE_PGM_RSRC3_GFX90A:ACCUM_OFFSET: 2
; COMPUTE_PGM_RSRC3_GFX90A:TG_SPLIT: 0
	.section	.text._ZN9rocsolver6v33100L10rot_kernelIffiEEvT1_PT0_S2_S4_S2_T_S5_,"axG",@progbits,_ZN9rocsolver6v33100L10rot_kernelIffiEEvT1_PT0_S2_S4_S2_T_S5_,comdat
	.globl	_ZN9rocsolver6v33100L10rot_kernelIffiEEvT1_PT0_S2_S4_S2_T_S5_ ; -- Begin function _ZN9rocsolver6v33100L10rot_kernelIffiEEvT1_PT0_S2_S4_S2_T_S5_
	.p2align	8
	.type	_ZN9rocsolver6v33100L10rot_kernelIffiEEvT1_PT0_S2_S4_S2_T_S5_,@function
_ZN9rocsolver6v33100L10rot_kernelIffiEEvT1_PT0_S2_S4_S2_T_S5_: ; @_ZN9rocsolver6v33100L10rot_kernelIffiEEvT1_PT0_S2_S4_S2_T_S5_
; %bb.0:
	s_load_dword s20, s[4:5], 0x0
	s_waitcnt lgkmcnt(0)
	s_cmp_lt_i32 s20, 1
	s_cbranch_scc1 .LBB27_10
; %bb.1:
	s_load_dword s0, s[4:5], 0x3c
	s_load_dwordx4 s[8:11], s[4:5], 0x20
	s_load_dword s1, s[4:5], 0x30
	s_load_dwordx2 s[2:3], s[4:5], 0x8
	s_waitcnt lgkmcnt(0)
	s_load_dword s11, s[4:5], 0x10
	s_load_dwordx2 s[12:13], s[4:5], 0x18
	s_and_b32 s0, s0, 0xffff
	s_mul_i32 s6, s6, s0
	s_mul_i32 s4, s1, s0
	s_waitcnt lgkmcnt(0)
	s_cmp_eq_u32 s11, 1
	s_cselect_b64 s[0:1], -1, 0
	s_cmp_eq_u32 s8, 1
	v_add_u32_e32 v0, s6, v0
	s_cselect_b64 s[6:7], -1, 0
	s_and_b64 s[14:15], s[0:1], s[6:7]
	v_cmp_gt_i32_e64 s[0:1], s20, v0
	s_mov_b64 s[6:7], -1
	s_and_b64 vcc, exec, s[14:15]
	s_cbranch_vccnz .LBB27_6
; %bb.2:
	s_and_saveexec_b64 s[6:7], s[0:1]
	s_cbranch_execz .LBB27_5
; %bb.3:
	v_mad_i64_i32 v[2:3], s[14:15], s8, v0, 0
	v_lshlrev_b64 v[2:3], 2, v[2:3]
	v_mov_b32_e32 v1, s13
	v_add_co_u32_e32 v2, vcc, s12, v2
	v_mad_i64_i32 v[4:5], s[16:17], s11, v0, 0
	v_addc_co_u32_e32 v3, vcc, v1, v3, vcc
	s_mul_hi_i32 s15, s8, s4
	s_mul_i32 s14, s8, s4
	v_lshlrev_b64 v[4:5], 2, v[4:5]
	s_mul_hi_i32 s17, s11, s4
	s_mul_i32 s16, s11, s4
	s_lshl_b64 s[14:15], s[14:15], 2
	v_mov_b32_e32 v1, s3
	v_add_co_u32_e32 v4, vcc, s2, v4
	s_lshl_b64 s[16:17], s[16:17], 2
	v_addc_co_u32_e32 v5, vcc, v1, v5, vcc
	s_mov_b64 s[18:19], 0
	v_mov_b32_e32 v1, s15
	v_mov_b32_e32 v6, s17
	;; [unrolled: 1-line block ×3, first 2 shown]
.LBB27_4:                               ; =>This Inner Loop Header: Depth=1
	global_load_dword v8, v[2:3], off
	global_load_dword v9, v[4:5], off
	v_add_u32_e32 v7, s4, v7
	v_cmp_le_i32_e32 vcc, s20, v7
	s_or_b64 s[18:19], vcc, s[18:19]
	s_waitcnt vmcnt(1)
	v_mul_f32_e32 v10, s10, v8
	s_waitcnt vmcnt(0)
	v_mul_f32_e32 v11, s10, v9
	v_fma_f32 v8, v8, s9, -v11
	v_fmac_f32_e32 v10, s9, v9
	global_store_dword v[2:3], v8, off
	global_store_dword v[4:5], v10, off
	v_add_co_u32_e32 v2, vcc, s14, v2
	v_addc_co_u32_e32 v3, vcc, v3, v1, vcc
	v_add_co_u32_e32 v4, vcc, s16, v4
	v_addc_co_u32_e32 v5, vcc, v5, v6, vcc
	s_andn2_b64 exec, exec, s[18:19]
	s_cbranch_execnz .LBB27_4
.LBB27_5:
	s_or_b64 exec, exec, s[6:7]
	s_mov_b64 s[6:7], 0
.LBB27_6:
	s_andn2_b64 vcc, exec, s[6:7]
	s_cbranch_vccnz .LBB27_10
; %bb.7:
	s_and_saveexec_b64 s[6:7], s[0:1]
	s_cbranch_execz .LBB27_10
; %bb.8:
	s_ashr_i32 s5, s4, 31
	v_ashrrev_i32_e32 v1, 31, v0
	s_lshl_b64 s[0:1], s[4:5], 2
	v_lshlrev_b64 v[2:3], 2, v[0:1]
	s_mov_b64 s[6:7], 0
	v_mov_b32_e32 v1, s3
	v_mov_b32_e32 v4, s13
	;; [unrolled: 1-line block ×3, first 2 shown]
.LBB27_9:                               ; =>This Inner Loop Header: Depth=1
	v_add_co_u32_e32 v6, vcc, s2, v2
	v_addc_co_u32_e32 v7, vcc, v1, v3, vcc
	v_add_co_u32_e32 v8, vcc, s12, v2
	v_addc_co_u32_e32 v9, vcc, v4, v3, vcc
	global_load_dword v10, v[8:9], off
	global_load_dword v11, v[6:7], off
	v_add_co_u32_e32 v2, vcc, s0, v2
	v_add_u32_e32 v0, s4, v0
	v_addc_co_u32_e32 v3, vcc, v3, v5, vcc
	v_cmp_le_i32_e32 vcc, s20, v0
	s_or_b64 s[6:7], vcc, s[6:7]
	s_waitcnt vmcnt(1)
	v_mul_f32_e32 v12, s10, v10
	s_waitcnt vmcnt(0)
	v_mul_f32_e32 v13, s10, v11
	v_fma_f32 v10, v10, s9, -v13
	v_fmac_f32_e32 v12, s9, v11
	global_store_dword v[8:9], v10, off
	global_store_dword v[6:7], v12, off
	s_andn2_b64 exec, exec, s[6:7]
	s_cbranch_execnz .LBB27_9
.LBB27_10:
	s_endpgm
	.section	.rodata,"a",@progbits
	.p2align	6, 0x0
	.amdhsa_kernel _ZN9rocsolver6v33100L10rot_kernelIffiEEvT1_PT0_S2_S4_S2_T_S5_
		.amdhsa_group_segment_fixed_size 0
		.amdhsa_private_segment_fixed_size 0
		.amdhsa_kernarg_size 304
		.amdhsa_user_sgpr_count 6
		.amdhsa_user_sgpr_private_segment_buffer 1
		.amdhsa_user_sgpr_dispatch_ptr 0
		.amdhsa_user_sgpr_queue_ptr 0
		.amdhsa_user_sgpr_kernarg_segment_ptr 1
		.amdhsa_user_sgpr_dispatch_id 0
		.amdhsa_user_sgpr_flat_scratch_init 0
		.amdhsa_user_sgpr_kernarg_preload_length 0
		.amdhsa_user_sgpr_kernarg_preload_offset 0
		.amdhsa_user_sgpr_private_segment_size 0
		.amdhsa_uses_dynamic_stack 0
		.amdhsa_system_sgpr_private_segment_wavefront_offset 0
		.amdhsa_system_sgpr_workgroup_id_x 1
		.amdhsa_system_sgpr_workgroup_id_y 0
		.amdhsa_system_sgpr_workgroup_id_z 0
		.amdhsa_system_sgpr_workgroup_info 0
		.amdhsa_system_vgpr_workitem_id 0
		.amdhsa_next_free_vgpr 14
		.amdhsa_next_free_sgpr 21
		.amdhsa_accum_offset 16
		.amdhsa_reserve_vcc 1
		.amdhsa_reserve_flat_scratch 0
		.amdhsa_float_round_mode_32 0
		.amdhsa_float_round_mode_16_64 0
		.amdhsa_float_denorm_mode_32 3
		.amdhsa_float_denorm_mode_16_64 3
		.amdhsa_dx10_clamp 1
		.amdhsa_ieee_mode 1
		.amdhsa_fp16_overflow 0
		.amdhsa_tg_split 0
		.amdhsa_exception_fp_ieee_invalid_op 0
		.amdhsa_exception_fp_denorm_src 0
		.amdhsa_exception_fp_ieee_div_zero 0
		.amdhsa_exception_fp_ieee_overflow 0
		.amdhsa_exception_fp_ieee_underflow 0
		.amdhsa_exception_fp_ieee_inexact 0
		.amdhsa_exception_int_div_zero 0
	.end_amdhsa_kernel
	.section	.text._ZN9rocsolver6v33100L10rot_kernelIffiEEvT1_PT0_S2_S4_S2_T_S5_,"axG",@progbits,_ZN9rocsolver6v33100L10rot_kernelIffiEEvT1_PT0_S2_S4_S2_T_S5_,comdat
.Lfunc_end27:
	.size	_ZN9rocsolver6v33100L10rot_kernelIffiEEvT1_PT0_S2_S4_S2_T_S5_, .Lfunc_end27-_ZN9rocsolver6v33100L10rot_kernelIffiEEvT1_PT0_S2_S4_S2_T_S5_
                                        ; -- End function
	.section	.AMDGPU.csdata,"",@progbits
; Kernel info:
; codeLenInByte = 504
; NumSgprs: 25
; NumVgprs: 14
; NumAgprs: 0
; TotalNumVgprs: 14
; ScratchSize: 0
; MemoryBound: 0
; FloatMode: 240
; IeeeMode: 1
; LDSByteSize: 0 bytes/workgroup (compile time only)
; SGPRBlocks: 3
; VGPRBlocks: 1
; NumSGPRsForWavesPerEU: 25
; NumVGPRsForWavesPerEU: 14
; AccumOffset: 16
; Occupancy: 8
; WaveLimiterHint : 0
; COMPUTE_PGM_RSRC2:SCRATCH_EN: 0
; COMPUTE_PGM_RSRC2:USER_SGPR: 6
; COMPUTE_PGM_RSRC2:TRAP_HANDLER: 0
; COMPUTE_PGM_RSRC2:TGID_X_EN: 1
; COMPUTE_PGM_RSRC2:TGID_Y_EN: 0
; COMPUTE_PGM_RSRC2:TGID_Z_EN: 0
; COMPUTE_PGM_RSRC2:TIDIG_COMP_CNT: 0
; COMPUTE_PGM_RSRC3_GFX90A:ACCUM_OFFSET: 3
; COMPUTE_PGM_RSRC3_GFX90A:TG_SPLIT: 0
	.section	.text._ZN9rocsolver6v33100L11lasr_kernelIffPfiEEv13rocblas_side_14rocblas_pivot_15rocblas_direct_T2_S6_PT0_lS8_lT1_lS6_lS6_,"axG",@progbits,_ZN9rocsolver6v33100L11lasr_kernelIffPfiEEv13rocblas_side_14rocblas_pivot_15rocblas_direct_T2_S6_PT0_lS8_lT1_lS6_lS6_,comdat
	.globl	_ZN9rocsolver6v33100L11lasr_kernelIffPfiEEv13rocblas_side_14rocblas_pivot_15rocblas_direct_T2_S6_PT0_lS8_lT1_lS6_lS6_ ; -- Begin function _ZN9rocsolver6v33100L11lasr_kernelIffPfiEEv13rocblas_side_14rocblas_pivot_15rocblas_direct_T2_S6_PT0_lS8_lT1_lS6_lS6_
	.p2align	8
	.type	_ZN9rocsolver6v33100L11lasr_kernelIffPfiEEv13rocblas_side_14rocblas_pivot_15rocblas_direct_T2_S6_PT0_lS8_lT1_lS6_lS6_,@function
_ZN9rocsolver6v33100L11lasr_kernelIffPfiEEv13rocblas_side_14rocblas_pivot_15rocblas_direct_T2_S6_PT0_lS8_lT1_lS6_lS6_: ; @_ZN9rocsolver6v33100L11lasr_kernelIffPfiEEv13rocblas_side_14rocblas_pivot_15rocblas_direct_T2_S6_PT0_lS8_lT1_lS6_lS6_
; %bb.0:
	s_load_dword s33, s[4:5], 0x58
	s_waitcnt lgkmcnt(0)
	s_cmp_ge_u32 s7, s33
	s_cbranch_scc1 .LBB28_98
; %bb.1:
	s_load_dwordx4 s[0:3], s[4:5], 0x38
	s_load_dword s20, s[4:5], 0x48
	s_load_dwordx2 s[22:23], s[4:5], 0x50
	s_load_dword s26, s[4:5], 0x60
	s_load_dwordx2 s[24:25], s[4:5], 0x68
	s_load_dwordx4 s[16:19], s[4:5], 0x0
	s_load_dword s86, s[4:5], 0x10
	s_load_dwordx8 s[8:15], s[4:5], 0x18
	s_waitcnt lgkmcnt(0)
	s_ashr_i32 s21, s20, 31
	s_and_b32 s5, s25, 0xffff
	s_mul_i32 s6, s6, s5
	s_lshl_b64 s[2:3], s[2:3], 2
	v_add_u32_e32 v0, s6, v0
	s_add_u32 s6, s0, s2
	s_addc_u32 s25, s1, s3
	s_cmpk_lg_i32 s16, 0x8d
	s_cselect_b64 s[38:39], -1, 0
	s_cmpk_lg_i32 s16, 0x8e
	s_cselect_b64 s[44:45], -1, 0
	;; [unrolled: 2-line block ×6, first 2 shown]
	s_or_b64 s[28:29], s[38:39], s[42:43]
	s_or_b64 s[16:17], s[28:29], s[52:53]
	s_xor_b64 s[16:17], s[16:17], -1
	s_ashr_i32 s27, s19, 31
	s_add_i32 s62, s19, -2
	s_cmpk_lg_i32 s18, 0xac
	s_cselect_b64 s[54:55], -1, 0
	s_or_b64 s[28:29], s[28:29], s[54:55]
	s_xor_b64 s[28:29], s[28:29], -1
	s_cmp_gt_i32 s19, 1
	s_cselect_b64 s[30:31], -1, 0
	s_or_b64 s[36:37], s[38:39], s[50:51]
	s_or_b64 s[40:41], s[38:39], s[48:49]
	;; [unrolled: 1-line block ×9, first 2 shown]
	s_xor_b64 s[34:35], s[34:35], -1
	s_xor_b64 s[36:37], s[36:37], -1
	s_xor_b64 s[38:39], s[38:39], -1
	s_xor_b64 s[40:41], s[40:41], -1
	s_xor_b64 s[42:43], s[42:43], -1
	s_add_i32 s18, s86, -1
	s_xor_b64 s[46:47], s[46:47], -1
                                        ; implicit-def: $vgpr42 : SGPR spill to VGPR lane
	s_add_i32 s68, s86, -2
	v_writelane_b32 v42, s46, 0
	s_cmp_gt_i32 s86, 1
	v_writelane_b32 v42, s47, 1
	s_cselect_b64 s[46:47], -1, 0
	s_or_b64 s[50:51], s[44:45], s[50:51]
	s_or_b64 s[56:57], s[50:51], s[52:53]
	s_xor_b64 s[56:57], s[56:57], -1
	v_writelane_b32 v42, s56, 2
	s_or_b64 s[50:51], s[50:51], s[54:55]
	v_writelane_b32 v42, s57, 3
	s_xor_b64 s[50:51], s[50:51], -1
	s_or_b64 s[44:45], s[44:45], s[48:49]
	v_writelane_b32 v42, s50, 4
	s_or_b64 s[48:49], s[44:45], s[52:53]
	v_writelane_b32 v42, s51, 5
	s_xor_b64 s[48:49], s[48:49], -1
	v_writelane_b32 v42, s48, 6
	v_cmp_le_i32_e32 vcc, s19, v0
	v_writelane_b32 v42, s49, 7
	s_or_b64 s[48:49], s[54:55], vcc
	s_or_b64 s[44:45], s[44:45], s[48:49]
	s_xor_b64 s[44:45], s[44:45], -1
	v_writelane_b32 v42, s44, 8
	s_mul_i32 s4, s26, s5
	v_writelane_b32 v42, s45, 9
	v_mad_i64_i32 v[2:3], s[44:45], s20, v0, 0
	s_mul_hi_i32 s45, s20, s4
	s_mul_i32 s44, s20, s4
	s_mov_b32 s63, 0
	s_add_i32 s56, s19, -1
	s_lshl_b64 s[58:59], s[22:23], 2
	s_ashr_i32 s5, s4, 31
	s_lshl_b64 s[60:61], s[44:45], 2
	s_lshl_b64 s[10:11], s[10:11], 2
	;; [unrolled: 1-line block ×4, first 2 shown]
	s_add_u32 s87, s8, s44
	s_addc_u32 s88, s9, s45
	s_add_u32 s89, s12, s44
	s_addc_u32 s90, s13, s45
	s_mov_b32 s57, s63
	s_add_u32 s26, s0, s44
	s_addc_u32 s48, s1, s45
	s_add_i32 s91, s19, 1
	s_lshl_b64 s[44:45], s[56:57], 2
	s_add_u32 s49, s0, s44
	v_lshlrev_b64 v[2:3], 2, v[2:3]
	s_addc_u32 s50, s1, s45
	s_mul_i32 s44, s21, s18
	s_mul_hi_u32 s45, s20, s18
	s_mul_i32 s62, s20, s18
	v_mov_b32_e32 v1, s3
	v_add_co_u32_e32 v4, vcc, s2, v2
	s_add_i32 s45, s45, s44
	s_mov_b32 s44, s62
	v_addc_co_u32_e32 v1, vcc, v3, v1, vcc
	s_lshl_b64 s[44:45], s[44:45], 2
	s_lshl_b64 s[64:65], s[20:21], 2
	;; [unrolled: 1-line block ×3, first 2 shown]
	s_add_u32 s5, s44, s2
	v_mov_b32_e32 v2, s1
	v_add_co_u32_e32 v18, vcc, s0, v4
	s_addc_u32 s44, s45, s3
	v_addc_co_u32_e32 v19, vcc, v2, v1, vcc
	s_mov_b32 s69, s63
	s_add_u32 s51, s0, s5
	v_add_co_u32_e32 v2, vcc, 4, v18
	s_addc_u32 s52, s1, s44
	s_lshl_b64 s[44:45], s[68:69], 2
	v_addc_co_u32_e32 v3, vcc, 0, v19, vcc
	s_add_u32 s5, s8, s44
	v_mov_b32_e32 v5, s48
	v_add_co_u32_e32 v20, vcc, s26, v4
	s_addc_u32 s57, s9, s45
	v_addc_co_u32_e32 v21, vcc, v5, v1, vcc
	s_add_u32 s92, s12, s44
	s_mul_i32 s21, s21, s68
	s_mul_hi_u32 s44, s20, s68
	v_add_co_u32_e32 v22, vcc, 4, v20
	s_addc_u32 s93, s13, s45
	s_add_i32 s45, s44, s21
	s_mul_i32 s44, s20, s68
	v_addc_co_u32_e32 v23, vcc, 0, v21, vcc
	s_lshl_b64 s[44:45], s[44:45], 2
	v_mov_b32_e32 v5, s50
	v_add_co_u32_e32 v24, vcc, s49, v4
	s_add_u32 s21, s44, s2
	v_addc_co_u32_e32 v25, vcc, v5, v1, vcc
	v_ashrrev_i32_e32 v1, 31, v0
	s_addc_u32 s44, s45, s3
	v_lshlrev_b64 v[4:5], 2, v[0:1]
	s_add_u32 s21, s0, s21
	v_mov_b32_e32 v6, s25
	v_add_co_u32_e32 v1, vcc, s6, v4
	s_addc_u32 s44, s1, s44
	v_addc_co_u32_e32 v26, vcc, v6, v5, vcc
	s_add_u32 s2, s2, s64
	v_mov_b32_e32 v6, s52
	v_add_co_u32_e32 v27, vcc, s51, v4
	s_addc_u32 s3, s3, s65
	v_addc_co_u32_e32 v28, vcc, v6, v5, vcc
	s_add_u32 s2, s0, s2
	v_mov_b32_e32 v6, s44
	v_add_co_u32_e32 v29, vcc, s21, v4
	s_addc_u32 s1, s1, s3
	v_addc_co_u32_e32 v30, vcc, v6, v5, vcc
	s_add_i32 s21, s86, 1
	v_mov_b32_e32 v6, s1
	v_add_co_u32_e32 v31, vcc, s2, v4
	s_sub_u32 s94, 0, s64
	v_addc_co_u32_e32 v32, vcc, v6, v5, vcc
	s_mov_b32 s26, s19
	s_mul_hi_i32 s63, s20, s18
	s_subb_u32 s95, 0, s65
	v_mov_b32_e32 v33, 0
	v_mov_b32_e32 v34, s61
	v_cmp_gt_i32_e64 s[0:1], s86, v0
	v_cmp_gt_i32_e64 s[2:3], s19, v0
	s_branch .LBB28_4
.LBB28_2:                               ;   in Loop: Header=BB28_4 Depth=1
	s_or_b64 exec, exec, s[68:69]
.LBB28_3:                               ;   in Loop: Header=BB28_4 Depth=1
	s_add_i32 s7, s7, s24
	s_cmp_ge_u32 s7, s33
	s_cbranch_scc1 .LBB28_98
.LBB28_4:                               ; =>This Loop Header: Depth=1
                                        ;     Child Loop BB28_8 Depth 2
                                        ;       Child Loop BB28_9 Depth 3
                                        ;     Child Loop BB28_16 Depth 2
                                        ;       Child Loop BB28_17 Depth 3
	;; [unrolled: 2-line block ×12, first 2 shown]
	s_mul_i32 s44, s11, s7
	s_mul_hi_u32 s45, s10, s7
	s_add_i32 s84, s45, s44
	s_mul_i32 s44, s15, s7
	s_mul_hi_u32 s45, s14, s7
	s_mul_i32 s85, s10, s7
	s_add_i32 s50, s45, s44
	s_add_u32 s68, s8, s85
	v_mov_b32_e32 v4, s7
	s_mul_i32 s51, s14, s7
	s_addc_u32 s69, s9, s84
	v_mad_u64_u32 v[4:5], s[44:45], s58, v4, v[2:3]
	s_add_u32 s70, s12, s51
	s_mul_i32 s44, s7, s23
	s_mul_hi_u32 s45, s7, s22
	s_addc_u32 s71, s13, s50
	s_add_i32 s45, s45, s44
	s_mul_i32 s44, s7, s22
	s_lshl_b64 s[44:45], s[44:45], 2
	s_mul_i32 s52, s59, s7
	s_add_u32 s54, s6, s44
	v_add_u32_e32 v5, s52, v5
	s_addc_u32 s55, s25, s45
	s_andn2_b64 vcc, exec, s[16:17]
	s_mov_b64 s[72:73], -1
	s_cbranch_vccnz .LBB28_11
; %bb.5:                                ;   in Loop: Header=BB28_4 Depth=1
	s_and_saveexec_b64 s[72:73], s[0:1]
	s_cbranch_execz .LBB28_10
; %bb.6:                                ;   in Loop: Header=BB28_4 Depth=1
	s_lshl_b64 s[44:45], s[26:27], 2
	s_add_u32 s44, s54, s44
	s_addc_u32 s45, s55, s45
	s_add_u32 s48, s44, -4
	s_addc_u32 s44, s45, -1
	s_mov_b64 s[74:75], 0
	v_mov_b32_e32 v12, s55
	v_mov_b32_e32 v13, s44
	v_pk_mov_b32 v[6:7], v[4:5], v[4:5] op_sel:[0,1]
	v_mov_b32_e32 v14, v0
	s_branch .LBB28_8
.LBB28_7:                               ;   in Loop: Header=BB28_8 Depth=2
	v_add_co_u32_e32 v8, vcc, s48, v8
	v_addc_co_u32_e32 v9, vcc, v13, v9, vcc
	v_add_u32_e32 v14, s4, v14
	v_cmp_le_i32_e32 vcc, s86, v14
	s_or_b64 s[74:75], vcc, s[74:75]
	v_add_co_u32_e32 v6, vcc, s60, v6
	v_addc_co_u32_e32 v7, vcc, v7, v34, vcc
	s_waitcnt vmcnt(0)
	global_store_dword v[8:9], v15, off
	s_andn2_b64 exec, exec, s[74:75]
	s_cbranch_execz .LBB28_10
.LBB28_8:                               ;   Parent Loop BB28_4 Depth=1
                                        ; =>  This Loop Header: Depth=2
                                        ;       Child Loop BB28_9 Depth 3
	v_mad_i64_i32 v[8:9], s[44:45], v14, s20, 0
	v_lshlrev_b64 v[8:9], 2, v[8:9]
	v_add_co_u32_e32 v10, vcc, s54, v8
	v_addc_co_u32_e32 v11, vcc, v12, v9, vcc
	global_load_dword v15, v[10:11], off
	s_andn2_b64 vcc, exec, s[30:31]
	s_mov_b64 s[76:77], s[70:71]
	s_mov_b64 s[78:79], s[68:69]
	v_pk_mov_b32 v[10:11], v[6:7], v[6:7] op_sel:[0,1]
	s_mov_b32 s44, s56
	s_cbranch_vccnz .LBB28_7
.LBB28_9:                               ;   Parent Loop BB28_4 Depth=1
                                        ;     Parent Loop BB28_8 Depth=2
                                        ; =>    This Inner Loop Header: Depth=3
	global_load_dword v16, v33, s[76:77]
	global_load_dword v17, v[10:11], off
	global_load_dword v35, v33, s[78:79]
	s_add_i32 s44, s44, -1
	s_add_u32 s78, s78, 4
	s_addc_u32 s79, s79, 0
	s_add_u32 s76, s76, 4
	s_addc_u32 s77, s77, 0
	s_cmp_eq_u32 s44, 0
	s_waitcnt vmcnt(1)
	v_mul_f32_e32 v36, v16, v17
	s_waitcnt vmcnt(0)
	v_fmac_f32_e32 v36, v15, v35
	v_mul_f32_e32 v16, v15, v16
	global_store_dword v[10:11], v36, off offset:-4
	v_add_co_u32_e32 v10, vcc, 4, v10
	v_fma_f32 v15, v35, v17, -v16
	v_addc_co_u32_e32 v11, vcc, 0, v11, vcc
	s_cbranch_scc0 .LBB28_9
	s_branch .LBB28_7
.LBB28_10:                              ;   in Loop: Header=BB28_4 Depth=1
	s_or_b64 exec, exec, s[72:73]
	s_mov_b64 s[72:73], 0
.LBB28_11:                              ;   in Loop: Header=BB28_4 Depth=1
	s_andn2_b64 vcc, exec, s[72:73]
	s_cbranch_vccnz .LBB28_3
; %bb.12:                               ;   in Loop: Header=BB28_4 Depth=1
	s_mul_hi_u32 s44, s58, s7
	s_add_i32 s52, s44, s52
	s_add_u32 s72, s87, s85
	s_addc_u32 s73, s88, s84
	s_add_u32 s74, s89, s51
	s_mul_i32 s53, s58, s7
	s_addc_u32 s75, s90, s50
	s_andn2_b64 vcc, exec, s[28:29]
	s_mov_b64 s[76:77], -1
	s_cbranch_vccnz .LBB28_19
; %bb.13:                               ;   in Loop: Header=BB28_4 Depth=1
	s_and_saveexec_b64 s[76:77], s[0:1]
	s_cbranch_execz .LBB28_18
; %bb.14:                               ;   in Loop: Header=BB28_4 Depth=1
	s_lshl_b64 s[44:45], s[26:27], 2
	s_add_u32 s44, s54, s44
	s_addc_u32 s45, s55, s45
	s_add_u32 s48, s44, -4
	v_mov_b32_e32 v7, s52
	v_add_co_u32_e32 v6, vcc, s53, v22
	s_addc_u32 s44, s45, -1
	v_addc_co_u32_e32 v7, vcc, v23, v7, vcc
	s_mov_b64 s[78:79], 0
	v_mov_b32_e32 v12, s44
	v_mov_b32_e32 v13, v0
	s_branch .LBB28_16
.LBB28_15:                              ;   in Loop: Header=BB28_16 Depth=2
	v_mov_b32_e32 v10, s55
	v_add_co_u32_e32 v8, vcc, s54, v8
	v_addc_co_u32_e32 v9, vcc, v10, v9, vcc
	v_add_u32_e32 v13, s4, v13
	v_cmp_le_i32_e32 vcc, s86, v13
	s_waitcnt vmcnt(0)
	global_store_dword v[8:9], v14, off
	v_mov_b32_e32 v8, s61
	s_or_b64 s[78:79], vcc, s[78:79]
	v_add_co_u32_e32 v6, vcc, s60, v6
	v_addc_co_u32_e32 v7, vcc, v7, v8, vcc
	s_andn2_b64 exec, exec, s[78:79]
	s_cbranch_execz .LBB28_18
.LBB28_16:                              ;   Parent Loop BB28_4 Depth=1
                                        ; =>  This Loop Header: Depth=2
                                        ;       Child Loop BB28_17 Depth 3
	v_mad_i64_i32 v[8:9], s[44:45], v13, s20, 0
	v_lshlrev_b64 v[8:9], 2, v[8:9]
	v_add_co_u32_e32 v10, vcc, s48, v8
	v_addc_co_u32_e32 v11, vcc, v12, v9, vcc
	global_load_dword v14, v[10:11], off
	s_andn2_b64 vcc, exec, s[30:31]
	v_pk_mov_b32 v[10:11], v[6:7], v[6:7] op_sel:[0,1]
	s_mov_b64 s[80:81], s[74:75]
	s_mov_b64 s[82:83], s[72:73]
	s_mov_b32 s49, s56
	s_cbranch_vccnz .LBB28_15
.LBB28_17:                              ;   Parent Loop BB28_4 Depth=1
                                        ;     Parent Loop BB28_16 Depth=2
                                        ; =>    This Inner Loop Header: Depth=3
	global_load_dword v15, v33, s[80:81]
	global_load_dword v35, v[10:11], off offset:-4
	global_load_dword v36, v33, s[82:83]
	s_add_i32 s49, s49, -1
	s_add_u32 s82, s82, -4
	s_addc_u32 s83, s83, -1
	v_add_co_u32_e32 v16, vcc, -4, v10
	s_waitcnt vmcnt(3)
	v_mov_b32_e32 v37, v14
	s_add_u32 s80, s80, -4
	v_addc_co_u32_e32 v17, vcc, -1, v11, vcc
	s_addc_u32 s81, s81, -1
	s_cmp_eq_u32 s49, 0
	s_waitcnt vmcnt(1)
	v_mul_f32_e32 v38, v15, v35
	s_waitcnt vmcnt(0)
	v_mul_f32_e32 v14, v36, v35
	v_fma_f32 v35, v37, v36, -v38
	v_fmac_f32_e32 v14, v37, v15
	global_store_dword v[10:11], v35, off
	v_pk_mov_b32 v[10:11], v[16:17], v[16:17] op_sel:[0,1]
	s_cbranch_scc0 .LBB28_17
	s_branch .LBB28_15
.LBB28_18:                              ;   in Loop: Header=BB28_4 Depth=1
	s_or_b64 exec, exec, s[76:77]
	s_mov_b64 s[76:77], 0
.LBB28_19:                              ;   in Loop: Header=BB28_4 Depth=1
	s_andn2_b64 vcc, exec, s[76:77]
	s_cbranch_vccnz .LBB28_3
; %bb.20:                               ;   in Loop: Header=BB28_4 Depth=1
	s_andn2_b64 vcc, exec, s[34:35]
	s_mov_b64 s[76:77], -1
	s_cbranch_vccnz .LBB28_27
; %bb.21:                               ;   in Loop: Header=BB28_4 Depth=1
	s_and_saveexec_b64 s[76:77], s[0:1]
	s_cbranch_execz .LBB28_26
; %bb.22:                               ;   in Loop: Header=BB28_4 Depth=1
	s_mov_b64 s[78:79], 0
	v_mov_b32_e32 v10, v0
	s_branch .LBB28_24
.LBB28_23:                              ;   in Loop: Header=BB28_24 Depth=2
	v_add_u32_e32 v10, s4, v10
	v_cmp_le_i32_e32 vcc, s86, v10
	s_waitcnt vmcnt(0)
	global_store_dword v[6:7], v11, off
	v_mov_b32_e32 v6, s61
	s_or_b64 s[78:79], vcc, s[78:79]
	v_add_co_u32_e32 v4, vcc, s60, v4
	v_addc_co_u32_e32 v5, vcc, v5, v6, vcc
	s_andn2_b64 exec, exec, s[78:79]
	s_cbranch_execz .LBB28_26
.LBB28_24:                              ;   Parent Loop BB28_4 Depth=1
                                        ; =>  This Loop Header: Depth=2
                                        ;       Child Loop BB28_25 Depth 3
	v_mad_i64_i32 v[6:7], s[44:45], v10, s20, 0
	v_lshlrev_b64 v[6:7], 2, v[6:7]
	v_mov_b32_e32 v8, s55
	v_add_co_u32_e32 v6, vcc, s54, v6
	v_addc_co_u32_e32 v7, vcc, v8, v7, vcc
	global_load_dword v11, v[6:7], off
	s_andn2_b64 vcc, exec, s[30:31]
	v_pk_mov_b32 v[8:9], v[4:5], v[4:5] op_sel:[0,1]
	s_mov_b32 s48, s56
	s_mov_b64 s[80:81], s[68:69]
	s_mov_b64 s[82:83], s[70:71]
	s_cbranch_vccnz .LBB28_23
.LBB28_25:                              ;   Parent Loop BB28_4 Depth=1
                                        ;     Parent Loop BB28_24 Depth=2
                                        ; =>    This Inner Loop Header: Depth=3
	global_load_dword v12, v33, s[82:83]
	global_load_dword v13, v[8:9], off
	global_load_dword v14, v33, s[80:81]
	s_waitcnt vmcnt(3)
	v_mov_b32_e32 v15, v11
	s_add_u32 s82, s82, 4
	s_addc_u32 s83, s83, 0
	s_add_u32 s80, s80, 4
	s_addc_u32 s81, s81, 0
	s_add_i32 s48, s48, -1
	s_cmp_eq_u32 s48, 0
	s_waitcnt vmcnt(2)
	v_mul_f32_e32 v16, v15, v12
	s_waitcnt vmcnt(1)
	v_mul_f32_e32 v11, v12, v13
	s_waitcnt vmcnt(0)
	v_fma_f32 v12, v14, v13, -v16
	global_store_dword v[8:9], v12, off
	v_add_co_u32_e32 v8, vcc, 4, v8
	v_fmac_f32_e32 v11, v15, v14
	v_addc_co_u32_e32 v9, vcc, 0, v9, vcc
	s_cbranch_scc0 .LBB28_25
	s_branch .LBB28_23
.LBB28_26:                              ;   in Loop: Header=BB28_4 Depth=1
	s_or_b64 exec, exec, s[76:77]
	s_mov_b64 s[76:77], 0
.LBB28_27:                              ;   in Loop: Header=BB28_4 Depth=1
	s_andn2_b64 vcc, exec, s[76:77]
	s_cbranch_vccnz .LBB28_3
; %bb.28:                               ;   in Loop: Header=BB28_4 Depth=1
	s_andn2_b64 vcc, exec, s[36:37]
	s_mov_b64 s[76:77], -1
	s_cbranch_vccnz .LBB28_35
; %bb.29:                               ;   in Loop: Header=BB28_4 Depth=1
	s_and_saveexec_b64 s[76:77], s[0:1]
	s_cbranch_execz .LBB28_34
; %bb.30:                               ;   in Loop: Header=BB28_4 Depth=1
	v_mov_b32_e32 v5, s52
	v_add_co_u32_e32 v4, vcc, s53, v24
	v_addc_co_u32_e32 v5, vcc, v25, v5, vcc
	s_mov_b64 s[78:79], 0
	v_mov_b32_e32 v10, v0
	s_branch .LBB28_32
.LBB28_31:                              ;   in Loop: Header=BB28_32 Depth=2
	v_add_u32_e32 v10, s4, v10
	v_cmp_le_i32_e32 vcc, s86, v10
	s_waitcnt vmcnt(0)
	global_store_dword v[6:7], v11, off
	v_mov_b32_e32 v6, s61
	s_or_b64 s[78:79], vcc, s[78:79]
	v_add_co_u32_e32 v4, vcc, s60, v4
	v_addc_co_u32_e32 v5, vcc, v5, v6, vcc
	s_andn2_b64 exec, exec, s[78:79]
	s_cbranch_execz .LBB28_34
.LBB28_32:                              ;   Parent Loop BB28_4 Depth=1
                                        ; =>  This Loop Header: Depth=2
                                        ;       Child Loop BB28_33 Depth 3
	v_mad_i64_i32 v[6:7], s[44:45], v10, s20, 0
	v_lshlrev_b64 v[6:7], 2, v[6:7]
	v_mov_b32_e32 v8, s55
	v_add_co_u32_e32 v6, vcc, s54, v6
	v_addc_co_u32_e32 v7, vcc, v8, v7, vcc
	global_load_dword v11, v[6:7], off
	s_andn2_b64 vcc, exec, s[30:31]
	v_pk_mov_b32 v[8:9], v[4:5], v[4:5] op_sel:[0,1]
	s_mov_b64 s[80:81], s[74:75]
	s_mov_b64 s[82:83], s[72:73]
	s_mov_b32 s44, s91
	s_cbranch_vccnz .LBB28_31
.LBB28_33:                              ;   Parent Loop BB28_4 Depth=1
                                        ;     Parent Loop BB28_32 Depth=2
                                        ; =>    This Inner Loop Header: Depth=3
	global_load_dword v12, v33, s[80:81]
	global_load_dword v13, v[8:9], off
	global_load_dword v14, v33, s[82:83]
	s_add_i32 s44, s44, -1
	s_waitcnt vmcnt(3)
	v_mov_b32_e32 v15, v11
	s_add_u32 s82, s82, -4
	s_addc_u32 s83, s83, -1
	s_add_u32 s80, s80, -4
	s_addc_u32 s81, s81, -1
	s_cmp_lt_u32 s44, 3
	s_waitcnt vmcnt(2)
	v_mul_f32_e32 v16, v15, v12
	s_waitcnt vmcnt(1)
	v_mul_f32_e32 v11, v12, v13
	s_waitcnt vmcnt(0)
	v_fma_f32 v12, v14, v13, -v16
	global_store_dword v[8:9], v12, off
	v_add_co_u32_e32 v8, vcc, -4, v8
	v_fmac_f32_e32 v11, v15, v14
	v_addc_co_u32_e32 v9, vcc, -1, v9, vcc
	s_cbranch_scc0 .LBB28_33
	s_branch .LBB28_31
.LBB28_34:                              ;   in Loop: Header=BB28_4 Depth=1
	s_or_b64 exec, exec, s[76:77]
	s_mov_b64 s[76:77], 0
.LBB28_35:                              ;   in Loop: Header=BB28_4 Depth=1
	s_andn2_b64 vcc, exec, s[76:77]
	s_cbranch_vccnz .LBB28_3
; %bb.36:                               ;   in Loop: Header=BB28_4 Depth=1
	s_andn2_b64 vcc, exec, s[38:39]
	s_mov_b64 s[76:77], -1
	s_cbranch_vccnz .LBB28_43
; %bb.37:                               ;   in Loop: Header=BB28_4 Depth=1
	s_and_saveexec_b64 s[76:77], s[0:1]
	s_cbranch_execz .LBB28_42
; %bb.38:                               ;   in Loop: Header=BB28_4 Depth=1
	s_lshl_b64 s[44:45], s[26:27], 2
	s_add_u32 s44, s54, s44
	s_addc_u32 s45, s55, s45
	v_mov_b32_e32 v5, s52
	v_add_co_u32_e32 v4, vcc, s53, v18
	s_add_u32 s48, s44, -4
	v_addc_co_u32_e32 v5, vcc, v19, v5, vcc
	s_addc_u32 s49, s45, -1
	s_mov_b64 s[78:79], 0
	v_mov_b32_e32 v10, v0
	s_branch .LBB28_40
.LBB28_39:                              ;   in Loop: Header=BB28_40 Depth=2
	v_add_u32_e32 v10, s4, v10
	v_cmp_le_i32_e32 vcc, s86, v10
	s_waitcnt vmcnt(0)
	global_store_dword v[6:7], v11, off
	v_mov_b32_e32 v6, s61
	s_or_b64 s[78:79], vcc, s[78:79]
	v_add_co_u32_e32 v4, vcc, s60, v4
	v_addc_co_u32_e32 v5, vcc, v5, v6, vcc
	s_andn2_b64 exec, exec, s[78:79]
	s_cbranch_execz .LBB28_42
.LBB28_40:                              ;   Parent Loop BB28_4 Depth=1
                                        ; =>  This Loop Header: Depth=2
                                        ;       Child Loop BB28_41 Depth 3
	v_mad_i64_i32 v[6:7], s[44:45], v10, s20, 0
	v_lshlrev_b64 v[6:7], 2, v[6:7]
	v_mov_b32_e32 v8, s49
	v_add_co_u32_e32 v6, vcc, s48, v6
	v_addc_co_u32_e32 v7, vcc, v8, v7, vcc
	global_load_dword v11, v[6:7], off
	s_andn2_b64 vcc, exec, s[30:31]
	v_pk_mov_b32 v[8:9], v[4:5], v[4:5] op_sel:[0,1]
	s_mov_b64 s[80:81], s[70:71]
	s_mov_b64 s[82:83], s[68:69]
	s_mov_b32 s44, s56
	s_cbranch_vccnz .LBB28_39
.LBB28_41:                              ;   Parent Loop BB28_4 Depth=1
                                        ;     Parent Loop BB28_40 Depth=2
                                        ; =>    This Inner Loop Header: Depth=3
	global_load_dword v12, v[8:9], off
	global_load_dword v13, v33, s[82:83]
	global_load_dword v14, v33, s[80:81]
	s_add_i32 s44, s44, -1
	s_add_u32 s82, s82, 4
	s_addc_u32 s83, s83, 0
	s_add_u32 s80, s80, 4
	s_addc_u32 s81, s81, 0
	s_cmp_eq_u32 s44, 0
	s_waitcnt vmcnt(1)
	v_mul_f32_e32 v15, v13, v12
	s_waitcnt vmcnt(0)
	v_fmac_f32_e32 v15, v11, v14
	v_mul_f32_e32 v12, v14, v12
	global_store_dword v[8:9], v15, off
	v_add_co_u32_e32 v8, vcc, 4, v8
	v_fma_f32 v11, v11, v13, -v12
	v_addc_co_u32_e32 v9, vcc, 0, v9, vcc
	s_cbranch_scc0 .LBB28_41
	s_branch .LBB28_39
.LBB28_42:                              ;   in Loop: Header=BB28_4 Depth=1
	s_or_b64 exec, exec, s[76:77]
	s_mov_b64 s[76:77], 0
.LBB28_43:                              ;   in Loop: Header=BB28_4 Depth=1
	s_andn2_b64 vcc, exec, s[76:77]
	s_cbranch_vccnz .LBB28_3
; %bb.44:                               ;   in Loop: Header=BB28_4 Depth=1
	s_andn2_b64 vcc, exec, s[40:41]
	s_mov_b64 s[76:77], -1
	s_cbranch_vccnz .LBB28_51
; %bb.45:                               ;   in Loop: Header=BB28_4 Depth=1
	s_and_saveexec_b64 s[76:77], s[0:1]
	s_cbranch_execz .LBB28_50
; %bb.46:                               ;   in Loop: Header=BB28_4 Depth=1
	s_lshl_b64 s[44:45], s[26:27], 2
	s_add_u32 s44, s54, s44
	s_addc_u32 s45, s55, s45
	v_mov_b32_e32 v5, s52
	v_add_co_u32_e32 v4, vcc, s53, v20
	s_add_u32 s48, s44, -4
	v_addc_co_u32_e32 v5, vcc, v21, v5, vcc
	s_addc_u32 s49, s45, -1
	s_mov_b64 s[78:79], 0
	v_mov_b32_e32 v10, v0
	s_branch .LBB28_48
.LBB28_47:                              ;   in Loop: Header=BB28_48 Depth=2
	v_add_u32_e32 v10, s4, v10
	v_cmp_le_i32_e32 vcc, s86, v10
	s_waitcnt vmcnt(0)
	global_store_dword v[6:7], v11, off
	v_mov_b32_e32 v6, s61
	s_or_b64 s[78:79], vcc, s[78:79]
	v_add_co_u32_e32 v4, vcc, s60, v4
	v_addc_co_u32_e32 v5, vcc, v5, v6, vcc
	s_andn2_b64 exec, exec, s[78:79]
	s_cbranch_execz .LBB28_50
.LBB28_48:                              ;   Parent Loop BB28_4 Depth=1
                                        ; =>  This Loop Header: Depth=2
                                        ;       Child Loop BB28_49 Depth 3
	v_mad_i64_i32 v[6:7], s[44:45], v10, s20, 0
	v_lshlrev_b64 v[6:7], 2, v[6:7]
	v_mov_b32_e32 v8, s49
	v_add_co_u32_e32 v6, vcc, s48, v6
	v_addc_co_u32_e32 v7, vcc, v8, v7, vcc
	global_load_dword v11, v[6:7], off
	s_andn2_b64 vcc, exec, s[30:31]
	v_pk_mov_b32 v[8:9], v[4:5], v[4:5] op_sel:[0,1]
	s_mov_b64 s[80:81], s[74:75]
	s_mov_b64 s[82:83], s[72:73]
	s_mov_b32 s44, s56
	s_cbranch_vccnz .LBB28_47
.LBB28_49:                              ;   Parent Loop BB28_4 Depth=1
                                        ;     Parent Loop BB28_48 Depth=2
                                        ; =>    This Inner Loop Header: Depth=3
	global_load_dword v12, v[8:9], off
	global_load_dword v13, v33, s[82:83]
	global_load_dword v14, v33, s[80:81]
	s_add_i32 s44, s44, -1
	s_add_u32 s82, s82, -4
	s_addc_u32 s83, s83, -1
	s_add_u32 s80, s80, -4
	s_addc_u32 s81, s81, -1
	s_cmp_eq_u32 s44, 0
	s_waitcnt vmcnt(1)
	v_mul_f32_e32 v15, v13, v12
	s_waitcnt vmcnt(0)
	v_fmac_f32_e32 v15, v11, v14
	v_mul_f32_e32 v12, v14, v12
	global_store_dword v[8:9], v15, off
	v_add_co_u32_e32 v8, vcc, -4, v8
	v_fma_f32 v11, v11, v13, -v12
	v_addc_co_u32_e32 v9, vcc, -1, v9, vcc
	s_cbranch_scc0 .LBB28_49
	s_branch .LBB28_47
.LBB28_50:                              ;   in Loop: Header=BB28_4 Depth=1
	s_or_b64 exec, exec, s[76:77]
	s_mov_b64 s[76:77], 0
.LBB28_51:                              ;   in Loop: Header=BB28_4 Depth=1
	s_andn2_b64 vcc, exec, s[76:77]
	s_cbranch_vccnz .LBB28_3
; %bb.52:                               ;   in Loop: Header=BB28_4 Depth=1
	v_mov_b32_e32 v5, s52
	v_add_co_u32_e32 v4, vcc, s53, v1
	v_addc_co_u32_e32 v5, vcc, v26, v5, vcc
	s_andn2_b64 vcc, exec, s[42:43]
	s_mov_b64 s[72:73], -1
	s_cbranch_vccnz .LBB28_59
; %bb.53:                               ;   in Loop: Header=BB28_4 Depth=1
	s_and_saveexec_b64 s[72:73], s[2:3]
	s_cbranch_execz .LBB28_58
; %bb.54:                               ;   in Loop: Header=BB28_4 Depth=1
	s_lshl_b64 s[44:45], s[62:63], 2
	s_add_u32 s80, s54, s44
	s_addc_u32 s48, s55, s45
	s_mov_b64 s[74:75], 0
	v_pk_mov_b32 v[6:7], v[4:5], v[4:5] op_sel:[0,1]
	v_mov_b32_e32 v8, v0
	s_branch .LBB28_56
.LBB28_55:                              ;   in Loop: Header=BB28_56 Depth=2
	v_mov_b32_e32 v12, s48
	v_add_co_u32_e32 v10, vcc, s80, v10
	v_addc_co_u32_e32 v11, vcc, v12, v11, vcc
	v_add_u32_e32 v8, s4, v8
	v_cmp_le_i32_e32 vcc, s19, v8
	s_waitcnt vmcnt(0)
	global_store_dword v[10:11], v9, off
	v_mov_b32_e32 v9, s67
	s_or_b64 s[74:75], vcc, s[74:75]
	v_add_co_u32_e32 v6, vcc, s66, v6
	v_addc_co_u32_e32 v7, vcc, v7, v9, vcc
	s_andn2_b64 exec, exec, s[74:75]
	s_cbranch_execz .LBB28_58
.LBB28_56:                              ;   Parent Loop BB28_4 Depth=1
                                        ; =>  This Loop Header: Depth=2
                                        ;       Child Loop BB28_57 Depth 3
	v_ashrrev_i32_e32 v9, 31, v8
	v_lshlrev_b64 v[10:11], 2, v[8:9]
	v_mov_b32_e32 v9, s55
	v_add_co_u32_e32 v12, vcc, s54, v10
	v_addc_co_u32_e32 v13, vcc, v9, v11, vcc
	global_load_dword v9, v[12:13], off
	s_andn2_b64 vcc, exec, s[46:47]
	s_mov_b64 s[76:77], s[70:71]
	s_mov_b64 s[78:79], s[68:69]
	v_pk_mov_b32 v[12:13], v[6:7], v[6:7] op_sel:[0,1]
	s_mov_b32 s44, s18
	s_cbranch_vccnz .LBB28_55
.LBB28_57:                              ;   Parent Loop BB28_4 Depth=1
                                        ;     Parent Loop BB28_56 Depth=2
                                        ; =>    This Inner Loop Header: Depth=3
	v_mov_b32_e32 v15, s65
	v_add_co_u32_e32 v14, vcc, s64, v12
	global_load_dword v16, v33, s[76:77]
	v_addc_co_u32_e32 v15, vcc, v13, v15, vcc
	global_load_dword v17, v[14:15], off
	global_load_dword v35, v33, s[78:79]
	s_add_i32 s44, s44, -1
	s_add_u32 s78, s78, 4
	s_addc_u32 s79, s79, 0
	s_add_u32 s76, s76, 4
	s_addc_u32 s77, s77, 0
	s_cmp_eq_u32 s44, 0
	s_waitcnt vmcnt(2)
	v_mul_f32_e32 v36, v9, v16
	s_waitcnt vmcnt(1)
	v_mul_f32_e32 v16, v16, v17
	s_waitcnt vmcnt(0)
	v_fmac_f32_e32 v16, v9, v35
	v_fma_f32 v9, v35, v17, -v36
	global_store_dword v[12:13], v16, off
	v_pk_mov_b32 v[12:13], v[14:15], v[14:15] op_sel:[0,1]
	s_cbranch_scc0 .LBB28_57
	s_branch .LBB28_55
.LBB28_58:                              ;   in Loop: Header=BB28_4 Depth=1
	s_or_b64 exec, exec, s[72:73]
	s_mov_b64 s[72:73], 0
.LBB28_59:                              ;   in Loop: Header=BB28_4 Depth=1
	s_andn2_b64 vcc, exec, s[72:73]
	s_cbranch_vccnz .LBB28_3
; %bb.60:                               ;   in Loop: Header=BB28_4 Depth=1
	v_mov_b32_e32 v7, s52
	v_add_co_u32_e32 v6, vcc, s53, v29
	s_add_u32 s72, s5, s85
	v_addc_co_u32_e32 v7, vcc, v30, v7, vcc
	s_addc_u32 s73, s57, s84
	v_mov_b32_e32 v9, s52
	v_add_co_u32_e32 v8, vcc, s53, v27
	v_readlane_b32 s44, v42, 0
	s_add_u32 s74, s92, s51
	v_addc_co_u32_e32 v9, vcc, v28, v9, vcc
	v_readlane_b32 s45, v42, 1
	s_addc_u32 s75, s93, s50
	s_andn2_b64 vcc, exec, s[44:45]
	s_mov_b64 s[76:77], -1
	s_cbranch_vccnz .LBB28_68
; %bb.61:                               ;   in Loop: Header=BB28_4 Depth=1
	s_and_saveexec_b64 s[76:77], s[2:3]
	s_cbranch_execz .LBB28_67
; %bb.62:                               ;   in Loop: Header=BB28_4 Depth=1
	s_lshl_b64 s[44:45], s[62:63], 2
	s_add_u32 s50, s54, s44
	s_addc_u32 s51, s55, s45
	s_mov_b64 s[78:79], 0
	v_pk_mov_b32 v[10:11], v[6:7], v[6:7] op_sel:[0,1]
	v_pk_mov_b32 v[12:13], v[8:9], v[8:9] op_sel:[0,1]
	v_mov_b32_e32 v14, v0
	s_branch .LBB28_64
.LBB28_63:                              ;   in Loop: Header=BB28_64 Depth=2
	v_mov_b32_e32 v35, s55
	v_add_co_u32_e32 v16, vcc, s54, v16
	v_addc_co_u32_e32 v17, vcc, v35, v17, vcc
	s_waitcnt vmcnt(0)
	global_store_dword v[16:17], v15, off
	v_mov_b32_e32 v15, s67
	v_add_co_u32_e32 v12, vcc, s66, v12
	v_add_u32_e32 v14, s4, v14
	v_addc_co_u32_e32 v13, vcc, v13, v15, vcc
	v_cmp_le_i32_e32 vcc, s19, v14
	s_or_b64 s[78:79], vcc, s[78:79]
	v_add_co_u32_e32 v10, vcc, s66, v10
	v_addc_co_u32_e32 v11, vcc, v11, v15, vcc
	s_andn2_b64 exec, exec, s[78:79]
	s_cbranch_execz .LBB28_67
.LBB28_64:                              ;   Parent Loop BB28_4 Depth=1
                                        ; =>  This Loop Header: Depth=2
                                        ;       Child Loop BB28_66 Depth 3
	v_ashrrev_i32_e32 v15, 31, v14
	v_lshlrev_b64 v[16:17], 2, v[14:15]
	v_mov_b32_e32 v15, s51
	v_add_co_u32_e32 v36, vcc, s50, v16
	v_addc_co_u32_e32 v37, vcc, v15, v17, vcc
	global_load_dword v15, v[36:37], off
	s_andn2_b64 vcc, exec, s[46:47]
	s_cbranch_vccnz .LBB28_63
; %bb.65:                               ;   in Loop: Header=BB28_64 Depth=2
	s_mov_b64 s[80:81], 0
	s_mov_b64 s[82:83], s[74:75]
	;; [unrolled: 1-line block ×3, first 2 shown]
	s_mov_b32 s48, s18
.LBB28_66:                              ;   Parent Loop BB28_4 Depth=1
                                        ;     Parent Loop BB28_64 Depth=2
                                        ; =>    This Inner Loop Header: Depth=3
	v_mov_b32_e32 v39, s81
	v_add_co_u32_e32 v36, vcc, s80, v10
	v_addc_co_u32_e32 v37, vcc, v11, v39, vcc
	global_load_dword v35, v33, s[84:85]
	global_load_dword v38, v33, s[82:83]
	global_load_dword v40, v[36:37], off
	s_add_i32 s48, s48, -1
	v_add_co_u32_e32 v36, vcc, s80, v12
	s_sub_u32 s80, s80, s64
	s_subb_u32 s81, s81, s65
	s_add_u32 s84, s84, -4
	s_addc_u32 s85, s85, -1
	s_add_u32 s82, s82, -4
	s_waitcnt vmcnt(3)
	v_mov_b32_e32 v41, v15
	v_addc_co_u32_e32 v37, vcc, v13, v39, vcc
	s_addc_u32 s83, s83, -1
	s_cmp_eq_u32 s48, 0
	s_waitcnt vmcnt(0)
	v_mul_f32_e32 v39, v38, v40
	v_mul_f32_e32 v15, v35, v40
	v_fma_f32 v35, v41, v35, -v39
	v_fmac_f32_e32 v15, v41, v38
	global_store_dword v[36:37], v35, off
	s_cbranch_scc0 .LBB28_66
	s_branch .LBB28_63
.LBB28_67:                              ;   in Loop: Header=BB28_4 Depth=1
	s_or_b64 exec, exec, s[76:77]
	s_mov_b64 s[76:77], 0
.LBB28_68:                              ;   in Loop: Header=BB28_4 Depth=1
	s_andn2_b64 vcc, exec, s[76:77]
	s_cbranch_vccnz .LBB28_3
; %bb.69:                               ;   in Loop: Header=BB28_4 Depth=1
	v_readlane_b32 s44, v42, 2
	v_readlane_b32 s45, v42, 3
	s_andn2_b64 vcc, exec, s[44:45]
	s_mov_b64 s[76:77], -1
	s_cbranch_vccnz .LBB28_76
; %bb.70:                               ;   in Loop: Header=BB28_4 Depth=1
	s_and_saveexec_b64 s[76:77], s[2:3]
	s_cbranch_execz .LBB28_75
; %bb.71:                               ;   in Loop: Header=BB28_4 Depth=1
	v_mov_b32_e32 v11, s52
	v_add_co_u32_e32 v10, vcc, s53, v31
	v_addc_co_u32_e32 v11, vcc, v32, v11, vcc
	s_mov_b64 s[78:79], 0
	v_mov_b32_e32 v12, v0
	s_branch .LBB28_73
.LBB28_72:                              ;   in Loop: Header=BB28_73 Depth=2
	v_add_u32_e32 v12, s4, v12
	v_cmp_le_i32_e32 vcc, s19, v12
	s_waitcnt vmcnt(0)
	global_store_dword v[14:15], v13, off
	v_mov_b32_e32 v13, s67
	s_or_b64 s[78:79], vcc, s[78:79]
	v_add_co_u32_e32 v10, vcc, s66, v10
	v_addc_co_u32_e32 v11, vcc, v11, v13, vcc
	s_andn2_b64 exec, exec, s[78:79]
	s_cbranch_execz .LBB28_75
.LBB28_73:                              ;   Parent Loop BB28_4 Depth=1
                                        ; =>  This Loop Header: Depth=2
                                        ;       Child Loop BB28_74 Depth 3
	v_ashrrev_i32_e32 v13, 31, v12
	v_lshlrev_b64 v[14:15], 2, v[12:13]
	v_mov_b32_e32 v13, s55
	v_add_co_u32_e32 v14, vcc, s54, v14
	v_addc_co_u32_e32 v15, vcc, v13, v15, vcc
	global_load_dword v13, v[14:15], off
	s_andn2_b64 vcc, exec, s[46:47]
	v_pk_mov_b32 v[16:17], v[10:11], v[10:11] op_sel:[0,1]
	s_mov_b32 s48, s18
	s_mov_b64 s[80:81], s[68:69]
	s_mov_b64 s[82:83], s[70:71]
	s_cbranch_vccnz .LBB28_72
.LBB28_74:                              ;   Parent Loop BB28_4 Depth=1
                                        ;     Parent Loop BB28_73 Depth=2
                                        ; =>    This Inner Loop Header: Depth=3
	global_load_dword v35, v33, s[82:83]
	global_load_dword v36, v[16:17], off
	global_load_dword v37, v33, s[80:81]
	s_waitcnt vmcnt(3)
	v_mov_b32_e32 v38, v13
	s_add_u32 s82, s82, 4
	s_addc_u32 s83, s83, 0
	s_add_u32 s80, s80, 4
	v_mov_b32_e32 v39, s65
	s_addc_u32 s81, s81, 0
	s_add_i32 s48, s48, -1
	s_cmp_eq_u32 s48, 0
	s_waitcnt vmcnt(2)
	v_mul_f32_e32 v40, v38, v35
	s_waitcnt vmcnt(1)
	v_mul_f32_e32 v13, v35, v36
	s_waitcnt vmcnt(0)
	v_fma_f32 v35, v37, v36, -v40
	global_store_dword v[16:17], v35, off
	v_add_co_u32_e32 v16, vcc, s64, v16
	v_fmac_f32_e32 v13, v38, v37
	v_addc_co_u32_e32 v17, vcc, v17, v39, vcc
	s_cbranch_scc0 .LBB28_74
	s_branch .LBB28_72
.LBB28_75:                              ;   in Loop: Header=BB28_4 Depth=1
	s_or_b64 exec, exec, s[76:77]
	s_mov_b64 s[76:77], 0
.LBB28_76:                              ;   in Loop: Header=BB28_4 Depth=1
	s_andn2_b64 vcc, exec, s[76:77]
	s_cbranch_vccnz .LBB28_3
; %bb.77:                               ;   in Loop: Header=BB28_4 Depth=1
	v_readlane_b32 s44, v42, 4
	v_readlane_b32 s45, v42, 5
	s_andn2_b64 vcc, exec, s[44:45]
	s_mov_b64 s[76:77], -1
	s_cbranch_vccnz .LBB28_84
; %bb.78:                               ;   in Loop: Header=BB28_4 Depth=1
	s_and_saveexec_b64 s[76:77], s[2:3]
	s_cbranch_execz .LBB28_83
; %bb.79:                               ;   in Loop: Header=BB28_4 Depth=1
	s_mov_b64 s[78:79], 0
	v_mov_b32_e32 v10, v0
	s_branch .LBB28_81
.LBB28_80:                              ;   in Loop: Header=BB28_81 Depth=2
	v_add_u32_e32 v10, s4, v10
	v_cmp_le_i32_e32 vcc, s19, v10
	s_waitcnt vmcnt(0)
	global_store_dword v[12:13], v11, off
	v_mov_b32_e32 v11, s67
	s_or_b64 s[78:79], vcc, s[78:79]
	v_add_co_u32_e32 v8, vcc, s66, v8
	v_addc_co_u32_e32 v9, vcc, v9, v11, vcc
	s_andn2_b64 exec, exec, s[78:79]
	s_cbranch_execz .LBB28_83
.LBB28_81:                              ;   Parent Loop BB28_4 Depth=1
                                        ; =>  This Loop Header: Depth=2
                                        ;       Child Loop BB28_82 Depth 3
	v_ashrrev_i32_e32 v11, 31, v10
	v_lshlrev_b64 v[12:13], 2, v[10:11]
	v_mov_b32_e32 v11, s55
	v_add_co_u32_e32 v12, vcc, s54, v12
	v_addc_co_u32_e32 v13, vcc, v11, v13, vcc
	global_load_dword v11, v[12:13], off
	s_andn2_b64 vcc, exec, s[46:47]
	v_pk_mov_b32 v[14:15], v[8:9], v[8:9] op_sel:[0,1]
	s_mov_b64 s[80:81], s[74:75]
	s_mov_b64 s[82:83], s[72:73]
	s_mov_b32 s48, s21
	s_cbranch_vccnz .LBB28_80
.LBB28_82:                              ;   Parent Loop BB28_4 Depth=1
                                        ;     Parent Loop BB28_81 Depth=2
                                        ; =>    This Inner Loop Header: Depth=3
	global_load_dword v16, v33, s[80:81]
	global_load_dword v17, v[14:15], off
	global_load_dword v35, v33, s[82:83]
	s_add_i32 s48, s48, -1
	s_waitcnt vmcnt(3)
	v_mov_b32_e32 v36, v11
	s_add_u32 s82, s82, -4
	s_addc_u32 s83, s83, -1
	s_add_u32 s80, s80, -4
	v_mov_b32_e32 v37, s95
	s_addc_u32 s81, s81, -1
	s_cmp_lt_u32 s48, 3
	s_waitcnt vmcnt(2)
	v_mul_f32_e32 v38, v36, v16
	s_waitcnt vmcnt(1)
	v_mul_f32_e32 v11, v16, v17
	s_waitcnt vmcnt(0)
	v_fma_f32 v16, v35, v17, -v38
	global_store_dword v[14:15], v16, off
	v_add_co_u32_e32 v14, vcc, s94, v14
	v_fmac_f32_e32 v11, v36, v35
	v_addc_co_u32_e32 v15, vcc, v15, v37, vcc
	s_cbranch_scc0 .LBB28_82
	s_branch .LBB28_80
.LBB28_83:                              ;   in Loop: Header=BB28_4 Depth=1
	s_or_b64 exec, exec, s[76:77]
	s_mov_b64 s[76:77], 0
.LBB28_84:                              ;   in Loop: Header=BB28_4 Depth=1
	s_andn2_b64 vcc, exec, s[76:77]
	s_cbranch_vccnz .LBB28_3
; %bb.85:                               ;   in Loop: Header=BB28_4 Depth=1
	v_readlane_b32 s44, v42, 6
	v_readlane_b32 s45, v42, 7
	s_andn2_b64 vcc, exec, s[44:45]
	s_mov_b64 s[76:77], -1
	s_cbranch_vccnz .LBB28_92
; %bb.86:                               ;   in Loop: Header=BB28_4 Depth=1
	s_and_saveexec_b64 s[76:77], s[2:3]
	s_cbranch_execz .LBB28_91
; %bb.87:                               ;   in Loop: Header=BB28_4 Depth=1
	s_lshl_b64 s[44:45], s[62:63], 2
	s_add_u32 s50, s54, s44
	s_addc_u32 s48, s55, s45
	s_mov_b64 s[78:79], 0
	v_mov_b32_e32 v8, v0
	s_branch .LBB28_89
.LBB28_88:                              ;   in Loop: Header=BB28_89 Depth=2
	v_add_u32_e32 v8, s4, v8
	v_cmp_le_i32_e32 vcc, s19, v8
	s_waitcnt vmcnt(0)
	global_store_dword v[10:11], v9, off
	v_mov_b32_e32 v9, s67
	s_or_b64 s[78:79], vcc, s[78:79]
	v_add_co_u32_e32 v4, vcc, s66, v4
	v_addc_co_u32_e32 v5, vcc, v5, v9, vcc
	s_andn2_b64 exec, exec, s[78:79]
	s_cbranch_execz .LBB28_91
.LBB28_89:                              ;   Parent Loop BB28_4 Depth=1
                                        ; =>  This Loop Header: Depth=2
                                        ;       Child Loop BB28_90 Depth 3
	v_ashrrev_i32_e32 v9, 31, v8
	v_lshlrev_b64 v[10:11], 2, v[8:9]
	v_mov_b32_e32 v9, s48
	v_add_co_u32_e32 v10, vcc, s50, v10
	v_addc_co_u32_e32 v11, vcc, v9, v11, vcc
	global_load_dword v9, v[10:11], off
	s_andn2_b64 vcc, exec, s[46:47]
	v_pk_mov_b32 v[12:13], v[4:5], v[4:5] op_sel:[0,1]
	s_mov_b64 s[80:81], s[70:71]
	s_mov_b64 s[82:83], s[68:69]
	s_mov_b32 s49, s18
	s_cbranch_vccnz .LBB28_88
.LBB28_90:                              ;   Parent Loop BB28_4 Depth=1
                                        ;     Parent Loop BB28_89 Depth=2
                                        ; =>    This Inner Loop Header: Depth=3
	global_load_dword v14, v[12:13], off
	global_load_dword v15, v33, s[82:83]
	global_load_dword v16, v33, s[80:81]
	s_add_i32 s49, s49, -1
	s_add_u32 s82, s82, 4
	s_addc_u32 s83, s83, 0
	s_add_u32 s80, s80, 4
	v_mov_b32_e32 v17, s65
	s_addc_u32 s81, s81, 0
	s_cmp_eq_u32 s49, 0
	s_waitcnt vmcnt(1)
	v_mul_f32_e32 v35, v15, v14
	s_waitcnt vmcnt(0)
	v_fmac_f32_e32 v35, v9, v16
	v_mul_f32_e32 v14, v16, v14
	global_store_dword v[12:13], v35, off
	v_add_co_u32_e32 v12, vcc, s64, v12
	v_fma_f32 v9, v9, v15, -v14
	v_addc_co_u32_e32 v13, vcc, v13, v17, vcc
	s_cbranch_scc0 .LBB28_90
	s_branch .LBB28_88
.LBB28_91:                              ;   in Loop: Header=BB28_4 Depth=1
	s_or_b64 exec, exec, s[76:77]
	s_mov_b64 s[76:77], 0
.LBB28_92:                              ;   in Loop: Header=BB28_4 Depth=1
	s_andn2_b64 vcc, exec, s[76:77]
	s_cbranch_vccnz .LBB28_3
; %bb.93:                               ;   in Loop: Header=BB28_4 Depth=1
	s_mov_b64 s[68:69], exec
	v_readlane_b32 s44, v42, 8
	v_readlane_b32 s45, v42, 9
	s_and_b64 s[44:45], s[68:69], s[44:45]
	s_mov_b64 exec, s[44:45]
	s_cbranch_execz .LBB28_2
; %bb.94:                               ;   in Loop: Header=BB28_4 Depth=1
	s_lshl_b64 s[44:45], s[62:63], 2
	s_add_u32 s50, s54, s44
	s_addc_u32 s48, s55, s45
	s_mov_b64 s[70:71], 0
	v_mov_b32_e32 v4, v0
	s_branch .LBB28_96
.LBB28_95:                              ;   in Loop: Header=BB28_96 Depth=2
	v_add_u32_e32 v4, s4, v4
	v_cmp_le_i32_e32 vcc, s19, v4
	s_waitcnt vmcnt(0)
	global_store_dword v[8:9], v5, off
	v_mov_b32_e32 v5, s67
	s_or_b64 s[70:71], vcc, s[70:71]
	v_add_co_u32_e32 v6, vcc, s66, v6
	v_addc_co_u32_e32 v7, vcc, v7, v5, vcc
	s_andn2_b64 exec, exec, s[70:71]
	s_cbranch_execz .LBB28_2
.LBB28_96:                              ;   Parent Loop BB28_4 Depth=1
                                        ; =>  This Loop Header: Depth=2
                                        ;       Child Loop BB28_97 Depth 3
	v_ashrrev_i32_e32 v5, 31, v4
	v_lshlrev_b64 v[8:9], 2, v[4:5]
	v_mov_b32_e32 v5, s48
	v_add_co_u32_e32 v8, vcc, s50, v8
	v_addc_co_u32_e32 v9, vcc, v5, v9, vcc
	global_load_dword v5, v[8:9], off
	s_andn2_b64 vcc, exec, s[46:47]
	v_pk_mov_b32 v[10:11], v[6:7], v[6:7] op_sel:[0,1]
	s_mov_b64 s[76:77], s[74:75]
	s_mov_b64 s[78:79], s[72:73]
	s_mov_b32 s49, s18
	s_cbranch_vccnz .LBB28_95
.LBB28_97:                              ;   Parent Loop BB28_4 Depth=1
                                        ;     Parent Loop BB28_96 Depth=2
                                        ; =>    This Inner Loop Header: Depth=3
	global_load_dword v12, v[10:11], off
	global_load_dword v13, v33, s[78:79]
	global_load_dword v14, v33, s[76:77]
	s_add_i32 s49, s49, -1
	s_add_u32 s78, s78, -4
	s_addc_u32 s79, s79, -1
	s_add_u32 s76, s76, -4
	v_mov_b32_e32 v15, s95
	s_addc_u32 s77, s77, -1
	s_cmp_eq_u32 s49, 0
	s_waitcnt vmcnt(1)
	v_mul_f32_e32 v16, v13, v12
	s_waitcnt vmcnt(0)
	v_fmac_f32_e32 v16, v5, v14
	v_mul_f32_e32 v12, v14, v12
	global_store_dword v[10:11], v16, off
	v_add_co_u32_e32 v10, vcc, s94, v10
	v_fma_f32 v5, v5, v13, -v12
	v_addc_co_u32_e32 v11, vcc, v11, v15, vcc
	s_cbranch_scc0 .LBB28_97
	s_branch .LBB28_95
.LBB28_98:
	s_endpgm
	.section	.rodata,"a",@progbits
	.p2align	6, 0x0
	.amdhsa_kernel _ZN9rocsolver6v33100L11lasr_kernelIffPfiEEv13rocblas_side_14rocblas_pivot_15rocblas_direct_T2_S6_PT0_lS8_lT1_lS6_lS6_
		.amdhsa_group_segment_fixed_size 0
		.amdhsa_private_segment_fixed_size 0
		.amdhsa_kernarg_size 352
		.amdhsa_user_sgpr_count 6
		.amdhsa_user_sgpr_private_segment_buffer 1
		.amdhsa_user_sgpr_dispatch_ptr 0
		.amdhsa_user_sgpr_queue_ptr 0
		.amdhsa_user_sgpr_kernarg_segment_ptr 1
		.amdhsa_user_sgpr_dispatch_id 0
		.amdhsa_user_sgpr_flat_scratch_init 0
		.amdhsa_user_sgpr_kernarg_preload_length 0
		.amdhsa_user_sgpr_kernarg_preload_offset 0
		.amdhsa_user_sgpr_private_segment_size 0
		.amdhsa_uses_dynamic_stack 0
		.amdhsa_system_sgpr_private_segment_wavefront_offset 0
		.amdhsa_system_sgpr_workgroup_id_x 1
		.amdhsa_system_sgpr_workgroup_id_y 0
		.amdhsa_system_sgpr_workgroup_id_z 1
		.amdhsa_system_sgpr_workgroup_info 0
		.amdhsa_system_vgpr_workitem_id 0
		.amdhsa_next_free_vgpr 43
		.amdhsa_next_free_sgpr 96
		.amdhsa_accum_offset 44
		.amdhsa_reserve_vcc 1
		.amdhsa_reserve_flat_scratch 0
		.amdhsa_float_round_mode_32 0
		.amdhsa_float_round_mode_16_64 0
		.amdhsa_float_denorm_mode_32 3
		.amdhsa_float_denorm_mode_16_64 3
		.amdhsa_dx10_clamp 1
		.amdhsa_ieee_mode 1
		.amdhsa_fp16_overflow 0
		.amdhsa_tg_split 0
		.amdhsa_exception_fp_ieee_invalid_op 0
		.amdhsa_exception_fp_denorm_src 0
		.amdhsa_exception_fp_ieee_div_zero 0
		.amdhsa_exception_fp_ieee_overflow 0
		.amdhsa_exception_fp_ieee_underflow 0
		.amdhsa_exception_fp_ieee_inexact 0
		.amdhsa_exception_int_div_zero 0
	.end_amdhsa_kernel
	.section	.text._ZN9rocsolver6v33100L11lasr_kernelIffPfiEEv13rocblas_side_14rocblas_pivot_15rocblas_direct_T2_S6_PT0_lS8_lT1_lS6_lS6_,"axG",@progbits,_ZN9rocsolver6v33100L11lasr_kernelIffPfiEEv13rocblas_side_14rocblas_pivot_15rocblas_direct_T2_S6_PT0_lS8_lT1_lS6_lS6_,comdat
.Lfunc_end28:
	.size	_ZN9rocsolver6v33100L11lasr_kernelIffPfiEEv13rocblas_side_14rocblas_pivot_15rocblas_direct_T2_S6_PT0_lS8_lT1_lS6_lS6_, .Lfunc_end28-_ZN9rocsolver6v33100L11lasr_kernelIffPfiEEv13rocblas_side_14rocblas_pivot_15rocblas_direct_T2_S6_PT0_lS8_lT1_lS6_lS6_
                                        ; -- End function
	.section	.AMDGPU.csdata,"",@progbits
; Kernel info:
; codeLenInByte = 4508
; NumSgprs: 100
; NumVgprs: 43
; NumAgprs: 0
; TotalNumVgprs: 43
; ScratchSize: 0
; MemoryBound: 0
; FloatMode: 240
; IeeeMode: 1
; LDSByteSize: 0 bytes/workgroup (compile time only)
; SGPRBlocks: 12
; VGPRBlocks: 5
; NumSGPRsForWavesPerEU: 100
; NumVGPRsForWavesPerEU: 43
; AccumOffset: 44
; Occupancy: 8
; WaveLimiterHint : 0
; COMPUTE_PGM_RSRC2:SCRATCH_EN: 0
; COMPUTE_PGM_RSRC2:USER_SGPR: 6
; COMPUTE_PGM_RSRC2:TRAP_HANDLER: 0
; COMPUTE_PGM_RSRC2:TGID_X_EN: 1
; COMPUTE_PGM_RSRC2:TGID_Y_EN: 0
; COMPUTE_PGM_RSRC2:TGID_Z_EN: 1
; COMPUTE_PGM_RSRC2:TIDIG_COMP_CNT: 0
; COMPUTE_PGM_RSRC3_GFX90A:ACCUM_OFFSET: 10
; COMPUTE_PGM_RSRC3_GFX90A:TG_SPLIT: 0
	.section	.text._ZN9rocsolver6v33100L11scal_kernelIffiEEvT1_T_PT0_S2_,"axG",@progbits,_ZN9rocsolver6v33100L11scal_kernelIffiEEvT1_T_PT0_S2_,comdat
	.globl	_ZN9rocsolver6v33100L11scal_kernelIffiEEvT1_T_PT0_S2_ ; -- Begin function _ZN9rocsolver6v33100L11scal_kernelIffiEEvT1_T_PT0_S2_
	.p2align	8
	.type	_ZN9rocsolver6v33100L11scal_kernelIffiEEvT1_T_PT0_S2_,@function
_ZN9rocsolver6v33100L11scal_kernelIffiEEvT1_T_PT0_S2_: ; @_ZN9rocsolver6v33100L11scal_kernelIffiEEvT1_T_PT0_S2_
; %bb.0:
	s_load_dwordx2 s[2:3], s[4:5], 0x0
	s_waitcnt lgkmcnt(0)
	s_cmp_lt_i32 s2, 1
	s_cbranch_scc1 .LBB29_10
; %bb.1:
	s_load_dword s0, s[4:5], 0x24
	s_load_dword s1, s[4:5], 0x18
	s_load_dwordx2 s[8:9], s[4:5], 0x8
	s_load_dword s10, s[4:5], 0x10
	s_waitcnt lgkmcnt(0)
	s_and_b32 s0, s0, 0xffff
	s_mul_i32 s6, s6, s0
	v_add_u32_e32 v0, s6, v0
	s_mul_i32 s4, s1, s0
	s_cmp_eq_u32 s10, 1
	v_cmp_gt_i32_e64 s[0:1], s2, v0
	s_mov_b64 s[6:7], -1
	s_cbranch_scc1 .LBB29_6
; %bb.2:
	s_and_saveexec_b64 s[6:7], s[0:1]
	s_cbranch_execz .LBB29_5
; %bb.3:
	v_mad_i64_i32 v[2:3], s[12:13], s10, v0, 0
	v_lshlrev_b64 v[2:3], 2, v[2:3]
	s_mul_hi_i32 s11, s10, s4
	s_mul_i32 s10, s10, s4
	v_mov_b32_e32 v1, s9
	v_add_co_u32_e32 v2, vcc, s8, v2
	s_lshl_b64 s[10:11], s[10:11], 2
	v_addc_co_u32_e32 v3, vcc, v1, v3, vcc
	s_mov_b64 s[12:13], 0
	v_mov_b32_e32 v1, s11
	v_mov_b32_e32 v4, v0
.LBB29_4:                               ; =>This Inner Loop Header: Depth=1
	global_load_dword v5, v[2:3], off
	v_add_u32_e32 v4, s4, v4
	v_cmp_le_i32_e32 vcc, s2, v4
	s_or_b64 s[12:13], vcc, s[12:13]
	s_waitcnt vmcnt(0)
	v_mul_f32_e32 v5, s3, v5
	global_store_dword v[2:3], v5, off
	v_add_co_u32_e32 v2, vcc, s10, v2
	v_addc_co_u32_e32 v3, vcc, v3, v1, vcc
	s_andn2_b64 exec, exec, s[12:13]
	s_cbranch_execnz .LBB29_4
.LBB29_5:
	s_or_b64 exec, exec, s[6:7]
	s_mov_b64 s[6:7], 0
.LBB29_6:
	s_andn2_b64 vcc, exec, s[6:7]
	s_cbranch_vccnz .LBB29_10
; %bb.7:
	s_and_saveexec_b64 s[6:7], s[0:1]
	s_cbranch_execz .LBB29_10
; %bb.8:
	v_ashrrev_i32_e32 v1, 31, v0
	v_lshlrev_b64 v[2:3], 2, v[0:1]
	s_ashr_i32 s5, s4, 31
	v_mov_b32_e32 v1, s9
	v_add_co_u32_e32 v2, vcc, s8, v2
	s_lshl_b64 s[0:1], s[4:5], 2
	v_addc_co_u32_e32 v3, vcc, v1, v3, vcc
	s_mov_b64 s[6:7], 0
	v_mov_b32_e32 v1, s1
.LBB29_9:                               ; =>This Inner Loop Header: Depth=1
	global_load_dword v4, v[2:3], off
	v_add_u32_e32 v0, s4, v0
	v_cmp_le_i32_e32 vcc, s2, v0
	s_or_b64 s[6:7], vcc, s[6:7]
	s_waitcnt vmcnt(0)
	v_mul_f32_e32 v4, s3, v4
	global_store_dword v[2:3], v4, off
	v_add_co_u32_e32 v2, vcc, s0, v2
	v_addc_co_u32_e32 v3, vcc, v3, v1, vcc
	s_andn2_b64 exec, exec, s[6:7]
	s_cbranch_execnz .LBB29_9
.LBB29_10:
	s_endpgm
	.section	.rodata,"a",@progbits
	.p2align	6, 0x0
	.amdhsa_kernel _ZN9rocsolver6v33100L11scal_kernelIffiEEvT1_T_PT0_S2_
		.amdhsa_group_segment_fixed_size 0
		.amdhsa_private_segment_fixed_size 0
		.amdhsa_kernarg_size 280
		.amdhsa_user_sgpr_count 6
		.amdhsa_user_sgpr_private_segment_buffer 1
		.amdhsa_user_sgpr_dispatch_ptr 0
		.amdhsa_user_sgpr_queue_ptr 0
		.amdhsa_user_sgpr_kernarg_segment_ptr 1
		.amdhsa_user_sgpr_dispatch_id 0
		.amdhsa_user_sgpr_flat_scratch_init 0
		.amdhsa_user_sgpr_kernarg_preload_length 0
		.amdhsa_user_sgpr_kernarg_preload_offset 0
		.amdhsa_user_sgpr_private_segment_size 0
		.amdhsa_uses_dynamic_stack 0
		.amdhsa_system_sgpr_private_segment_wavefront_offset 0
		.amdhsa_system_sgpr_workgroup_id_x 1
		.amdhsa_system_sgpr_workgroup_id_y 0
		.amdhsa_system_sgpr_workgroup_id_z 0
		.amdhsa_system_sgpr_workgroup_info 0
		.amdhsa_system_vgpr_workitem_id 0
		.amdhsa_next_free_vgpr 6
		.amdhsa_next_free_sgpr 14
		.amdhsa_accum_offset 8
		.amdhsa_reserve_vcc 1
		.amdhsa_reserve_flat_scratch 0
		.amdhsa_float_round_mode_32 0
		.amdhsa_float_round_mode_16_64 0
		.amdhsa_float_denorm_mode_32 3
		.amdhsa_float_denorm_mode_16_64 3
		.amdhsa_dx10_clamp 1
		.amdhsa_ieee_mode 1
		.amdhsa_fp16_overflow 0
		.amdhsa_tg_split 0
		.amdhsa_exception_fp_ieee_invalid_op 0
		.amdhsa_exception_fp_denorm_src 0
		.amdhsa_exception_fp_ieee_div_zero 0
		.amdhsa_exception_fp_ieee_overflow 0
		.amdhsa_exception_fp_ieee_underflow 0
		.amdhsa_exception_fp_ieee_inexact 0
		.amdhsa_exception_int_div_zero 0
	.end_amdhsa_kernel
	.section	.text._ZN9rocsolver6v33100L11scal_kernelIffiEEvT1_T_PT0_S2_,"axG",@progbits,_ZN9rocsolver6v33100L11scal_kernelIffiEEvT1_T_PT0_S2_,comdat
.Lfunc_end29:
	.size	_ZN9rocsolver6v33100L11scal_kernelIffiEEvT1_T_PT0_S2_, .Lfunc_end29-_ZN9rocsolver6v33100L11scal_kernelIffiEEvT1_T_PT0_S2_
                                        ; -- End function
	.section	.AMDGPU.csdata,"",@progbits
; Kernel info:
; codeLenInByte = 328
; NumSgprs: 18
; NumVgprs: 6
; NumAgprs: 0
; TotalNumVgprs: 6
; ScratchSize: 0
; MemoryBound: 0
; FloatMode: 240
; IeeeMode: 1
; LDSByteSize: 0 bytes/workgroup (compile time only)
; SGPRBlocks: 2
; VGPRBlocks: 0
; NumSGPRsForWavesPerEU: 18
; NumVGPRsForWavesPerEU: 6
; AccumOffset: 8
; Occupancy: 8
; WaveLimiterHint : 0
; COMPUTE_PGM_RSRC2:SCRATCH_EN: 0
; COMPUTE_PGM_RSRC2:USER_SGPR: 6
; COMPUTE_PGM_RSRC2:TRAP_HANDLER: 0
; COMPUTE_PGM_RSRC2:TGID_X_EN: 1
; COMPUTE_PGM_RSRC2:TGID_Y_EN: 0
; COMPUTE_PGM_RSRC2:TGID_Z_EN: 0
; COMPUTE_PGM_RSRC2:TIDIG_COMP_CNT: 0
; COMPUTE_PGM_RSRC3_GFX90A:ACCUM_OFFSET: 1
; COMPUTE_PGM_RSRC3_GFX90A:TG_SPLIT: 0
	.section	.text._ZN9rocsolver6v33100L17bdsqr_lower2upperIffPfPKS2_EEviiiPT0_lS6_lT1_iilT2_iilPiS6_lS9_,"axG",@progbits,_ZN9rocsolver6v33100L17bdsqr_lower2upperIffPfPKS2_EEviiiPT0_lS6_lT1_iilT2_iilPiS6_lS9_,comdat
	.globl	_ZN9rocsolver6v33100L17bdsqr_lower2upperIffPfPKS2_EEviiiPT0_lS6_lT1_iilT2_iilPiS6_lS9_ ; -- Begin function _ZN9rocsolver6v33100L17bdsqr_lower2upperIffPfPKS2_EEviiiPT0_lS6_lT1_iilT2_iilPiS6_lS9_
	.p2align	8
	.type	_ZN9rocsolver6v33100L17bdsqr_lower2upperIffPfPKS2_EEviiiPT0_lS6_lT1_iilT2_iilPiS6_lS9_,@function
_ZN9rocsolver6v33100L17bdsqr_lower2upperIffPfPKS2_EEviiiPT0_lS6_lT1_iilT2_iilPiS6_lS9_: ; @_ZN9rocsolver6v33100L17bdsqr_lower2upperIffPfPKS2_EEviiiPT0_lS6_lT1_iilT2_iilPiS6_lS9_
; %bb.0:
	s_load_dwordx2 s[0:1], s[4:5], 0x78
	s_mov_b32 s28, s7
	s_ashr_i32 s29, s7, 31
	s_lshl_b64 s[2:3], s[28:29], 2
	s_waitcnt lgkmcnt(0)
	s_add_u32 s0, s0, s2
	s_addc_u32 s1, s1, s3
	s_load_dword s0, s[0:1], 0x8
	s_waitcnt lgkmcnt(0)
	s_cmp_lg_u32 s0, 0
	s_cbranch_scc1 .LBB30_34
; %bb.1:
	s_load_dwordx8 s[8:15], s[4:5], 0x30
	s_load_dwordx4 s[0:3], s[4:5], 0x68
	s_mov_b64 s[6:7], 0
	s_mov_b64 s[24:25], 0
	s_waitcnt lgkmcnt(0)
	s_cmp_eq_u64 s[8:9], 0
	s_cbranch_scc1 .LBB30_3
; %bb.2:
	s_ashr_i32 s17, s10, 31
	s_mov_b32 s16, s10
	s_mul_i32 s10, s28, s13
	s_mul_hi_u32 s13, s28, s12
	s_add_i32 s10, s13, s10
	s_mul_i32 s13, s29, s12
	s_add_i32 s13, s10, s13
	s_mul_i32 s12, s28, s12
	s_lshl_b64 s[12:13], s[12:13], 2
	s_add_u32 s10, s8, s12
	s_addc_u32 s12, s9, s13
	s_lshl_b64 s[8:9], s[16:17], 2
	s_add_u32 s24, s10, s8
	s_addc_u32 s25, s12, s9
.LBB30_3:
	s_load_dwordx2 s[8:9], s[4:5], 0x50
	s_cmp_eq_u64 s[14:15], 0
	s_cbranch_scc1 .LBB30_5
; %bb.4:
	s_lshl_b64 s[6:7], s[28:29], 3
	s_add_u32 s6, s14, s6
	s_addc_u32 s7, s15, s7
	s_load_dwordx2 s[6:7], s[6:7], 0x0
	s_waitcnt lgkmcnt(0)
	s_ashr_i32 s13, s8, 31
	s_mov_b32 s12, s8
	s_lshl_b64 s[12:13], s[12:13], 2
	s_add_u32 s6, s6, s12
	s_addc_u32 s7, s7, s13
.LBB30_5:
	s_mul_i32 s3, s28, s3
	s_waitcnt lgkmcnt(0)
	s_mul_hi_u32 s8, s28, s2
	s_load_dwordx4 s[20:23], s[4:5], 0x0
	s_add_i32 s3, s8, s3
	s_mul_i32 s8, s29, s2
	s_add_i32 s3, s3, s8
	s_mul_i32 s2, s28, s2
	s_lshl_b64 s[2:3], s[2:3], 2
	s_add_u32 s8, s0, s2
	s_waitcnt lgkmcnt(0)
	s_addc_u32 s23, s1, s3
	v_cmp_eq_u32_e32 vcc, 0, v0
	s_and_saveexec_b64 s[2:3], vcc
	s_cbranch_execz .LBB30_22
; %bb.6:
	s_load_dwordx8 s[12:19], s[4:5], 0x10
	s_waitcnt lgkmcnt(0)
	s_mul_i32 s0, s28, s15
	s_mul_hi_u32 s1, s28, s14
	s_mul_i32 s10, s29, s14
	s_add_i32 s0, s1, s0
	s_add_i32 s1, s0, s10
	s_mul_i32 s0, s28, s14
	s_lshl_b64 s[0:1], s[0:1], 2
	s_add_u32 s14, s12, s0
	s_addc_u32 s15, s13, s1
	s_load_dword s10, s[14:15], 0x0
	s_add_i32 s26, s20, -1
	s_cmp_lt_i32 s20, 2
	s_waitcnt lgkmcnt(0)
	v_mov_b32_e32 v3, s10
	s_cbranch_scc1 .LBB30_21
; %bb.7:
	s_mul_i32 s19, s28, s19
	s_mul_hi_u32 s27, s28, s18
	s_add_i32 s19, s27, s19
	s_mul_i32 s27, s29, s18
	s_add_i32 s19, s19, s27
	s_mul_i32 s18, s28, s18
	s_lshl_b64 s[18:19], s[18:19], 2
	s_add_u32 s30, s18, s16
	s_addc_u32 s31, s19, s17
	s_or_b32 s18, s22, s21
	s_cmp_lg_u32 s18, 0
	s_cselect_b64 s[18:19], -1, 0
	s_add_u32 s28, s8, 16
	s_addc_u32 s29, s23, 0
	s_load_dword s16, s[30:31], 0x0
	s_add_u32 s0, s0, s12
	s_addc_u32 s1, s1, s13
	s_add_u32 s12, s0, 4
	s_addc_u32 s13, s1, 0
	s_add_u32 s30, s30, 4
	s_mov_b32 s17, 0
	s_addc_u32 s31, s31, 0
	v_mov_b32_e32 v3, s10
	s_waitcnt lgkmcnt(0)
	v_mov_b32_e32 v4, s16
	s_mov_b32 s10, 0xf800000
	v_mov_b32_e32 v1, 0x260
	v_mov_b32_e32 v2, 0
	s_mov_b64 s[34:35], s[28:29]
	s_mov_b32 s27, 0
	s_branch .LBB30_9
.LBB30_8:                               ;   in Loop: Header=BB30_9 Depth=1
	s_add_i32 s27, s27, 1
	s_add_u32 s34, s34, 4
	s_addc_u32 s35, s35, 0
	s_add_u32 s12, s12, 4
	s_addc_u32 s13, s13, 0
	;; [unrolled: 2-line block ×3, first 2 shown]
	s_cmp_lg_u32 s26, s27
	s_waitcnt vmcnt(0)
	v_mul_f32_e32 v3, v5, v3
	s_cbranch_scc0 .LBB30_21
.LBB30_9:                               ; =>This Inner Loop Header: Depth=1
	v_cmp_eq_f32_e32 vcc, 0, v4
	s_cbranch_vccnz .LBB30_13
; %bb.10:                               ;   in Loop: Header=BB30_9 Depth=1
	v_cmp_neq_f32_e32 vcc, 0, v3
	s_cbranch_vccz .LBB30_14
; %bb.11:                               ;   in Loop: Header=BB30_9 Depth=1
	v_cmp_ngt_f32_e64 s[0:1], |v4|, |v3|
	s_and_b64 vcc, exec, s[0:1]
	s_cbranch_vccz .LBB30_15
; %bb.12:                               ;   in Loop: Header=BB30_9 Depth=1
	v_div_scale_f32 v5, s[0:1], v3, v3, -v4
	v_rcp_f32_e32 v6, v5
	v_div_scale_f32 v7, vcc, -v4, v3, -v4
	v_fma_f32 v8, -v5, v6, 1.0
	v_fmac_f32_e32 v6, v8, v6
	v_mul_f32_e32 v8, v7, v6
	v_fma_f32 v9, -v5, v8, v7
	v_fmac_f32_e32 v8, v9, v6
	v_fma_f32 v5, -v5, v8, v7
	v_div_fmas_f32 v5, v5, v6, v8
	v_div_fixup_f32 v6, v5, v3, -v4
	v_fma_f32 v5, v6, v6, 1.0
	v_mul_f32_e32 v7, 0x4f800000, v5
	v_cmp_gt_f32_e32 vcc, s10, v5
	v_cndmask_b32_e32 v5, v5, v7, vcc
	v_sqrt_f32_e32 v7, v5
	v_add_u32_e32 v8, -1, v7
	v_fma_f32 v9, -v8, v7, v5
	v_cmp_ge_f32_e64 s[0:1], 0, v9
	v_add_u32_e32 v9, 1, v7
	v_cndmask_b32_e64 v8, v7, v8, s[0:1]
	v_fma_f32 v7, -v9, v7, v5
	v_cmp_lt_f32_e64 s[0:1], 0, v7
	v_cndmask_b32_e64 v7, v8, v9, s[0:1]
	v_mul_f32_e32 v8, 0x37800000, v7
	v_cndmask_b32_e32 v7, v7, v8, vcc
	v_cmp_class_f32_e32 vcc, v5, v1
	v_cndmask_b32_e32 v5, v7, v5, vcc
	v_div_scale_f32 v7, s[0:1], v5, v5, 1.0
	v_rcp_f32_e32 v8, v7
	v_fma_f32 v9, -v7, v8, 1.0
	v_fmac_f32_e32 v8, v9, v8
	v_div_scale_f32 v9, vcc, 1.0, v5, 1.0
	v_mul_f32_e32 v10, v9, v8
	v_fma_f32 v11, -v7, v10, v9
	v_fmac_f32_e32 v10, v11, v8
	v_fma_f32 v7, -v7, v10, v9
	v_div_fmas_f32 v7, v7, v8, v10
	v_div_fixup_f32 v5, v7, v5, 1.0
	v_mul_f32_e32 v6, v6, v5
	s_cbranch_execz .LBB30_16
	s_branch .LBB30_17
.LBB30_13:                              ;   in Loop: Header=BB30_9 Depth=1
	v_mov_b32_e32 v5, 1.0
	v_mov_b32_e32 v6, 0
	s_branch .LBB30_19
.LBB30_14:                              ;   in Loop: Header=BB30_9 Depth=1
                                        ; implicit-def: $vgpr3
                                        ; implicit-def: $vgpr6
                                        ; implicit-def: $vgpr5
	s_cbranch_execnz .LBB30_18
	s_branch .LBB30_19
.LBB30_15:                              ;   in Loop: Header=BB30_9 Depth=1
                                        ; implicit-def: $vgpr6
                                        ; implicit-def: $vgpr5
.LBB30_16:                              ;   in Loop: Header=BB30_9 Depth=1
	v_div_scale_f32 v5, s[0:1], v4, v4, -v3
	v_rcp_f32_e32 v6, v5
	v_div_scale_f32 v7, vcc, -v3, v4, -v3
	v_fma_f32 v8, -v5, v6, 1.0
	v_fmac_f32_e32 v6, v8, v6
	v_mul_f32_e32 v8, v7, v6
	v_fma_f32 v9, -v5, v8, v7
	v_fmac_f32_e32 v8, v9, v6
	v_fma_f32 v5, -v5, v8, v7
	v_div_fmas_f32 v5, v5, v6, v8
	v_div_fixup_f32 v5, v5, v4, -v3
	v_fma_f32 v6, v5, v5, 1.0
	v_mul_f32_e32 v7, 0x4f800000, v6
	v_cmp_gt_f32_e32 vcc, s10, v6
	v_cndmask_b32_e32 v6, v6, v7, vcc
	v_sqrt_f32_e32 v7, v6
	v_add_u32_e32 v8, -1, v7
	v_fma_f32 v9, -v8, v7, v6
	v_cmp_ge_f32_e64 s[0:1], 0, v9
	v_add_u32_e32 v9, 1, v7
	v_cndmask_b32_e64 v8, v7, v8, s[0:1]
	v_fma_f32 v7, -v9, v7, v6
	v_cmp_lt_f32_e64 s[0:1], 0, v7
	v_cndmask_b32_e64 v7, v8, v9, s[0:1]
	v_mul_f32_e32 v8, 0x37800000, v7
	v_cndmask_b32_e32 v7, v7, v8, vcc
	v_cmp_class_f32_e32 vcc, v6, v1
	v_cndmask_b32_e32 v6, v7, v6, vcc
	v_div_scale_f32 v7, s[0:1], v6, v6, 1.0
	v_rcp_f32_e32 v8, v7
	v_fma_f32 v9, -v7, v8, 1.0
	v_fmac_f32_e32 v8, v9, v8
	v_div_scale_f32 v9, vcc, 1.0, v6, 1.0
	v_mul_f32_e32 v10, v9, v8
	v_fma_f32 v11, -v7, v10, v9
	v_fmac_f32_e32 v10, v11, v8
	v_fma_f32 v7, -v7, v10, v9
	v_div_fmas_f32 v7, v7, v8, v10
	v_div_fixup_f32 v6, v7, v6, 1.0
	v_mul_f32_e32 v5, v5, v6
.LBB30_17:                              ;   in Loop: Header=BB30_9 Depth=1
	v_mul_f32_e32 v7, v4, v6
	v_fma_f32 v3, v3, v5, -v7
	s_branch .LBB30_19
.LBB30_18:                              ;   in Loop: Header=BB30_9 Depth=1
	v_xor_b32_e32 v3, 0x80000000, v4
	v_mov_b32_e32 v5, 0
	v_mov_b32_e32 v6, 1.0
.LBB30_19:                              ;   in Loop: Header=BB30_9 Depth=1
	global_load_dword v7, v2, s[12:13]
	s_andn2_b64 vcc, exec, s[18:19]
	global_store_dword v2, v3, s[12:13] offset:-4
	global_load_dword v4, v2, s[30:31]
	s_waitcnt vmcnt(2)
	v_mul_f32_e64 v3, v7, -v6
	global_store_dword v2, v3, s[30:31] offset:-4
	global_load_dword v3, v2, s[12:13]
	s_cbranch_vccnz .LBB30_8
; %bb.20:                               ;   in Loop: Header=BB30_9 Depth=1
	s_add_i32 s16, s20, s27
	s_lshl_b64 s[0:1], s[16:17], 2
	s_add_u32 s0, s28, s0
	s_addc_u32 s1, s29, s1
	global_store_dword v2, v5, s[34:35]
	global_store_dword v2, v6, s[0:1]
	s_branch .LBB30_8
.LBB30_21:
	s_ashr_i32 s27, s26, 31
	s_lshl_b64 s[0:1], s[26:27], 2
	s_add_u32 s0, s14, s0
	s_addc_u32 s1, s15, s1
	v_mov_b32_e32 v1, 0
	global_store_dword v1, v3, s[0:1]
.LBB30_22:
	s_or_b64 exec, exec, s[2:3]
	v_cmp_gt_i32_e32 vcc, s21, v0
	s_barrier
	s_and_saveexec_b64 s[2:3], vcc
	s_cbranch_execz .LBB30_28
; %bb.23:
	s_load_dword s10, s[4:5], 0x8c
	s_add_i32 s28, s20, -1
	s_cmp_gt_i32 s20, 1
	s_cselect_b64 s[0:1], -1, 0
	s_mul_i32 s18, s28, s11
	s_waitcnt lgkmcnt(0)
	s_and_b32 s29, s10, 0xffff
	s_add_u32 s12, s8, 16
	s_addc_u32 s13, s23, 0
	s_ashr_i32 s19, s18, 31
	s_ashr_i32 s15, s11, 31
	s_mov_b32 s14, s11
	s_lshl_b64 s[10:11], s[14:15], 2
	s_mov_b32 s15, 0
	s_mov_b32 s14, s20
	v_cndmask_b32_e64 v2, 0, 1, s[0:1]
	s_lshl_b64 s[18:19], s[18:19], 2
	s_lshl_b64 s[14:15], s[14:15], 2
	s_mov_b64 s[16:17], 0
	v_mov_b32_e32 v1, s25
	v_cmp_ne_u32_e64 s[0:1], 1, v2
	v_mov_b32_e32 v8, 0
	v_mov_b32_e32 v9, s19
	;; [unrolled: 1-line block ×3, first 2 shown]
	s_branch .LBB30_25
.LBB30_24:                              ;   in Loop: Header=BB30_25 Depth=1
	v_add_co_u32_e32 v4, vcc, s18, v4
	v_addc_co_u32_e32 v5, vcc, v5, v9, vcc
	v_add_u32_e32 v2, s29, v2
	v_cmp_le_i32_e32 vcc, s21, v2
	s_or_b64 s[16:17], vcc, s[16:17]
	s_waitcnt vmcnt(0) lgkmcnt(0)
	flat_store_dword v[4:5], v3
	s_andn2_b64 exec, exec, s[16:17]
	s_cbranch_execz .LBB30_28
.LBB30_25:                              ; =>This Loop Header: Depth=1
                                        ;     Child Loop BB30_27 Depth 2
	v_ashrrev_i32_e32 v3, 31, v2
	v_lshlrev_b64 v[4:5], 2, v[2:3]
	v_add_co_u32_e32 v4, vcc, s24, v4
	v_addc_co_u32_e32 v5, vcc, v1, v5, vcc
	flat_load_dword v3, v[4:5]
	s_and_b64 vcc, exec, s[0:1]
	s_cbranch_vccnz .LBB30_24
; %bb.26:                               ;   in Loop: Header=BB30_25 Depth=1
	s_mov_b32 s19, s28
	s_mov_b64 s[26:27], s[12:13]
	v_pk_mov_b32 v[6:7], v[4:5], v[4:5] op_sel:[0,1]
.LBB30_27:                              ;   Parent Loop BB30_25 Depth=1
                                        ; =>  This Inner Loop Header: Depth=2
	v_mov_b32_e32 v11, s11
	v_add_co_u32_e32 v10, vcc, s10, v6
	v_addc_co_u32_e32 v11, vcc, v7, v11, vcc
	s_add_u32 s30, s26, s14
	flat_load_dword v12, v[10:11]
	s_addc_u32 s31, s27, s15
	global_load_dword v13, v8, s[30:31]
	global_load_dword v14, v8, s[26:27]
	s_add_u32 s26, s26, 4
	s_addc_u32 s27, s27, 0
	s_add_i32 s19, s19, -1
	s_cmp_lg_u32 s19, 0
	s_waitcnt vmcnt(0) lgkmcnt(0)
	v_mul_f32_e32 v15, v12, v13
	v_fma_f32 v15, v3, v14, -v15
	v_mul_f32_e32 v3, v3, v13
	flat_store_dword v[6:7], v15
	v_fmac_f32_e32 v3, v12, v14
	v_pk_mov_b32 v[6:7], v[10:11], v[10:11] op_sel:[0,1]
	s_cbranch_scc1 .LBB30_27
	s_branch .LBB30_24
.LBB30_28:
	s_or_b64 exec, exec, s[2:3]
	v_cmp_gt_i32_e32 vcc, s22, v0
	s_and_saveexec_b64 s[0:1], vcc
	s_cbranch_execz .LBB30_34
; %bb.29:
	s_load_dword s3, s[4:5], 0x8c
	s_add_i32 s2, s20, -1
	s_cmp_gt_i32 s20, 1
	s_cselect_b64 s[0:1], -1, 0
	s_mov_b32 s21, 0
	s_waitcnt lgkmcnt(0)
	s_and_b32 s18, s3, 0xffff
	s_add_u32 s4, s8, 16
	s_addc_u32 s5, s23, 0
	s_ashr_i32 s3, s2, 31
	v_cndmask_b32_e64 v3, 0, 1, s[0:1]
	s_lshl_b64 s[14:15], s[2:3], 2
	v_mul_lo_u32 v2, v0, s9
	s_mul_i32 s8, s9, s18
	s_lshl_b64 s[10:11], s[20:21], 2
	s_mov_b64 s[12:13], 0
	v_mov_b32_e32 v1, s7
	v_cmp_ne_u32_e64 s[0:1], 1, v3
	v_mov_b32_e32 v8, 0
	v_mov_b32_e32 v9, s15
	s_branch .LBB30_31
.LBB30_30:                              ;   in Loop: Header=BB30_31 Depth=1
	v_add_co_u32_e32 v4, vcc, s14, v4
	v_addc_co_u32_e32 v5, vcc, v5, v9, vcc
	v_add_u32_e32 v0, s18, v0
	v_cmp_le_i32_e32 vcc, s22, v0
	s_or_b64 s[12:13], vcc, s[12:13]
	v_add_u32_e32 v2, s8, v2
	s_waitcnt vmcnt(0) lgkmcnt(0)
	flat_store_dword v[4:5], v10
	s_andn2_b64 exec, exec, s[12:13]
	s_cbranch_execz .LBB30_34
.LBB30_31:                              ; =>This Loop Header: Depth=1
                                        ;     Child Loop BB30_33 Depth 2
	v_mul_lo_u32 v4, v0, s9
	v_ashrrev_i32_e32 v5, 31, v4
	v_lshlrev_b64 v[4:5], 2, v[4:5]
	v_add_co_u32_e32 v4, vcc, s6, v4
	v_addc_co_u32_e32 v5, vcc, v1, v5, vcc
	flat_load_dword v10, v[4:5]
	s_and_b64 vcc, exec, s[0:1]
	s_cbranch_vccnz .LBB30_30
; %bb.32:                               ;   in Loop: Header=BB30_31 Depth=1
	v_ashrrev_i32_e32 v3, 31, v2
	v_lshlrev_b64 v[6:7], 2, v[2:3]
	v_add_co_u32_e32 v6, vcc, s6, v6
	v_addc_co_u32_e32 v7, vcc, v1, v7, vcc
	s_mov_b32 s3, s2
	s_mov_b64 s[16:17], s[4:5]
.LBB30_33:                              ;   Parent Loop BB30_31 Depth=1
                                        ; =>  This Inner Loop Header: Depth=2
	s_add_u32 s20, s16, s10
	s_addc_u32 s21, s17, s11
	flat_load_dword v3, v[6:7] offset:4
	global_load_dword v11, v8, s[16:17]
	global_load_dword v14, v8, s[20:21]
	v_add_co_u32_e32 v12, vcc, 4, v6
	s_add_u32 s16, s16, 4
	v_addc_co_u32_e32 v13, vcc, 0, v7, vcc
	s_addc_u32 s17, s17, 0
	s_add_i32 s3, s3, -1
	s_cmp_lg_u32 s3, 0
	s_waitcnt vmcnt(0) lgkmcnt(0)
	v_mul_f32_e32 v15, v3, v14
	v_fma_f32 v15, v10, v11, -v15
	v_mul_f32_e32 v10, v10, v14
	flat_store_dword v[6:7], v15
	v_fmac_f32_e32 v10, v3, v11
	v_pk_mov_b32 v[6:7], v[12:13], v[12:13] op_sel:[0,1]
	s_cbranch_scc1 .LBB30_33
	s_branch .LBB30_30
.LBB30_34:
	s_endpgm
	.section	.rodata,"a",@progbits
	.p2align	6, 0x0
	.amdhsa_kernel _ZN9rocsolver6v33100L17bdsqr_lower2upperIffPfPKS2_EEviiiPT0_lS6_lT1_iilT2_iilPiS6_lS9_
		.amdhsa_group_segment_fixed_size 0
		.amdhsa_private_segment_fixed_size 0
		.amdhsa_kernarg_size 384
		.amdhsa_user_sgpr_count 6
		.amdhsa_user_sgpr_private_segment_buffer 1
		.amdhsa_user_sgpr_dispatch_ptr 0
		.amdhsa_user_sgpr_queue_ptr 0
		.amdhsa_user_sgpr_kernarg_segment_ptr 1
		.amdhsa_user_sgpr_dispatch_id 0
		.amdhsa_user_sgpr_flat_scratch_init 0
		.amdhsa_user_sgpr_kernarg_preload_length 0
		.amdhsa_user_sgpr_kernarg_preload_offset 0
		.amdhsa_user_sgpr_private_segment_size 0
		.amdhsa_uses_dynamic_stack 0
		.amdhsa_system_sgpr_private_segment_wavefront_offset 0
		.amdhsa_system_sgpr_workgroup_id_x 1
		.amdhsa_system_sgpr_workgroup_id_y 1
		.amdhsa_system_sgpr_workgroup_id_z 0
		.amdhsa_system_sgpr_workgroup_info 0
		.amdhsa_system_vgpr_workitem_id 0
		.amdhsa_next_free_vgpr 16
		.amdhsa_next_free_sgpr 36
		.amdhsa_accum_offset 16
		.amdhsa_reserve_vcc 1
		.amdhsa_reserve_flat_scratch 0
		.amdhsa_float_round_mode_32 0
		.amdhsa_float_round_mode_16_64 0
		.amdhsa_float_denorm_mode_32 3
		.amdhsa_float_denorm_mode_16_64 3
		.amdhsa_dx10_clamp 1
		.amdhsa_ieee_mode 1
		.amdhsa_fp16_overflow 0
		.amdhsa_tg_split 0
		.amdhsa_exception_fp_ieee_invalid_op 0
		.amdhsa_exception_fp_denorm_src 0
		.amdhsa_exception_fp_ieee_div_zero 0
		.amdhsa_exception_fp_ieee_overflow 0
		.amdhsa_exception_fp_ieee_underflow 0
		.amdhsa_exception_fp_ieee_inexact 0
		.amdhsa_exception_int_div_zero 0
	.end_amdhsa_kernel
	.section	.text._ZN9rocsolver6v33100L17bdsqr_lower2upperIffPfPKS2_EEviiiPT0_lS6_lT1_iilT2_iilPiS6_lS9_,"axG",@progbits,_ZN9rocsolver6v33100L17bdsqr_lower2upperIffPfPKS2_EEviiiPT0_lS6_lT1_iilT2_iilPiS6_lS9_,comdat
.Lfunc_end30:
	.size	_ZN9rocsolver6v33100L17bdsqr_lower2upperIffPfPKS2_EEviiiPT0_lS6_lT1_iilT2_iilPiS6_lS9_, .Lfunc_end30-_ZN9rocsolver6v33100L17bdsqr_lower2upperIffPfPKS2_EEviiiPT0_lS6_lT1_iilT2_iilPiS6_lS9_
                                        ; -- End function
	.section	.AMDGPU.csdata,"",@progbits
; Kernel info:
; codeLenInByte = 1924
; NumSgprs: 40
; NumVgprs: 16
; NumAgprs: 0
; TotalNumVgprs: 16
; ScratchSize: 0
; MemoryBound: 0
; FloatMode: 240
; IeeeMode: 1
; LDSByteSize: 0 bytes/workgroup (compile time only)
; SGPRBlocks: 4
; VGPRBlocks: 1
; NumSGPRsForWavesPerEU: 40
; NumVGPRsForWavesPerEU: 16
; AccumOffset: 16
; Occupancy: 8
; WaveLimiterHint : 0
; COMPUTE_PGM_RSRC2:SCRATCH_EN: 0
; COMPUTE_PGM_RSRC2:USER_SGPR: 6
; COMPUTE_PGM_RSRC2:TRAP_HANDLER: 0
; COMPUTE_PGM_RSRC2:TGID_X_EN: 1
; COMPUTE_PGM_RSRC2:TGID_Y_EN: 1
; COMPUTE_PGM_RSRC2:TGID_Z_EN: 0
; COMPUTE_PGM_RSRC2:TIDIG_COMP_CNT: 0
; COMPUTE_PGM_RSRC3_GFX90A:ACCUM_OFFSET: 3
; COMPUTE_PGM_RSRC3_GFX90A:TG_SPLIT: 0
	.section	.text._ZN9rocsolver6v33100L13bdsqr_computeILi256EffPKPfS2_S4_EEviiiiPT1_lS6_lT2_iilT3_iilT4_iiliS5_S5_S5_S5_PiS6_ilSA_,"axG",@progbits,_ZN9rocsolver6v33100L13bdsqr_computeILi256EffPKPfS2_S4_EEviiiiPT1_lS6_lT2_iilT3_iilT4_iiliS5_S5_S5_S5_PiS6_ilSA_,comdat
	.globl	_ZN9rocsolver6v33100L13bdsqr_computeILi256EffPKPfS2_S4_EEviiiiPT1_lS6_lT2_iilT3_iilT4_iiliS5_S5_S5_S5_PiS6_ilSA_ ; -- Begin function _ZN9rocsolver6v33100L13bdsqr_computeILi256EffPKPfS2_S4_EEviiiiPT1_lS6_lT2_iilT3_iilT4_iiliS5_S5_S5_S5_PiS6_ilSA_
	.p2align	8
	.type	_ZN9rocsolver6v33100L13bdsqr_computeILi256EffPKPfS2_S4_EEviiiiPT1_lS6_lT2_iilT3_iilT4_iiliS5_S5_S5_S5_PiS6_ilSA_,@function
_ZN9rocsolver6v33100L13bdsqr_computeILi256EffPKPfS2_S4_EEviiiiPT1_lS6_lT2_iilT3_iilT4_iiliS5_S5_S5_S5_PiS6_ilSA_: ; @_ZN9rocsolver6v33100L13bdsqr_computeILi256EffPKPfS2_S4_EEviiiiPT1_lS6_lT2_iilT3_iilT4_iiliS5_S5_S5_S5_PiS6_ilSA_
; %bb.0:
	s_load_dwordx4 s[0:3], s[4:5], 0xa8
	s_ashr_i32 s9, s8, 31
	s_lshl_b64 s[10:11], s[8:9], 2
	s_waitcnt lgkmcnt(0)
	s_add_u32 s2, s2, s10
	s_addc_u32 s3, s3, s11
	s_load_dword s2, s[2:3], 0x8
	s_waitcnt lgkmcnt(0)
	s_cmp_lg_u32 s2, 0
	s_cbranch_scc1 .LBB31_181
; %bb.1:
	s_load_dwordx4 s[36:39], s[4:5], 0x30
	s_mov_b64 s[44:45], 0
	s_mov_b64 s[34:35], 0
	s_waitcnt lgkmcnt(0)
	s_cmp_eq_u64 s[36:37], 0
	s_cbranch_scc1 .LBB31_3
; %bb.2:
	s_lshl_b64 s[2:3], s[8:9], 3
	s_add_u32 s2, s36, s2
	s_addc_u32 s3, s37, s3
	s_load_dwordx2 s[2:3], s[2:3], 0x0
	s_ashr_i32 s11, s38, 31
	s_mov_b32 s10, s38
	s_lshl_b64 s[10:11], s[10:11], 2
	s_waitcnt lgkmcnt(0)
	s_add_u32 s34, s2, s10
	s_addc_u32 s35, s3, s11
.LBB31_3:
	s_load_dwordx8 s[20:27], s[4:5], 0x48
	s_waitcnt lgkmcnt(0)
	s_cmp_eq_u64 s[20:21], 0
	s_cbranch_scc1 .LBB31_5
; %bb.4:
	s_mul_i32 s6, s8, s25
	s_mul_hi_u32 s10, s8, s24
	s_add_i32 s6, s10, s6
	s_mul_i32 s10, s9, s24
	s_add_i32 s11, s6, s10
	s_mul_i32 s10, s8, s24
	s_ashr_i32 s3, s22, 31
	s_lshl_b64 s[10:11], s[10:11], 2
	s_mov_b32 s2, s22
	s_add_u32 s6, s20, s10
	s_addc_u32 s10, s21, s11
	s_lshl_b64 s[2:3], s[2:3], 2
	s_add_u32 s44, s6, s2
	s_addc_u32 s45, s10, s3
.LBB31_5:
	s_load_dwordx2 s[20:21], s[4:5], 0x68
	s_cmp_eq_u64 s[26:27], 0
	s_mov_b64 s[36:37], 0
	s_cbranch_scc1 .LBB31_7
; %bb.6:
	s_lshl_b64 s[2:3], s[8:9], 3
	s_add_u32 s2, s26, s2
	s_addc_u32 s3, s27, s3
	s_load_dwordx2 s[2:3], s[2:3], 0x0
	s_waitcnt lgkmcnt(0)
	s_ashr_i32 s11, s20, 31
	s_mov_b32 s10, s20
	s_lshl_b64 s[10:11], s[10:11], 2
	s_add_u32 s36, s2, s10
	s_addc_u32 s37, s3, s11
.LBB31_7:
	s_load_dwordx4 s[12:15], s[4:5], 0x90
	s_mul_i32 s1, s8, s1
	s_mul_hi_u32 s2, s8, s0
	s_add_i32 s1, s2, s1
	s_mul_i32 s2, s9, s0
	s_add_i32 s1, s1, s2
	s_mul_i32 s0, s8, s0
	s_lshl_b64 s[60:61], s[0:1], 2
	s_waitcnt lgkmcnt(0)
	s_add_u32 s46, s14, s60
	s_addc_u32 s47, s15, s61
	s_load_dword s0, s[46:47], 0x8
	s_waitcnt lgkmcnt(0)
	v_cvt_i32_f32_e32 v1, s0
	v_cmp_ge_i32_e32 vcc, s7, v1
	s_cbranch_vccnz .LBB31_181
; %bb.8:
	s_load_dwordx4 s[40:43], s[4:5], 0x0
	s_load_dwordx8 s[24:31], s[4:5], 0x10
                                        ; implicit-def: $vgpr31 : SGPR spill to VGPR lane
	s_load_dwordx2 s[56:57], s[4:5], 0x78
	s_load_dwordx2 s[58:59], s[4:5], 0x84
	s_load_dword s55, s[4:5], 0xa0
	s_load_dword s18, s[4:5], 0xbc
	v_lshlrev_b32_e32 v8, 2, v0
	v_mul_lo_u32 v14, v0, s39
	s_waitcnt lgkmcnt(0)
	s_mul_i32 s0, s8, s40
	s_lshl_b32 s0, s0, 1
	s_ashr_i32 s1, s0, 31
	s_lshl_b64 s[0:1], s[0:1], 2
	s_mul_i32 s2, s8, s27
	s_mul_hi_u32 s3, s8, s26
	s_add_u32 s6, s12, s0
	s_addc_u32 s20, s13, s1
	s_add_i32 s0, s3, s2
	s_mul_i32 s1, s9, s26
	s_add_i32 s1, s0, s1
	s_mul_i32 s0, s8, s26
	s_lshl_b64 s[0:1], s[0:1], 2
	s_add_u32 s22, s24, s0
	s_addc_u32 s33, s25, s1
	s_mul_i32 s0, s8, s31
	s_mul_hi_u32 s1, s8, s30
	s_add_i32 s0, s1, s0
	s_mul_i32 s1, s9, s30
	s_add_i32 s1, s0, s1
	s_mul_i32 s0, s8, s30
	v_writelane_b32 v31, s0, 0
	s_lshl_b64 s[10:11], s[0:1], 2
	s_add_u32 s38, s28, s10
	s_addc_u32 s40, s29, s11
	s_cmp_lg_u32 s41, 0
	s_cselect_b64 s[26:27], -1, 0
	s_or_b32 s8, s43, s42
	s_cmp_eq_u32 s8, 0
	v_writelane_b32 v31, s1, 1
	s_cselect_b64 s[8:9], -1, 0
	v_writelane_b32 v31, s8, 2
	s_cmp_lg_u64 s[34:35], 0
	v_writelane_b32 v31, s9, 3
	s_cselect_b64 s[8:9], -1, 0
	s_and_b64 s[82:83], s[26:27], s[8:9]
	s_add_u32 s50, s4, 0xb8
	s_addc_u32 s51, s5, 0
	s_cmp_lg_u64 s[44:45], 0
	s_cselect_b64 s[8:9], -1, 0
	s_cmp_lg_u32 s42, 0
	s_cselect_b64 s[12:13], -1, 0
	s_and_b64 s[90:91], s[12:13], s[8:9]
	s_cmp_lg_u64 s[36:37], 0
	s_cselect_b64 s[8:9], -1, 0
	s_cmp_lg_u32 s43, 0
	s_cselect_b64 s[12:13], -1, 0
	s_and_b64 s[8:9], s[12:13], s[8:9]
	v_writelane_b32 v31, s8, 4
	v_writelane_b32 v31, s9, 5
	v_cmp_gt_i32_e64 s[8:9], s43, v0
	v_writelane_b32 v31, s8, 6
	s_add_u32 s19, s14, s60
	v_writelane_b32 v31, s9, 7
	s_addc_u32 s8, s15, s61
	s_add_u32 s4, s19, 12
	v_writelane_b32 v31, s4, 8
	s_addc_u32 s4, s8, 0
	v_writelane_b32 v31, s4, 9
	s_add_u32 s4, s28, -4
	s_addc_u32 s5, s29, -1
	v_writelane_b32 v31, s4, 10
	s_add_u32 s4, s4, s10
	v_writelane_b32 v31, s4, 11
	v_writelane_b32 v31, s5, 12
	s_addc_u32 s4, s5, s11
	v_mov_b32_e32 v2, s33
	v_add_co_u32_e32 v10, vcc, s22, v8
	v_writelane_b32 v31, s4, 13
	s_add_u32 s4, s22, -4
	v_addc_co_u32_e32 v11, vcc, 0, v2, vcc
	v_writelane_b32 v31, s4, 14
	s_addc_u32 s4, s33, -1
	s_movk_i32 s0, 0x80
	v_mov_b32_e32 v2, s40
	v_add_co_u32_e32 v12, vcc, s38, v8
	v_writelane_b32 v31, s4, 15
	s_add_u32 s4, s19, 20
	v_mul_lo_u32 v16, v0, s21
	v_cmp_gt_u32_e64 s[0:1], s0, v0
	v_cmp_gt_u32_e64 s[2:3], 64, v0
	v_cmp_eq_u32_e64 s[16:17], 0, v0
	v_cmp_gt_i32_e64 s[88:89], s41, v0
	v_cmp_gt_i32_e64 s[92:93], s42, v0
	v_mov_b32_e32 v9, 0
	v_addc_co_u32_e32 v13, vcc, 0, v2, vcc
	v_writelane_b32 v31, s4, 16
	s_addc_u32 s4, s8, 0
	v_add_u32_e32 v15, -1, v14
	v_add_u32_e32 v17, -1, v16
	s_mov_b32 s10, 0xf800000
	v_mov_b32_e32 v18, 0x260
	v_mov_b32_e32 v19, 1
	v_writelane_b32 v31, s4, 17
	s_branch .LBB31_11
.LBB31_9:                               ;   in Loop: Header=BB31_11 Depth=1
	s_or_b64 exec, exec, s[12:13]
.LBB31_10:                              ;   in Loop: Header=BB31_11 Depth=1
	s_add_i32 s7, s18, s7
	v_cmp_lt_i32_e32 vcc, s7, v1
	s_cbranch_vccz .LBB31_181
.LBB31_11:                              ; =>This Loop Header: Depth=1
                                        ;     Child Loop BB31_15 Depth 2
                                        ;     Child Loop BB31_40 Depth 2
	;; [unrolled: 1-line block ×5, first 2 shown]
                                        ;       Child Loop BB31_164 Depth 3
                                        ;     Child Loop BB31_170 Depth 2
                                        ;       Child Loop BB31_172 Depth 3
                                        ;     Child Loop BB31_178 Depth 2
                                        ;       Child Loop BB31_180 Depth 3
	s_lshl_b32 s4, s7, 2
	s_ashr_i32 s5, s4, 31
	s_lshl_b64 s[4:5], s[4:5], 2
	s_add_u32 s12, s6, s4
	s_addc_u32 s13, s20, s5
	global_load_dwordx2 v[2:3], v9, s[12:13] offset:4
	s_waitcnt vmcnt(0)
	v_readfirstlane_b32 s62, v2
	v_readfirstlane_b32 s60, v3
	s_cmp_le_i32 s60, s62
	s_cbranch_scc1 .LBB31_10
; %bb.12:                               ;   in Loop: Header=BB31_11 Depth=1
	global_load_dword v2, v9, s[12:13] offset:12
	s_waitcnt vmcnt(0)
	v_cmp_le_i32_e32 vcc, s56, v2
	s_cbranch_vccnz .LBB31_10
; %bb.13:                               ;   in Loop: Header=BB31_11 Depth=1
	s_sub_i32 s28, s60, s62
	s_ashr_i32 s63, s62, 31
	v_cmp_ge_i32_e32 vcc, s28, v0
	v_mov_b32_e32 v4, 0
	s_and_saveexec_b64 s[4:5], vcc
	s_cbranch_execz .LBB31_17
; %bb.14:                               ;   in Loop: Header=BB31_11 Depth=1
	s_lshl_b64 s[14:15], s[62:63], 2
	v_mov_b32_e32 v3, s15
	v_add_co_u32_e32 v2, vcc, s14, v10
	v_addc_co_u32_e32 v3, vcc, v11, v3, vcc
	s_mov_b64 s[14:15], 0
	v_mov_b32_e32 v4, 0
	v_mov_b32_e32 v5, v0
.LBB31_15:                              ;   Parent Loop BB31_11 Depth=1
                                        ; =>  This Inner Loop Header: Depth=2
	global_load_dword v6, v[2:3], off
	v_add_co_u32_e32 v2, vcc, 0x400, v2
	v_add_u32_e32 v5, 0x100, v5
	v_addc_co_u32_e32 v3, vcc, 0, v3, vcc
	v_cmp_lt_i32_e32 vcc, s28, v5
	s_or_b64 s[14:15], vcc, s[14:15]
	s_waitcnt vmcnt(0)
	v_cmp_lt_f32_e64 s[24:25], v4, |v6|
	v_cndmask_b32_e64 v4, v4, |v6|, s[24:25]
	s_andn2_b64 exec, exec, s[14:15]
	s_cbranch_execnz .LBB31_15
; %bb.16:                               ;   in Loop: Header=BB31_11 Depth=1
	s_or_b64 exec, exec, s[14:15]
.LBB31_17:                              ;   in Loop: Header=BB31_11 Depth=1
	s_or_b64 exec, exec, s[4:5]
	s_cmp_lt_i32 s28, 1
	ds_write_b32 v8, v4
	s_waitcnt lgkmcnt(0)
	s_barrier
	s_cbranch_scc1 .LBB31_38
; %bb.18:                               ;   in Loop: Header=BB31_11 Depth=1
	s_and_saveexec_b64 s[4:5], s[0:1]
	s_cbranch_execz .LBB31_22
; %bb.19:                               ;   in Loop: Header=BB31_11 Depth=1
	ds_read_b32 v2, v8 offset:512
	s_waitcnt lgkmcnt(0)
	v_cmp_lt_f32_e32 vcc, v4, v2
	s_and_saveexec_b64 s[14:15], vcc
	s_cbranch_execz .LBB31_21
; %bb.20:                               ;   in Loop: Header=BB31_11 Depth=1
	v_mov_b32_e32 v4, v2
	ds_write_b32 v8, v2
.LBB31_21:                              ;   in Loop: Header=BB31_11 Depth=1
	s_or_b64 exec, exec, s[14:15]
.LBB31_22:                              ;   in Loop: Header=BB31_11 Depth=1
	s_or_b64 exec, exec, s[4:5]
	s_waitcnt lgkmcnt(0)
	s_barrier
	s_and_saveexec_b64 s[4:5], s[2:3]
	s_cbranch_execz .LBB31_37
; %bb.23:                               ;   in Loop: Header=BB31_11 Depth=1
	ds_read_b32 v2, v8 offset:256
	s_waitcnt lgkmcnt(0)
	v_cmp_lt_f32_e32 vcc, v4, v2
	s_and_saveexec_b64 s[14:15], vcc
	s_cbranch_execz .LBB31_25
; %bb.24:                               ;   in Loop: Header=BB31_11 Depth=1
	v_mov_b32_e32 v4, v2
	ds_write_b32 v8, v2
.LBB31_25:                              ;   in Loop: Header=BB31_11 Depth=1
	s_or_b64 exec, exec, s[14:15]
	ds_read_b32 v2, v8 offset:128
	s_waitcnt lgkmcnt(0)
	v_cmp_lt_f32_e32 vcc, v4, v2
	s_and_saveexec_b64 s[14:15], vcc
	s_cbranch_execz .LBB31_27
; %bb.26:                               ;   in Loop: Header=BB31_11 Depth=1
	v_mov_b32_e32 v4, v2
	ds_write_b32 v8, v2
.LBB31_27:                              ;   in Loop: Header=BB31_11 Depth=1
	s_or_b64 exec, exec, s[14:15]
	;; [unrolled: 10-line block ×6, first 2 shown]
	ds_read_b32 v2, v8 offset:4
	s_waitcnt lgkmcnt(0)
	v_cmp_lt_f32_e32 vcc, v4, v2
	s_and_b64 exec, exec, vcc
	s_cbranch_execz .LBB31_37
; %bb.36:                               ;   in Loop: Header=BB31_11 Depth=1
	ds_write_b32 v8, v2
.LBB31_37:                              ;   in Loop: Header=BB31_11 Depth=1
	s_or_b64 exec, exec, s[4:5]
.LBB31_38:                              ;   in Loop: Header=BB31_11 Depth=1
	v_cmp_gt_i32_e32 vcc, s28, v0
	v_mov_b32_e32 v4, 0
	s_waitcnt lgkmcnt(0)
	s_barrier
	s_and_saveexec_b64 s[4:5], vcc
	s_cbranch_execz .LBB31_42
; %bb.39:                               ;   in Loop: Header=BB31_11 Depth=1
	s_lshl_b64 s[14:15], s[62:63], 2
	v_mov_b32_e32 v3, s15
	v_add_co_u32_e32 v2, vcc, s14, v12
	v_addc_co_u32_e32 v3, vcc, v13, v3, vcc
	s_mov_b64 s[14:15], 0
	v_mov_b32_e32 v4, 0
	v_mov_b32_e32 v5, v0
.LBB31_40:                              ;   Parent Loop BB31_11 Depth=1
                                        ; =>  This Inner Loop Header: Depth=2
	global_load_dword v6, v[2:3], off
	v_add_co_u32_e32 v2, vcc, 0x400, v2
	v_add_u32_e32 v5, 0x100, v5
	v_addc_co_u32_e32 v3, vcc, 0, v3, vcc
	v_cmp_le_i32_e32 vcc, s28, v5
	s_or_b64 s[14:15], vcc, s[14:15]
	s_waitcnt vmcnt(0)
	v_cmp_lt_f32_e64 s[24:25], v4, |v6|
	v_cndmask_b32_e64 v4, v4, |v6|, s[24:25]
	s_andn2_b64 exec, exec, s[14:15]
	s_cbranch_execnz .LBB31_40
; %bb.41:                               ;   in Loop: Header=BB31_11 Depth=1
	s_or_b64 exec, exec, s[14:15]
.LBB31_42:                              ;   in Loop: Header=BB31_11 Depth=1
	s_or_b64 exec, exec, s[4:5]
	s_cmp_lt_i32 s28, 2
	ds_write_b32 v8, v4 offset:4
	s_waitcnt lgkmcnt(0)
	s_barrier
	s_cbranch_scc1 .LBB31_63
; %bb.43:                               ;   in Loop: Header=BB31_11 Depth=1
	s_and_saveexec_b64 s[4:5], s[0:1]
	s_cbranch_execz .LBB31_47
; %bb.44:                               ;   in Loop: Header=BB31_11 Depth=1
	ds_read_b32 v2, v8 offset:516
	s_waitcnt lgkmcnt(0)
	v_cmp_lt_f32_e32 vcc, v4, v2
	s_and_saveexec_b64 s[14:15], vcc
	s_cbranch_execz .LBB31_46
; %bb.45:                               ;   in Loop: Header=BB31_11 Depth=1
	v_mov_b32_e32 v4, v2
	ds_write_b32 v8, v2 offset:4
.LBB31_46:                              ;   in Loop: Header=BB31_11 Depth=1
	s_or_b64 exec, exec, s[14:15]
.LBB31_47:                              ;   in Loop: Header=BB31_11 Depth=1
	s_or_b64 exec, exec, s[4:5]
	s_waitcnt lgkmcnt(0)
	s_barrier
	s_and_saveexec_b64 s[4:5], s[2:3]
	s_cbranch_execz .LBB31_62
; %bb.48:                               ;   in Loop: Header=BB31_11 Depth=1
	ds_read_b32 v2, v8 offset:260
	s_waitcnt lgkmcnt(0)
	v_cmp_lt_f32_e32 vcc, v4, v2
	s_and_saveexec_b64 s[14:15], vcc
	s_cbranch_execz .LBB31_50
; %bb.49:                               ;   in Loop: Header=BB31_11 Depth=1
	v_mov_b32_e32 v4, v2
	ds_write_b32 v8, v2 offset:4
.LBB31_50:                              ;   in Loop: Header=BB31_11 Depth=1
	s_or_b64 exec, exec, s[14:15]
	ds_read_b32 v2, v8 offset:132
	s_waitcnt lgkmcnt(0)
	v_cmp_lt_f32_e32 vcc, v4, v2
	s_and_saveexec_b64 s[14:15], vcc
	s_cbranch_execz .LBB31_52
; %bb.51:                               ;   in Loop: Header=BB31_11 Depth=1
	v_mov_b32_e32 v4, v2
	ds_write_b32 v8, v2 offset:4
.LBB31_52:                              ;   in Loop: Header=BB31_11 Depth=1
	s_or_b64 exec, exec, s[14:15]
	;; [unrolled: 10-line block ×6, first 2 shown]
	ds_read_b32 v2, v8 offset:8
	s_waitcnt lgkmcnt(0)
	v_cmp_lt_f32_e32 vcc, v4, v2
	s_and_b64 exec, exec, vcc
	s_cbranch_execz .LBB31_62
; %bb.61:                               ;   in Loop: Header=BB31_11 Depth=1
	ds_write_b32 v8, v2 offset:4
.LBB31_62:                              ;   in Loop: Header=BB31_11 Depth=1
	s_or_b64 exec, exec, s[4:5]
.LBB31_63:                              ;   in Loop: Header=BB31_11 Depth=1
	s_lshl_b64 s[64:65], s[62:63], 2
	s_add_u32 s11, s38, s64
	s_addc_u32 s9, s40, s65
	s_add_u32 s14, s22, s64
	s_addc_u32 s15, s33, s65
	s_waitcnt lgkmcnt(0)
	s_barrier
	s_and_saveexec_b64 s[66:67], s[16:17]
	s_cbranch_execz .LBB31_78
; %bb.64:                               ;   in Loop: Header=BB31_11 Depth=1
	s_ashr_i32 s61, s60, 31
	s_lshl_b64 s[4:5], s[60:61], 2
	s_add_u32 s4, s22, s4
	s_addc_u32 s5, s33, s5
	global_load_dword v3, v9, s[14:15]
	global_load_dword v4, v9, s[4:5]
	s_ashr_i32 s29, s28, 31
	s_lshl_b64 s[4:5], s[28:29], 2
	s_add_u32 s29, s14, s4
	s_addc_u32 s30, s15, s5
	s_waitcnt vmcnt(0)
	v_cmp_ge_f32_e64 s[4:5], |v3|, |v4|
	s_and_b64 s[24:25], s[4:5], exec
	s_cselect_b32 s25, s15, s30
	s_cselect_b32 s24, s14, s29
	global_load_dword v5, v9, s[24:25]
	v_cndmask_b32_e64 v2, 0, 1, s[4:5]
	ds_write_b32 v9, v2 offset:1028
	s_cmp_lt_i32 s28, 1
	s_waitcnt vmcnt(0)
	v_and_b32_e32 v2, 0x7fffffff, v5
	s_cbranch_scc1 .LBB31_71
; %bb.65:                               ;   in Loop: Header=BB31_11 Depth=1
	s_not_b32 s24, s62
	s_add_i32 s24, s24, s60
	s_mov_b32 s25, 0
	v_mov_b32_e32 v5, v2
	s_branch .LBB31_67
.LBB31_66:                              ;   in Loop: Header=BB31_67 Depth=2
	s_add_i32 s25, s25, 1
	s_and_b64 s[48:49], s[4:5], exec
	s_cselect_b32 s48, s25, s24
	s_ashr_i32 s49, s48, 31
	s_lshl_b64 s[48:49], s[48:49], 2
	s_add_u32 s48, s14, s48
	s_addc_u32 s49, s15, s49
	global_load_dword v7, v9, s[48:49]
	v_add_f32_e64 v6, v5, |v6|
	v_div_scale_f32 v20, s[48:49], v6, v6, v5
	v_rcp_f32_e32 v21, v20
	v_div_scale_f32 v22, vcc, v5, v6, v5
	s_add_i32 s24, s24, -1
	v_fma_f32 v23, -v20, v21, 1.0
	v_fmac_f32_e32 v21, v23, v21
	v_mul_f32_e32 v23, v22, v21
	v_fma_f32 v24, -v20, v23, v22
	v_fmac_f32_e32 v23, v24, v21
	v_fma_f32 v20, -v20, v23, v22
	v_div_fmas_f32 v20, v20, v21, v23
	v_div_fixup_f32 v5, v20, v6, v5
	s_cmp_eq_u32 s24, -1
	s_mov_b64 s[68:69], 0
	s_cselect_b64 s[70:71], -1, 0
	s_waitcnt vmcnt(0)
	v_mul_f32_e64 v5, v5, |v7|
	v_cmp_lt_f32_e32 vcc, v5, v2
	v_cndmask_b32_e32 v2, v2, v5, vcc
	s_andn2_b64 vcc, exec, s[70:71]
	s_cbranch_vccz .LBB31_69
.LBB31_67:                              ;   Parent Loop BB31_11 Depth=1
                                        ; =>  This Inner Loop Header: Depth=2
	s_and_b64 s[30:31], s[4:5], exec
	s_cselect_b32 s30, s25, s24
	s_ashr_i32 s31, s30, 31
	s_lshl_b64 s[30:31], s[30:31], 2
	s_add_u32 s30, s11, s30
	s_addc_u32 s31, s9, s31
	global_load_dword v6, v9, s[30:31]
	v_mul_f32_e32 v7, s58, v5
	s_waitcnt vmcnt(0)
	v_cmp_nle_f32_e64 s[48:49], |v6|, v7
	s_and_b64 vcc, exec, s[48:49]
	s_cbranch_vccnz .LBB31_66
; %bb.68:                               ;   in Loop: Header=BB31_11 Depth=1
	s_mov_b64 s[68:69], -1
                                        ; implicit-def: $vgpr5
                                        ; implicit-def: $sgpr24
                                        ; implicit-def: $sgpr25
                                        ; implicit-def: $vgpr2
.LBB31_69:                              ;   in Loop: Header=BB31_11 Depth=1
	s_and_b64 vcc, exec, s[68:69]
	s_cbranch_vccz .LBB31_71
; %bb.70:                               ;   in Loop: Header=BB31_11 Depth=1
	v_mov_b32_e32 v2, -1.0
	global_store_dword v9, v9, s[30:31]
.LBB31_71:                              ;   in Loop: Header=BB31_11 Depth=1
	v_cmp_nle_f32_e32 vcc, 0, v2
	v_and_b32_e32 v3, 0x7fffffff, v3
	v_and_b32_e32 v4, 0x7fffffff, v4
	ds_write_b32 v9, v2 offset:1032
	ds_write_b8 v9, v9 offset:1036
	s_cbranch_vccnz .LBB31_78
; %bb.72:                               ;   in Loop: Header=BB31_11 Depth=1
	ds_read_b64 v[6:7], v9
	s_mov_b64 s[30:31], -1
	s_waitcnt lgkmcnt(0)
	v_cmp_lt_f32_e32 vcc, v6, v7
	v_cndmask_b32_e32 v5, v6, v7, vcc
	v_div_scale_f32 v6, s[24:25], v5, v5, v2
	v_rcp_f32_e32 v7, v6
	v_div_scale_f32 v20, vcc, v2, v5, v2
	v_fma_f32 v21, -v6, v7, 1.0
	v_fmac_f32_e32 v7, v21, v7
	v_mul_f32_e32 v21, v20, v7
	v_fma_f32 v22, -v6, v21, v20
	v_fmac_f32_e32 v21, v22, v7
	v_fma_f32 v6, -v6, v21, v20
	v_div_fmas_f32 v6, v6, v7, v21
	v_div_fixup_f32 v5, v6, v5, v2
	v_cmp_ge_f32_e32 vcc, s59, v5
	s_cbranch_vccnz .LBB31_75
; %bb.73:                               ;   in Loop: Header=BB31_11 Depth=1
	v_cndmask_b32_e64 v3, v4, v3, s[4:5]
	v_cmp_lt_f32_e32 vcc, 0, v3
	s_mov_b64 s[30:31], 0
	s_cbranch_vccz .LBB31_75
; %bb.74:                               ;   in Loop: Header=BB31_11 Depth=1
	v_mul_f32_e32 v2, v2, v2
	v_div_scale_f32 v4, s[4:5], v3, v3, v2
	v_rcp_f32_e32 v5, v4
	v_div_scale_f32 v6, vcc, v2, v3, v2
	v_fma_f32 v7, -v4, v5, 1.0
	v_fmac_f32_e32 v5, v7, v5
	v_mul_f32_e32 v7, v6, v5
	v_fma_f32 v20, -v4, v7, v6
	v_fmac_f32_e32 v7, v20, v5
	v_fma_f32 v4, -v4, v7, v6
	v_div_fmas_f32 v4, v4, v5, v7
	v_div_fixup_f32 v2, v4, v3, v2
	v_div_scale_f32 v4, s[4:5], v3, v3, v2
	v_rcp_f32_e32 v5, v4
	v_fma_f32 v6, -v4, v5, 1.0
	v_fmac_f32_e32 v5, v6, v5
	v_div_scale_f32 v6, vcc, v2, v3, v2
	v_mul_f32_e32 v7, v6, v5
	v_fma_f32 v20, -v4, v7, v6
	v_fmac_f32_e32 v7, v20, v5
	v_fma_f32 v4, -v4, v7, v6
	v_div_fmas_f32 v4, v4, v5, v7
	v_div_fixup_f32 v2, v4, v3, v2
	v_cmp_gt_f32_e64 s[30:31], s57, v2
.LBB31_75:                              ;   in Loop: Header=BB31_11 Depth=1
	s_and_b64 vcc, exec, s[30:31]
	s_cbranch_vccz .LBB31_77
; %bb.76:                               ;   in Loop: Header=BB31_11 Depth=1
	ds_write_b32 v9, v9 offset:1032
.LBB31_77:                              ;   in Loop: Header=BB31_11 Depth=1
	ds_write_b8 v9, v19 offset:1036
.LBB31_78:                              ;   in Loop: Header=BB31_11 Depth=1
	s_or_b64 exec, exec, s[66:67]
	s_waitcnt lgkmcnt(0)
	s_barrier
	ds_read_u8 v2, v9 offset:1036
	s_mov_b64 s[4:5], -1
	s_waitcnt lgkmcnt(0)
	v_cmp_eq_u32_e32 vcc, 0, v2
	s_cbranch_vccz .LBB31_82
; %bb.79:                               ;   in Loop: Header=BB31_11 Depth=1
	s_and_saveexec_b64 s[4:5], s[16:17]
	s_cbranch_execz .LBB31_81
; %bb.80:                               ;   in Loop: Header=BB31_11 Depth=1
	global_store_dword v9, v9, s[12:13]
.LBB31_81:                              ;   in Loop: Header=BB31_11 Depth=1
	s_or_b64 exec, exec, s[4:5]
	s_mov_b64 s[4:5], 0
.LBB31_82:                              ;   in Loop: Header=BB31_11 Depth=1
	s_andn2_b64 vcc, exec, s[4:5]
	s_cbranch_vccnz .LBB31_10
; %bb.83:                               ;   in Loop: Header=BB31_11 Depth=1
	ds_read_b32 v2, v9 offset:1028
	s_waitcnt lgkmcnt(0)
	v_readfirstlane_b32 s66, v2
	s_and_saveexec_b64 s[4:5], s[16:17]
	s_cbranch_execz .LBB31_85
; %bb.84:                               ;   in Loop: Header=BB31_11 Depth=1
	s_cmp_eq_u32 s66, 0
	s_cselect_b32 s24, -1, 1
	v_mov_b32_e32 v2, s24
	global_store_dword v9, v2, s[12:13]
.LBB31_85:                              ;   in Loop: Header=BB31_11 Depth=1
	s_or_b64 exec, exec, s[4:5]
	s_add_i32 s78, s28, 1
	s_mul_i32 s68, s62, s55
	s_sub_i32 s76, 1, s66
	s_ashr_i32 s69, s68, 31
	s_sub_i32 s70, s66, s76
	s_lshl_b32 s12, s78, 1
	s_and_b64 s[4:5], s[26:27], exec
	s_cselect_b32 s29, s12, 0
	s_and_saveexec_b64 s[72:73], s[16:17]
	s_cbranch_execz .LBB31_158
; %bb.86:                               ;   in Loop: Header=BB31_11 Depth=1
	s_cmp_lg_u32 s66, 0
	s_cselect_b64 s[74:75], -1, 0
	s_and_b64 s[4:5], s[74:75], exec
	s_cselect_b32 s84, 0, s28
	s_ashr_i32 s85, s84, 31
	s_lshl_b64 s[4:5], s[84:85], 2
	s_add_u32 s14, s14, s4
	s_addc_u32 s15, s15, s5
	global_load_dword v2, v9, s[14:15]
	v_mov_b32_e32 v3, 0
	s_waitcnt vmcnt(0)
	v_cmp_eq_f32_e32 vcc, 0, v2
	s_cbranch_vccnz .LBB31_88
; %bb.87:                               ;   in Loop: Header=BB31_11 Depth=1
	ds_read_b32 v3, v9 offset:1032
	v_cmp_lt_f32_e32 vcc, 0, v2
	v_cndmask_b32_e64 v4, 0, 1, vcc
	v_cmp_gt_f32_e32 vcc, 0, v2
	v_subbrev_co_u32_e32 v4, vcc, 0, v4, vcc
	s_waitcnt lgkmcnt(0)
	v_div_scale_f32 v5, s[4:5], v2, v2, v3
	v_rcp_f32_e32 v6, v5
	v_cvt_f32_i32_e32 v4, v4
	v_sub_f32_e64 v7, |v2|, v3
	v_fma_f32 v20, -v5, v6, 1.0
	v_fmac_f32_e32 v6, v20, v6
	v_div_scale_f32 v20, vcc, v3, v2, v3
	v_mul_f32_e32 v21, v20, v6
	v_fma_f32 v22, -v5, v21, v20
	v_fmac_f32_e32 v21, v22, v6
	v_fma_f32 v5, -v5, v21, v20
	v_div_fmas_f32 v5, v5, v6, v21
	v_div_fixup_f32 v3, v5, v2, v3
	v_add_f32_e32 v3, v3, v4
	v_mul_f32_e32 v3, v7, v3
.LBB31_88:                              ;   in Loop: Header=BB31_11 Depth=1
	s_cmp_gt_i32 s28, 0
	s_cbranch_scc1 .LBB31_90
; %bb.89:                               ;   in Loop: Header=BB31_11 Depth=1
	s_add_i32 s61, s28, -1
	s_cbranch_execz .LBB31_91
	s_branch .LBB31_157
.LBB31_90:                              ;   in Loop: Header=BB31_11 Depth=1
                                        ; implicit-def: $sgpr61
.LBB31_91:                              ;   in Loop: Header=BB31_11 Depth=1
	s_ashr_i32 s67, s66, 31
	s_sub_u32 s12, 0, s66
	s_subb_u32 s13, 0, s67
	s_add_u32 s80, s84, s66
	v_writelane_b32 v31, s82, 18
	s_addc_u32 s81, s85, s67
	v_writelane_b32 v31, s83, 19
	s_lshl_b64 s[82:83], s[80:81], 2
	s_add_u32 s86, s11, s82
	s_addc_u32 s87, s9, s83
	global_load_dword v4, v9, s[86:87] offset:-4
	v_writelane_b32 v31, s88, 20
	v_writelane_b32 v31, s89, 21
	v_mov_b32_e32 v5, 0
	v_writelane_b32 v31, s90, 22
	v_writelane_b32 v31, s91, 23
	s_waitcnt vmcnt(0)
	v_cmp_eq_f32_e32 vcc, 0, v4
	s_cbranch_vccnz .LBB31_95
; %bb.92:                               ;   in Loop: Header=BB31_11 Depth=1
	v_cmp_eq_f32_e32 vcc, 0, v3
	v_mov_b32_e32 v6, 0
	s_cbranch_vccnz .LBB31_96
; %bb.93:                               ;   in Loop: Header=BB31_11 Depth=1
	v_cmp_gt_f32_e64 s[4:5], |v4|, |v3|
	s_and_b64 vcc, exec, s[4:5]
	s_cbranch_vccnz .LBB31_97
; %bb.94:                               ;   in Loop: Header=BB31_11 Depth=1
	v_div_scale_f32 v5, s[4:5], v3, v3, -v4
	v_rcp_f32_e32 v6, v5
	v_div_scale_f32 v7, vcc, -v4, v3, -v4
	v_fma_f32 v20, -v5, v6, 1.0
	v_fmac_f32_e32 v6, v20, v6
	v_mul_f32_e32 v20, v7, v6
	v_fma_f32 v21, -v5, v20, v7
	v_fmac_f32_e32 v20, v21, v6
	v_fma_f32 v5, -v5, v20, v7
	v_div_fmas_f32 v5, v5, v6, v20
	v_div_fixup_f32 v5, v5, v3, -v4
	v_fma_f32 v6, v5, v5, 1.0
	v_mul_f32_e32 v7, 0x4f800000, v6
	v_cmp_gt_f32_e32 vcc, s10, v6
	v_cndmask_b32_e32 v6, v6, v7, vcc
	v_sqrt_f32_e32 v7, v6
	v_add_u32_e32 v20, -1, v7
	v_fma_f32 v21, -v20, v7, v6
	v_cmp_ge_f32_e64 s[4:5], 0, v21
	v_add_u32_e32 v21, 1, v7
	v_cndmask_b32_e64 v20, v7, v20, s[4:5]
	v_fma_f32 v7, -v21, v7, v6
	v_cmp_lt_f32_e64 s[4:5], 0, v7
	v_cndmask_b32_e64 v7, v20, v21, s[4:5]
	v_mul_f32_e32 v20, 0x37800000, v7
	v_cndmask_b32_e32 v7, v7, v20, vcc
	v_cmp_class_f32_e32 vcc, v6, v18
	v_cndmask_b32_e32 v6, v7, v6, vcc
	v_div_scale_f32 v7, s[4:5], v6, v6, 1.0
	v_rcp_f32_e32 v20, v7
	s_mov_b64 s[4:5], 0
	v_fma_f32 v21, -v7, v20, 1.0
	v_fmac_f32_e32 v20, v21, v20
	v_div_scale_f32 v21, vcc, 1.0, v6, 1.0
	v_mul_f32_e32 v22, v21, v20
	v_fma_f32 v23, -v7, v22, v21
	v_fmac_f32_e32 v22, v23, v20
	v_fma_f32 v7, -v7, v22, v21
	v_div_fmas_f32 v7, v7, v20, v22
	v_div_fixup_f32 v6, v7, v6, 1.0
	v_mul_f32_e32 v5, v5, v6
	s_branch .LBB31_98
.LBB31_95:                              ;   in Loop: Header=BB31_11 Depth=1
	v_mov_b32_e32 v6, 1.0
	s_branch .LBB31_100
.LBB31_96:                              ;   in Loop: Header=BB31_11 Depth=1
	v_mov_b32_e32 v5, 1.0
	s_branch .LBB31_100
.LBB31_97:                              ;   in Loop: Header=BB31_11 Depth=1
	s_mov_b64 s[4:5], -1
                                        ; implicit-def: $vgpr5
                                        ; implicit-def: $vgpr6
.LBB31_98:                              ;   in Loop: Header=BB31_11 Depth=1
	s_andn2_b64 vcc, exec, s[4:5]
	s_cbranch_vccnz .LBB31_100
; %bb.99:                               ;   in Loop: Header=BB31_11 Depth=1
	v_div_scale_f32 v5, s[4:5], v4, v4, -v3
	v_rcp_f32_e32 v6, v5
	v_div_scale_f32 v7, vcc, -v3, v4, -v3
	v_fma_f32 v20, -v5, v6, 1.0
	v_fmac_f32_e32 v6, v20, v6
	v_mul_f32_e32 v20, v7, v6
	v_fma_f32 v21, -v5, v20, v7
	v_fmac_f32_e32 v20, v21, v6
	v_fma_f32 v5, -v5, v20, v7
	v_div_fmas_f32 v5, v5, v6, v20
	v_div_fixup_f32 v3, v5, v4, -v3
	v_fma_f32 v5, v3, v3, 1.0
	v_mul_f32_e32 v6, 0x4f800000, v5
	v_cmp_gt_f32_e32 vcc, s10, v5
	v_cndmask_b32_e32 v5, v5, v6, vcc
	v_sqrt_f32_e32 v6, v5
	v_add_u32_e32 v7, -1, v6
	v_fma_f32 v20, -v7, v6, v5
	v_cmp_ge_f32_e64 s[4:5], 0, v20
	v_add_u32_e32 v20, 1, v6
	v_cndmask_b32_e64 v7, v6, v7, s[4:5]
	v_fma_f32 v6, -v20, v6, v5
	v_cmp_lt_f32_e64 s[4:5], 0, v6
	v_cndmask_b32_e64 v6, v7, v20, s[4:5]
	v_mul_f32_e32 v7, 0x37800000, v6
	v_cndmask_b32_e32 v6, v6, v7, vcc
	v_cmp_class_f32_e32 vcc, v5, v18
	v_cndmask_b32_e32 v5, v6, v5, vcc
	v_div_scale_f32 v6, s[4:5], v5, v5, 1.0
	v_rcp_f32_e32 v7, v6
	v_fma_f32 v20, -v6, v7, 1.0
	v_fmac_f32_e32 v7, v20, v7
	v_div_scale_f32 v20, vcc, 1.0, v5, 1.0
	v_mul_f32_e32 v21, v20, v7
	v_fma_f32 v22, -v6, v21, v20
	v_fmac_f32_e32 v21, v22, v7
	v_fma_f32 v6, -v6, v21, v20
	v_div_fmas_f32 v6, v6, v7, v21
	v_div_fixup_f32 v5, v6, v5, 1.0
	v_mul_f32_e32 v6, v3, v5
.LBB31_100:                             ;   in Loop: Header=BB31_11 Depth=1
	s_lshl_b64 s[88:89], s[68:69], 2
	s_and_b64 s[4:5], s[26:27], s[74:75]
	s_add_u32 s24, s46, s88
	s_addc_u32 s25, s47, s89
	s_add_u32 s24, s24, 16
	s_addc_u32 s25, s25, 0
	s_sub_u32 s90, s66, s12
	s_subb_u32 s91, s67, s13
	v_mul_f32_e32 v3, v2, v5
	s_lshl_b64 s[12:13], s[90:91], 2
	v_fmac_f32_e32 v3, v4, v6
	s_add_u32 s94, s14, s12
	global_store_dword v9, v3, s[86:87] offset:-4
	s_addc_u32 s95, s15, s13
	global_load_dword v7, v9, s[94:95] offset:-4
	v_cndmask_b32_e64 v3, 0, 1, s[4:5]
	v_writelane_b32 v31, s92, 24
	v_cmp_ne_u32_e64 s[12:13], 1, v3
	s_andn2_b64 vcc, exec, s[4:5]
	v_writelane_b32 v31, s93, 25
	s_waitcnt vmcnt(0)
	v_mul_f32_e32 v3, v6, v7
	global_store_dword v9, v3, s[94:95] offset:-4
	s_cbranch_vccnz .LBB31_102
; %bb.101:                              ;   in Loop: Header=BB31_11 Depth=1
	s_add_u32 s4, s24, s82
	s_addc_u32 s5, s25, s83
	s_ashr_i32 s79, s78, 31
	s_lshl_b64 s[30:31], s[78:79], 2
	s_add_u32 s30, s4, s30
	s_addc_u32 s31, s5, s31
	global_store_dword v9, v6, s[4:5] offset:-4
	global_store_dword v9, v5, s[30:31] offset:-4
.LBB31_102:                             ;   in Loop: Header=BB31_11 Depth=1
	s_cmp_lg_u32 s66, 1
	s_cselect_b64 s[30:31], -1, 0
	s_cmp_eq_u32 s66, 1
	v_readlane_b32 s48, v31, 2
	s_cselect_b64 s[4:5], -1, 0
	v_readlane_b32 s49, v31, 3
	s_or_b64 s[92:93], s[48:49], s[4:5]
	s_and_b64 vcc, exec, s[92:93]
	s_cbranch_vccnz .LBB31_104
; %bb.103:                              ;   in Loop: Header=BB31_11 Depth=1
	s_ashr_i32 s5, s29, 31
	s_add_u32 s4, s80, s29
	s_addc_u32 s5, s81, s5
	s_lshl_b64 s[4:5], s[4:5], 2
	s_add_u32 s4, s24, s4
	s_addc_u32 s5, s25, s5
	s_ashr_i32 s79, s78, 31
	s_lshl_b64 s[48:49], s[78:79], 2
	s_add_u32 s48, s4, s48
	s_addc_u32 s49, s5, s49
	global_store_dword v9, v6, s[4:5] offset:-4
	global_store_dword v9, v5, s[48:49] offset:-4
.LBB31_104:                             ;   in Loop: Header=BB31_11 Depth=1
	v_mul_f32_e32 v3, v4, v5
	v_fma_f32 v3, v2, v6, -v3
	v_mul_f32_e64 v2, v7, -v5
	v_cmp_eq_f32_e32 vcc, 0, v2
	v_mov_b32_e32 v4, 0
	s_cbranch_vccnz .LBB31_108
; %bb.105:                              ;   in Loop: Header=BB31_11 Depth=1
	v_cmp_eq_f32_e32 vcc, 0, v3
	s_cbranch_vccnz .LBB31_109
; %bb.106:                              ;   in Loop: Header=BB31_11 Depth=1
	v_cmp_gt_f32_e64 s[4:5], |v2|, |v3|
	s_and_b64 vcc, exec, s[4:5]
	s_cbranch_vccnz .LBB31_110
; %bb.107:                              ;   in Loop: Header=BB31_11 Depth=1
	v_div_scale_f32 v4, s[4:5], v3, v3, -v2
	v_rcp_f32_e32 v5, v4
	v_div_scale_f32 v6, vcc, -v2, v3, -v2
	v_fma_f32 v7, -v4, v5, 1.0
	v_fmac_f32_e32 v5, v7, v5
	v_mul_f32_e32 v7, v6, v5
	v_fma_f32 v20, -v4, v7, v6
	v_fmac_f32_e32 v7, v20, v5
	v_fma_f32 v4, -v4, v7, v6
	v_div_fmas_f32 v4, v4, v5, v7
	v_div_fixup_f32 v4, v4, v3, -v2
	v_fma_f32 v5, v4, v4, 1.0
	v_mul_f32_e32 v6, 0x4f800000, v5
	v_cmp_gt_f32_e32 vcc, s10, v5
	v_cndmask_b32_e32 v5, v5, v6, vcc
	v_sqrt_f32_e32 v6, v5
	v_add_u32_e32 v7, -1, v6
	v_fma_f32 v21, -v7, v6, v5
	v_add_u32_e32 v20, 1, v6
	v_cmp_ge_f32_e64 s[4:5], 0, v21
	v_cndmask_b32_e64 v7, v6, v7, s[4:5]
	v_fma_f32 v6, -v20, v6, v5
	v_cmp_lt_f32_e64 s[4:5], 0, v6
	v_cndmask_b32_e64 v6, v7, v20, s[4:5]
	v_mul_f32_e32 v7, 0x37800000, v6
	v_cndmask_b32_e32 v6, v6, v7, vcc
	v_cmp_class_f32_e32 vcc, v5, v18
	v_cndmask_b32_e32 v5, v6, v5, vcc
	v_div_scale_f32 v6, s[4:5], v5, v5, 1.0
	v_rcp_f32_e32 v7, v6
	s_mov_b64 s[4:5], 0
	v_fma_f32 v20, -v6, v7, 1.0
	v_fmac_f32_e32 v7, v20, v7
	v_div_scale_f32 v20, vcc, 1.0, v5, 1.0
	v_mul_f32_e32 v21, v20, v7
	v_fma_f32 v22, -v6, v21, v20
	v_fmac_f32_e32 v21, v22, v7
	v_fma_f32 v6, -v6, v21, v20
	v_div_fmas_f32 v6, v6, v7, v21
	v_div_fixup_f32 v5, v6, v5, 1.0
	v_mul_f32_e32 v4, v4, v5
	s_branch .LBB31_111
.LBB31_108:                             ;   in Loop: Header=BB31_11 Depth=1
	v_mov_b32_e32 v5, 1.0
	s_branch .LBB31_115
.LBB31_109:                             ;   in Loop: Header=BB31_11 Depth=1
                                        ; implicit-def: $vgpr3
                                        ; implicit-def: $vgpr4
                                        ; implicit-def: $vgpr5
	s_cbranch_execnz .LBB31_114
	s_branch .LBB31_115
.LBB31_110:                             ;   in Loop: Header=BB31_11 Depth=1
	s_mov_b64 s[4:5], -1
                                        ; implicit-def: $vgpr4
                                        ; implicit-def: $vgpr5
.LBB31_111:                             ;   in Loop: Header=BB31_11 Depth=1
	s_andn2_b64 vcc, exec, s[4:5]
	s_cbranch_vccnz .LBB31_113
; %bb.112:                              ;   in Loop: Header=BB31_11 Depth=1
	v_div_scale_f32 v4, s[4:5], v2, v2, -v3
	v_rcp_f32_e32 v5, v4
	v_div_scale_f32 v6, vcc, -v3, v2, -v3
	v_fma_f32 v7, -v4, v5, 1.0
	v_fmac_f32_e32 v5, v7, v5
	v_mul_f32_e32 v7, v6, v5
	v_fma_f32 v20, -v4, v7, v6
	v_fmac_f32_e32 v7, v20, v5
	v_fma_f32 v4, -v4, v7, v6
	v_div_fmas_f32 v4, v4, v5, v7
	v_div_fixup_f32 v5, v4, v2, -v3
	v_fma_f32 v4, v5, v5, 1.0
	v_mul_f32_e32 v6, 0x4f800000, v4
	v_cmp_gt_f32_e32 vcc, s10, v4
	v_cndmask_b32_e32 v4, v4, v6, vcc
	v_sqrt_f32_e32 v6, v4
	v_add_u32_e32 v7, -1, v6
	v_fma_f32 v21, -v7, v6, v4
	v_add_u32_e32 v20, 1, v6
	v_cmp_ge_f32_e64 s[4:5], 0, v21
	v_cndmask_b32_e64 v7, v6, v7, s[4:5]
	v_fma_f32 v6, -v20, v6, v4
	v_cmp_lt_f32_e64 s[4:5], 0, v6
	v_cndmask_b32_e64 v6, v7, v20, s[4:5]
	v_mul_f32_e32 v7, 0x37800000, v6
	v_cndmask_b32_e32 v6, v6, v7, vcc
	v_cmp_class_f32_e32 vcc, v4, v18
	v_cndmask_b32_e32 v4, v6, v4, vcc
	v_div_scale_f32 v6, s[4:5], v4, v4, 1.0
	v_rcp_f32_e32 v7, v6
	v_fma_f32 v20, -v6, v7, 1.0
	v_fmac_f32_e32 v7, v20, v7
	v_div_scale_f32 v20, vcc, 1.0, v4, 1.0
	v_mul_f32_e32 v21, v20, v7
	v_fma_f32 v22, -v6, v21, v20
	v_fmac_f32_e32 v21, v22, v7
	v_fma_f32 v6, -v6, v21, v20
	v_div_fmas_f32 v6, v6, v7, v21
	v_div_fixup_f32 v4, v6, v4, 1.0
	v_mul_f32_e32 v5, v5, v4
.LBB31_113:                             ;   in Loop: Header=BB31_11 Depth=1
	v_mul_f32_e32 v6, v2, v4
	v_fma_f32 v3, v3, v5, -v6
	s_branch .LBB31_115
.LBB31_114:                             ;   in Loop: Header=BB31_11 Depth=1
	v_xor_b32_e32 v3, 0x80000000, v2
	v_mov_b32_e32 v5, 0
	v_mov_b32_e32 v4, 1.0
.LBB31_115:                             ;   in Loop: Header=BB31_11 Depth=1
	global_store_dword v9, v3, s[14:15]
	global_load_dword v6, v9, s[94:95] offset:-4
	s_nop 0
	global_load_dword v3, v9, s[86:87] offset:-4
	s_cmp_eq_u32 s78, 2
	s_waitcnt vmcnt(1)
	v_mul_f32_e32 v7, v5, v6
	s_waitcnt vmcnt(0)
	v_fmac_f32_e32 v7, v4, v3
	global_store_dword v9, v7, s[94:95] offset:-4
	s_cbranch_scc1 .LBB31_117
; %bb.116:                              ;   in Loop: Header=BB31_11 Depth=1
	s_ashr_i32 s71, s70, 31
	s_lshl_b64 s[4:5], s[70:71], 2
	s_add_u32 s4, s86, s4
	s_addc_u32 s5, s87, s5
	global_load_dword v7, v9, s[4:5] offset:-4
	s_waitcnt vmcnt(0)
	v_mul_f32_e64 v2, v7, -v4
	v_mul_f32_e32 v7, v5, v7
	global_store_dword v9, v7, s[4:5] offset:-4
.LBB31_117:                             ;   in Loop: Header=BB31_11 Depth=1
	s_and_b64 s[4:5], s[26:27], s[30:31]
	v_cndmask_b32_e64 v7, 0, 1, s[4:5]
	v_cmp_ne_u32_e64 s[14:15], 1, v7
	s_andn2_b64 vcc, exec, s[4:5]
	s_cbranch_vccnz .LBB31_119
; %bb.118:                              ;   in Loop: Header=BB31_11 Depth=1
	s_add_u32 s4, s24, s82
	s_addc_u32 s5, s25, s83
	s_ashr_i32 s79, s78, 31
	s_lshl_b64 s[30:31], s[78:79], 2
	s_add_u32 s30, s4, s30
	s_addc_u32 s31, s5, s31
	global_store_dword v9, v5, s[4:5] offset:-4
	global_store_dword v9, v4, s[30:31] offset:-4
.LBB31_119:                             ;   in Loop: Header=BB31_11 Depth=1
	v_readlane_b32 s30, v31, 2
	s_xor_b64 s[4:5], s[74:75], -1
	v_readlane_b32 s31, v31, 3
	s_or_b64 s[4:5], s[30:31], s[4:5]
	s_and_b64 vcc, exec, s[4:5]
	s_cbranch_vccnz .LBB31_121
; %bb.120:                              ;   in Loop: Header=BB31_11 Depth=1
	s_ashr_i32 s31, s29, 31
	s_add_u32 s30, s80, s29
	s_addc_u32 s31, s81, s31
	s_lshl_b64 s[30:31], s[30:31], 2
	s_add_u32 s24, s24, s30
	s_addc_u32 s25, s25, s31
	s_ashr_i32 s79, s78, 31
	s_lshl_b64 s[30:31], s[78:79], 2
	s_add_u32 s30, s24, s30
	s_addc_u32 s31, s25, s31
	global_store_dword v9, v5, s[24:25] offset:-4
	global_store_dword v9, v4, s[30:31] offset:-4
.LBB31_121:                             ;   in Loop: Header=BB31_11 Depth=1
	v_mul_f32_e32 v4, v4, v6
	v_fma_f32 v3, v5, v3, -v4
	s_cmp_eq_u32 s28, 1
	s_mov_b32 s61, 0
	s_cbranch_scc1 .LBB31_154
; %bb.122:                              ;   in Loop: Header=BB31_11 Depth=1
	s_xor_b64 s[80:81], s[92:93], -1
	s_xor_b64 s[82:83], s[4:5], -1
	s_add_i32 s4, s84, s70
	s_add_i32 s61, s28, -1
	s_sub_i32 s24, s84, s76
	s_ashr_i32 s5, s29, 31
	s_ashr_i32 s79, s78, 31
	s_add_u32 s30, s90, s29
	s_addc_u32 s5, s91, s5
	s_ashr_i32 s25, s24, 31
	s_add_u32 s30, s30, s24
	s_addc_u32 s31, s5, s25
	s_lshl_b64 s[30:31], s[30:31], 2
	s_add_u32 s5, s30, s88
	s_addc_u32 s52, s31, s89
	s_lshl_b64 s[30:31], s[78:79], 2
	v_writelane_b32 v31, s55, 26
	s_add_u32 s48, s5, s30
	s_addc_u32 s49, s52, s31
	v_readlane_b32 s55, v31, 8
	s_add_u32 s71, s55, s48
	v_readlane_b32 s77, v31, 9
	s_addc_u32 s90, s77, s49
	s_lshl_b32 s48, s66, 1
	s_add_i32 s48, s48, -2
	s_ashr_i32 s49, s48, 31
	s_lshl_b64 s[78:79], s[48:49], 2
	s_or_b32 s78, s78, 4
	s_add_u32 s92, s55, s5
	s_addc_u32 s93, s77, s52
	s_lshl_b64 s[48:49], s[66:67], 3
	s_add_u32 s5, s48, s88
	s_addc_u32 s54, s49, s89
	s_lshl_b64 s[52:53], s[24:25], 2
	s_add_u32 s5, s5, s52
	s_addc_u32 s54, s54, s53
	s_add_u32 s30, s5, s30
	s_addc_u32 s31, s54, s31
	;; [unrolled: 2-line block ×4, first 2 shown]
	v_readlane_b32 s54, v31, 0
	v_readlane_b32 s55, v31, 1
	s_add_u32 s31, s54, s62
	s_addc_u32 s54, s55, s63
	s_add_u32 s24, s31, s24
	s_addc_u32 s25, s54, s25
	s_mul_i32 s30, s66, 12
	s_lshl_b64 s[24:25], s[24:25], 2
	s_mul_hi_i32 s5, s66, 12
	s_add_u32 s30, s30, s24
	s_addc_u32 s5, s5, s25
	s_ashr_i32 s77, s76, 31
	s_lshl_b64 s[24:25], s[76:77], 2
	s_sub_u32 s24, s30, s24
	s_subb_u32 s5, s5, s25
	v_readlane_b32 s25, v31, 10
	s_add_u32 s63, s25, s24
	v_readlane_b32 s24, v31, 12
	s_addc_u32 s95, s24, s5
	s_add_u32 s30, s48, s64
	s_addc_u32 s31, s49, s65
	s_add_u32 s5, s30, s52
	s_addc_u32 s25, s31, s53
	v_readlane_b32 s24, v31, 11
	s_add_u32 s24, s24, s5
	v_readlane_b32 s5, v31, 13
	s_addc_u32 s25, s5, s25
	s_add_u32 s5, s64, s52
	s_addc_u32 s49, s65, s53
	s_add_u32 s48, s38, s5
	s_addc_u32 s49, s40, s49
	s_ashr_i32 s5, s4, 31
	s_lshl_b64 s[4:5], s[4:5], 2
	s_add_u32 s30, s30, s4
	s_addc_u32 s31, s31, s5
	v_readlane_b32 s52, v31, 14
	s_add_u32 s52, s52, s30
	v_readlane_b32 s30, v31, 15
	s_addc_u32 s53, s30, s31
	s_add_u32 s4, s64, s4
	s_addc_u32 s5, s65, s5
	s_add_u32 s54, s22, s4
	s_mov_b32 s91, 1
	s_addc_u32 s55, s33, s5
	s_mov_b64 s[76:77], 0
	s_branch .LBB31_124
.LBB31_123:                             ;   in Loop: Header=BB31_124 Depth=2
	s_add_i32 s91, s91, 1
	s_add_u32 s76, s76, s78
	v_mul_f32_e32 v5, v5, v6
	s_addc_u32 s77, s77, s79
	s_cmp_eq_u32 s28, s91
	v_fma_f32 v3, v4, v3, -v5
	s_cbranch_scc1 .LBB31_155
.LBB31_124:                             ;   Parent Loop BB31_11 Depth=1
                                        ; =>  This Inner Loop Header: Depth=2
	v_cmp_eq_f32_e32 vcc, 0, v2
	v_mov_b32_e32 v4, 0
	s_cbranch_vccnz .LBB31_128
; %bb.125:                              ;   in Loop: Header=BB31_124 Depth=2
	v_cmp_neq_f32_e32 vcc, 0, v3
	s_cbranch_vccz .LBB31_129
; %bb.126:                              ;   in Loop: Header=BB31_124 Depth=2
	v_cmp_ngt_f32_e64 s[4:5], |v2|, |v3|
	s_and_b64 vcc, exec, s[4:5]
	s_cbranch_vccz .LBB31_130
; %bb.127:                              ;   in Loop: Header=BB31_124 Depth=2
	v_div_scale_f32 v4, s[4:5], v3, v3, -v2
	v_rcp_f32_e32 v5, v4
	v_div_scale_f32 v6, vcc, -v2, v3, -v2
	v_fma_f32 v7, -v4, v5, 1.0
	v_fmac_f32_e32 v5, v7, v5
	v_mul_f32_e32 v7, v6, v5
	v_fma_f32 v20, -v4, v7, v6
	v_fmac_f32_e32 v7, v20, v5
	v_fma_f32 v4, -v4, v7, v6
	v_div_fmas_f32 v4, v4, v5, v7
	v_div_fixup_f32 v4, v4, v3, -v2
	v_fma_f32 v5, v4, v4, 1.0
	v_mul_f32_e32 v6, 0x4f800000, v5
	v_cmp_gt_f32_e32 vcc, s10, v5
	v_cndmask_b32_e32 v5, v5, v6, vcc
	v_sqrt_f32_e32 v6, v5
	v_add_u32_e32 v7, -1, v6
	v_fma_f32 v21, -v7, v6, v5
	v_add_u32_e32 v20, 1, v6
	v_cmp_ge_f32_e64 s[4:5], 0, v21
	v_cndmask_b32_e64 v7, v6, v7, s[4:5]
	v_fma_f32 v6, -v20, v6, v5
	v_cmp_lt_f32_e64 s[4:5], 0, v6
	v_cndmask_b32_e64 v6, v7, v20, s[4:5]
	v_mul_f32_e32 v7, 0x37800000, v6
	v_cndmask_b32_e32 v6, v6, v7, vcc
	v_cmp_class_f32_e32 vcc, v5, v18
	v_cndmask_b32_e32 v5, v6, v5, vcc
	v_div_scale_f32 v6, s[4:5], v5, v5, 1.0
	v_rcp_f32_e32 v7, v6
	v_fma_f32 v20, -v6, v7, 1.0
	v_fmac_f32_e32 v7, v20, v7
	v_div_scale_f32 v20, vcc, 1.0, v5, 1.0
	v_mul_f32_e32 v21, v20, v7
	v_fma_f32 v22, -v6, v21, v20
	v_fmac_f32_e32 v21, v22, v7
	v_fma_f32 v6, -v6, v21, v20
	v_div_fmas_f32 v6, v6, v7, v21
	v_div_fixup_f32 v5, v6, v5, 1.0
	v_mul_f32_e32 v4, v4, v5
	s_cbranch_execz .LBB31_131
	s_branch .LBB31_132
.LBB31_128:                             ;   in Loop: Header=BB31_124 Depth=2
	v_mov_b32_e32 v5, 1.0
	s_branch .LBB31_134
.LBB31_129:                             ;   in Loop: Header=BB31_124 Depth=2
                                        ; implicit-def: $vgpr3
                                        ; implicit-def: $vgpr4
                                        ; implicit-def: $vgpr5
	s_cbranch_execnz .LBB31_133
	s_branch .LBB31_134
.LBB31_130:                             ;   in Loop: Header=BB31_124 Depth=2
                                        ; implicit-def: $vgpr4
                                        ; implicit-def: $vgpr5
.LBB31_131:                             ;   in Loop: Header=BB31_124 Depth=2
	v_div_scale_f32 v4, s[4:5], v2, v2, -v3
	v_rcp_f32_e32 v5, v4
	v_div_scale_f32 v6, vcc, -v3, v2, -v3
	v_fma_f32 v7, -v4, v5, 1.0
	v_fmac_f32_e32 v5, v7, v5
	v_mul_f32_e32 v7, v6, v5
	v_fma_f32 v20, -v4, v7, v6
	v_fmac_f32_e32 v7, v20, v5
	v_fma_f32 v4, -v4, v7, v6
	v_div_fmas_f32 v4, v4, v5, v7
	v_div_fixup_f32 v5, v4, v2, -v3
	v_fma_f32 v4, v5, v5, 1.0
	v_mul_f32_e32 v6, 0x4f800000, v4
	v_cmp_gt_f32_e32 vcc, s10, v4
	v_cndmask_b32_e32 v4, v4, v6, vcc
	v_sqrt_f32_e32 v6, v4
	v_add_u32_e32 v7, -1, v6
	v_fma_f32 v21, -v7, v6, v4
	v_add_u32_e32 v20, 1, v6
	v_cmp_ge_f32_e64 s[4:5], 0, v21
	v_cndmask_b32_e64 v7, v6, v7, s[4:5]
	v_fma_f32 v6, -v20, v6, v4
	v_cmp_lt_f32_e64 s[4:5], 0, v6
	v_cndmask_b32_e64 v6, v7, v20, s[4:5]
	v_mul_f32_e32 v7, 0x37800000, v6
	v_cndmask_b32_e32 v6, v6, v7, vcc
	v_cmp_class_f32_e32 vcc, v4, v18
	v_cndmask_b32_e32 v4, v6, v4, vcc
	v_div_scale_f32 v6, s[4:5], v4, v4, 1.0
	v_rcp_f32_e32 v7, v6
	v_fma_f32 v20, -v6, v7, 1.0
	v_fmac_f32_e32 v7, v20, v7
	v_div_scale_f32 v20, vcc, 1.0, v4, 1.0
	v_mul_f32_e32 v21, v20, v7
	v_fma_f32 v22, -v6, v21, v20
	v_fmac_f32_e32 v21, v22, v7
	v_fma_f32 v6, -v6, v21, v20
	v_div_fmas_f32 v6, v6, v7, v21
	v_div_fixup_f32 v4, v6, v4, 1.0
	v_mul_f32_e32 v5, v5, v4
.LBB31_132:                             ;   in Loop: Header=BB31_124 Depth=2
	v_mul_f32_e32 v6, v2, v4
	v_fma_f32 v3, v3, v5, -v6
	s_branch .LBB31_134
.LBB31_133:                             ;   in Loop: Header=BB31_124 Depth=2
	v_xor_b32_e32 v3, 0x80000000, v2
	v_mov_b32_e32 v5, 0
	v_mov_b32_e32 v4, 1.0
.LBB31_134:                             ;   in Loop: Header=BB31_124 Depth=2
	s_add_u32 s4, s48, s76
	s_addc_u32 s5, s49, s77
	s_add_u32 s84, s54, s76
	s_addc_u32 s85, s55, s77
	s_add_u32 s30, s24, s76
	global_store_dword v9, v3, s[4:5]
	s_addc_u32 s31, s25, s77
	global_load_dword v3, v9, s[30:31]
	global_load_dword v2, v9, s[84:85]
	s_add_u32 s86, s52, s76
	s_addc_u32 s87, s53, s77
	s_and_b64 vcc, exec, s[12:13]
	s_waitcnt vmcnt(1)
	v_mul_f32_e32 v6, v5, v3
	s_waitcnt vmcnt(0)
	v_fmac_f32_e32 v6, v4, v2
	global_store_dword v9, v6, s[30:31]
	global_load_dword v6, v9, s[86:87]
	s_waitcnt vmcnt(0)
	v_mul_f32_e32 v7, v5, v6
	global_store_dword v9, v7, s[86:87]
	s_cbranch_vccnz .LBB31_136
; %bb.135:                              ;   in Loop: Header=BB31_124 Depth=2
	s_add_u32 s4, s89, s76
	s_addc_u32 s5, s94, s77
	s_add_u32 vcc_lo, s67, s76
	s_addc_u32 vcc_hi, s88, s77
	global_store_dword v9, v5, s[4:5]
	global_store_dword v9, v4, vcc
.LBB31_136:                             ;   in Loop: Header=BB31_124 Depth=2
	s_andn2_b64 vcc, exec, s[80:81]
	s_cbranch_vccnz .LBB31_138
; %bb.137:                              ;   in Loop: Header=BB31_124 Depth=2
	s_add_u32 s4, s92, s76
	s_addc_u32 s5, s93, s77
	s_add_u32 vcc_lo, s71, s76
	s_addc_u32 vcc_hi, s90, s77
	global_store_dword v9, v5, s[4:5]
	global_store_dword v9, v4, vcc
.LBB31_138:                             ;   in Loop: Header=BB31_124 Depth=2
	v_mul_f32_e32 v3, v4, v3
	v_fma_f32 v3, v5, v2, -v3
	v_mul_f32_e64 v2, v6, -v4
	v_cmp_eq_f32_e32 vcc, 0, v2
	v_mov_b32_e32 v5, 0
	s_cbranch_vccnz .LBB31_142
; %bb.139:                              ;   in Loop: Header=BB31_124 Depth=2
	v_cmp_neq_f32_e32 vcc, 0, v3
	s_cbranch_vccz .LBB31_143
; %bb.140:                              ;   in Loop: Header=BB31_124 Depth=2
	v_cmp_ngt_f32_e64 s[4:5], |v2|, |v3|
	s_and_b64 vcc, exec, s[4:5]
	s_cbranch_vccz .LBB31_144
; %bb.141:                              ;   in Loop: Header=BB31_124 Depth=2
	v_div_scale_f32 v4, s[4:5], v3, v3, -v2
	v_rcp_f32_e32 v5, v4
	v_div_scale_f32 v6, vcc, -v2, v3, -v2
	v_fma_f32 v7, -v4, v5, 1.0
	v_fmac_f32_e32 v5, v7, v5
	v_mul_f32_e32 v7, v6, v5
	v_fma_f32 v20, -v4, v7, v6
	v_fmac_f32_e32 v7, v20, v5
	v_fma_f32 v4, -v4, v7, v6
	v_div_fmas_f32 v4, v4, v5, v7
	v_div_fixup_f32 v5, v4, v3, -v2
	v_fma_f32 v4, v5, v5, 1.0
	v_mul_f32_e32 v6, 0x4f800000, v4
	v_cmp_gt_f32_e32 vcc, s10, v4
	v_cndmask_b32_e32 v4, v4, v6, vcc
	v_sqrt_f32_e32 v6, v4
	v_add_u32_e32 v7, -1, v6
	v_fma_f32 v21, -v7, v6, v4
	v_add_u32_e32 v20, 1, v6
	v_cmp_ge_f32_e64 s[4:5], 0, v21
	v_cndmask_b32_e64 v7, v6, v7, s[4:5]
	v_fma_f32 v6, -v20, v6, v4
	v_cmp_lt_f32_e64 s[4:5], 0, v6
	v_cndmask_b32_e64 v6, v7, v20, s[4:5]
	v_mul_f32_e32 v7, 0x37800000, v6
	v_cndmask_b32_e32 v6, v6, v7, vcc
	v_cmp_class_f32_e32 vcc, v4, v18
	v_cndmask_b32_e32 v4, v6, v4, vcc
	v_div_scale_f32 v6, s[4:5], v4, v4, 1.0
	v_rcp_f32_e32 v7, v6
	v_fma_f32 v20, -v6, v7, 1.0
	v_fmac_f32_e32 v7, v20, v7
	v_div_scale_f32 v20, vcc, 1.0, v4, 1.0
	v_mul_f32_e32 v21, v20, v7
	v_fma_f32 v22, -v6, v21, v20
	v_fmac_f32_e32 v21, v22, v7
	v_fma_f32 v6, -v6, v21, v20
	v_div_fmas_f32 v6, v6, v7, v21
	v_div_fixup_f32 v4, v6, v4, 1.0
	v_mul_f32_e32 v5, v5, v4
	s_cbranch_execz .LBB31_145
	s_branch .LBB31_146
.LBB31_142:                             ;   in Loop: Header=BB31_124 Depth=2
	v_mov_b32_e32 v4, 1.0
	s_branch .LBB31_148
.LBB31_143:                             ;   in Loop: Header=BB31_124 Depth=2
                                        ; implicit-def: $vgpr3
                                        ; implicit-def: $vgpr5
                                        ; implicit-def: $vgpr4
	s_cbranch_execnz .LBB31_147
	s_branch .LBB31_148
.LBB31_144:                             ;   in Loop: Header=BB31_124 Depth=2
                                        ; implicit-def: $vgpr5
                                        ; implicit-def: $vgpr4
.LBB31_145:                             ;   in Loop: Header=BB31_124 Depth=2
	v_div_scale_f32 v4, s[4:5], v2, v2, -v3
	v_rcp_f32_e32 v5, v4
	v_div_scale_f32 v6, vcc, -v3, v2, -v3
	v_fma_f32 v7, -v4, v5, 1.0
	v_fmac_f32_e32 v5, v7, v5
	v_mul_f32_e32 v7, v6, v5
	v_fma_f32 v20, -v4, v7, v6
	v_fmac_f32_e32 v7, v20, v5
	v_fma_f32 v4, -v4, v7, v6
	v_div_fmas_f32 v4, v4, v5, v7
	v_div_fixup_f32 v4, v4, v2, -v3
	v_fma_f32 v5, v4, v4, 1.0
	v_mul_f32_e32 v6, 0x4f800000, v5
	v_cmp_gt_f32_e32 vcc, s10, v5
	v_cndmask_b32_e32 v5, v5, v6, vcc
	v_sqrt_f32_e32 v6, v5
	v_add_u32_e32 v7, -1, v6
	v_fma_f32 v21, -v7, v6, v5
	v_add_u32_e32 v20, 1, v6
	v_cmp_ge_f32_e64 s[4:5], 0, v21
	v_cndmask_b32_e64 v7, v6, v7, s[4:5]
	v_fma_f32 v6, -v20, v6, v5
	v_cmp_lt_f32_e64 s[4:5], 0, v6
	v_cndmask_b32_e64 v6, v7, v20, s[4:5]
	v_mul_f32_e32 v7, 0x37800000, v6
	v_cndmask_b32_e32 v6, v6, v7, vcc
	v_cmp_class_f32_e32 vcc, v5, v18
	v_cndmask_b32_e32 v5, v6, v5, vcc
	v_div_scale_f32 v6, s[4:5], v5, v5, 1.0
	v_rcp_f32_e32 v7, v6
	v_fma_f32 v20, -v6, v7, 1.0
	v_fmac_f32_e32 v7, v20, v7
	v_div_scale_f32 v20, vcc, 1.0, v5, 1.0
	v_mul_f32_e32 v21, v20, v7
	v_fma_f32 v22, -v6, v21, v20
	v_fmac_f32_e32 v21, v22, v7
	v_fma_f32 v6, -v6, v21, v20
	v_div_fmas_f32 v6, v6, v7, v21
	v_div_fixup_f32 v5, v6, v5, 1.0
	v_mul_f32_e32 v4, v4, v5
.LBB31_146:                             ;   in Loop: Header=BB31_124 Depth=2
	v_mul_f32_e32 v6, v2, v5
	v_fma_f32 v3, v3, v4, -v6
	s_branch .LBB31_148
.LBB31_147:                             ;   in Loop: Header=BB31_124 Depth=2
	v_xor_b32_e32 v3, 0x80000000, v2
	v_mov_b32_e32 v4, 0
	v_mov_b32_e32 v5, 1.0
.LBB31_148:                             ;   in Loop: Header=BB31_124 Depth=2
	global_store_dword v9, v3, s[84:85]
	global_load_dword v6, v9, s[86:87]
	s_nop 0
	global_load_dword v3, v9, s[30:31]
	s_cmp_ge_i32 s91, s61
	s_waitcnt vmcnt(1)
	v_mul_f32_e32 v7, v4, v6
	s_waitcnt vmcnt(0)
	v_fmac_f32_e32 v7, v5, v3
	global_store_dword v9, v7, s[86:87]
	s_cbranch_scc0 .LBB31_151
; %bb.149:                              ;   in Loop: Header=BB31_124 Depth=2
	s_and_b64 vcc, exec, s[14:15]
	s_cbranch_vccz .LBB31_152
.LBB31_150:                             ;   in Loop: Header=BB31_124 Depth=2
	s_andn2_b64 vcc, exec, s[82:83]
	s_cbranch_vccnz .LBB31_123
	s_branch .LBB31_153
.LBB31_151:                             ;   in Loop: Header=BB31_124 Depth=2
	s_add_u32 s4, s63, s76
	s_addc_u32 s5, s95, s77
	global_load_dword v7, v9, s[4:5]
	s_waitcnt vmcnt(0)
	v_mul_f32_e64 v2, v7, -v5
	v_mul_f32_e32 v7, v4, v7
	global_store_dword v9, v7, s[4:5]
	s_and_b64 vcc, exec, s[14:15]
	s_cbranch_vccnz .LBB31_150
.LBB31_152:                             ;   in Loop: Header=BB31_124 Depth=2
	s_add_u32 s4, s89, s76
	s_addc_u32 s5, s94, s77
	s_add_u32 s30, s67, s76
	s_addc_u32 s31, s88, s77
	global_store_dword v9, v4, s[4:5]
	global_store_dword v9, v5, s[30:31]
	s_andn2_b64 vcc, exec, s[82:83]
	s_cbranch_vccnz .LBB31_123
.LBB31_153:                             ;   in Loop: Header=BB31_124 Depth=2
	s_add_u32 s4, s92, s76
	s_addc_u32 s5, s93, s77
	s_add_u32 s30, s71, s76
	s_addc_u32 s31, s90, s77
	global_store_dword v9, v4, s[4:5]
	global_store_dword v9, v5, s[30:31]
	s_branch .LBB31_123
.LBB31_154:                             ;   in Loop: Header=BB31_11 Depth=1
	v_readlane_b32 s82, v31, 18
	v_readlane_b32 s83, v31, 19
	s_branch .LBB31_156
.LBB31_155:                             ;   in Loop: Header=BB31_11 Depth=1
	v_readlane_b32 s82, v31, 18
	v_readlane_b32 s83, v31, 19
	;; [unrolled: 1-line block ×3, first 2 shown]
.LBB31_156:                             ;   in Loop: Header=BB31_11 Depth=1
	v_readlane_b32 s88, v31, 20
	v_readlane_b32 s90, v31, 22
	;; [unrolled: 1-line block ×6, first 2 shown]
.LBB31_157:                             ;   in Loop: Header=BB31_11 Depth=1
	s_and_b64 s[4:5], s[74:75], exec
	s_cselect_b32 s4, s61, 0
	s_ashr_i32 s5, s4, 31
	s_lshl_b64 s[4:5], s[4:5], 2
	s_add_u32 s4, s11, s4
	s_addc_u32 s5, s9, s5
	global_store_dword v9, v3, s[4:5]
.LBB31_158:                             ;   in Loop: Header=BB31_11 Depth=1
	s_or_b64 exec, exec, s[72:73]
	s_andn2_b64 vcc, exec, s[82:83]
	s_barrier
	s_cbranch_vccnz .LBB31_166
; %bb.159:                              ;   in Loop: Header=BB31_11 Depth=1
	s_mov_b32 s63, s55
	s_and_saveexec_b64 s[12:13], s[88:89]
	s_cbranch_execz .LBB31_165
; %bb.160:                              ;   in Loop: Header=BB31_11 Depth=1
	s_load_dword s5, s[50:51], 0xc
	s_add_u32 s9, s34, s64
	s_addc_u32 s11, s35, s65
	s_add_i32 s4, s28, -1
	s_cmp_eq_u32 s66, 0
	s_cselect_b32 s24, s28, 0
	s_cselect_b32 s4, s4, 0
	s_cmp_gt_i32 s28, 0
	s_cselect_b64 s[14:15], -1, 0
	s_waitcnt lgkmcnt(0)
	s_and_b32 s25, s5, 0xffff
	s_ashr_i32 s5, s4, 31
	s_lshl_b64 s[4:5], s[4:5], 2
	s_lshl_b64 s[30:31], s[68:69], 2
	s_add_u32 s52, s4, s30
	s_addc_u32 s53, s5, s31
	s_add_u32 s48, s19, s52
	s_addc_u32 s49, s8, s53
	s_lshl_b32 s55, s66, 1
	s_add_i32 s30, s55, -2
	s_ashr_i32 s31, s30, 31
	s_lshl_b64 s[72:73], s[30:31], 2
	s_ashr_i32 s61, s60, 31
	s_or_b32 s72, s72, 4
	s_lshl_b64 s[4:5], s[60:61], 2
	s_add_u32 s4, s52, s4
	s_addc_u32 s5, s53, s5
	s_sub_u32 s4, s4, s64
	s_subb_u32 s5, s5, s65
	v_readlane_b32 s52, v31, 16
	s_add_u32 s52, s52, s4
	v_readlane_b32 s4, v31, 17
	s_addc_u32 s53, s4, s5
	s_add_i32 s55, s55, s24
	v_add_u32_e32 v2, s24, v14
	s_mul_i32 s54, s39, s25
	s_not_b64 s[74:75], s[30:31]
	v_add_u32_e32 v4, s55, v15
	s_or_b32 s30, s30, 1
	s_mov_b64 s[76:77], 0
	v_mov_b32_e32 v20, v0
	s_branch .LBB31_162
.LBB31_161:                             ;   in Loop: Header=BB31_162 Depth=2
	v_lshlrev_b64 v[6:7], 2, v[6:7]
	v_mov_b32_e32 v3, s11
	v_add_co_u32_e32 v6, vcc, s9, v6
	v_addc_co_u32_e32 v7, vcc, v3, v7, vcc
	v_add_u32_e32 v20, s25, v20
	v_cmp_le_i32_e32 vcc, s41, v20
	v_add_u32_e32 v2, s54, v2
	s_or_b64 s[76:77], vcc, s[76:77]
	v_add_u32_e32 v4, s54, v4
	s_waitcnt vmcnt(0) lgkmcnt(0)
	flat_store_dword v[6:7], v21
	s_andn2_b64 exec, exec, s[76:77]
	s_cbranch_execz .LBB31_165
.LBB31_162:                             ;   Parent Loop BB31_11 Depth=1
                                        ; =>  This Loop Header: Depth=2
                                        ;       Child Loop BB31_164 Depth 3
	v_mul_lo_u32 v3, v20, s39
	v_add_u32_e32 v6, s24, v3
	v_ashrrev_i32_e32 v7, 31, v6
	v_lshlrev_b64 v[22:23], 2, v[6:7]
	v_mov_b32_e32 v3, s11
	v_add_co_u32_e32 v22, vcc, s9, v22
	v_addc_co_u32_e32 v23, vcc, v3, v23, vcc
	flat_load_dword v21, v[22:23]
	s_andn2_b64 vcc, exec, s[14:15]
	s_cbranch_vccnz .LBB31_161
; %bb.163:                              ;   in Loop: Header=BB31_162 Depth=2
	v_ashrrev_i32_e32 v3, 31, v2
	v_lshlrev_b64 v[6:7], 2, v[2:3]
	v_mov_b32_e32 v23, s11
	v_add_co_u32_e32 v3, vcc, s9, v6
	v_addc_co_u32_e32 v22, vcc, v23, v7, vcc
	v_ashrrev_i32_e32 v5, 31, v4
	v_mov_b32_e32 v7, s75
	v_add_co_u32_e32 v6, vcc, s74, v4
	v_addc_co_u32_e32 v7, vcc, v7, v5, vcc
	v_lshlrev_b64 v[24:25], 2, v[4:5]
	v_add_co_u32_e32 v5, vcc, s9, v24
	v_addc_co_u32_e32 v23, vcc, v23, v25, vcc
	s_mov_b64 s[78:79], 0
	s_mov_b32 s55, s28
.LBB31_164:                             ;   Parent Loop BB31_11 Depth=1
                                        ;     Parent Loop BB31_162 Depth=2
                                        ; =>    This Inner Loop Header: Depth=3
	s_add_u32 s4, s48, s78
	v_mov_b32_e32 v26, s79
	v_add_co_u32_e32 v24, vcc, s78, v5
	s_addc_u32 s5, s49, s79
	v_addc_co_u32_e32 v25, vcc, v23, v26, vcc
	s_add_u32 s80, s52, s78
	flat_load_dword v27, v[24:25]
	s_addc_u32 s81, s53, s79
	global_load_dword v28, v9, s[80:81]
	global_load_dword v29, v9, s[4:5] offset:16
	v_add_co_u32_e64 v24, s[4:5], s78, v3
	s_add_i32 s55, s55, -1
	v_addc_co_u32_e64 v25, s[4:5], v22, v26, s[4:5]
	s_add_u32 s78, s78, s72
	v_mov_b32_e32 v30, s31
	v_add_co_u32_e32 v6, vcc, s30, v6
	s_addc_u32 s79, s79, s73
	v_addc_co_u32_e32 v7, vcc, v7, v30, vcc
	s_cmp_eq_u32 s55, 0
	s_waitcnt vmcnt(0) lgkmcnt(0)
	v_mul_f32_e32 v26, v27, v28
	v_fma_f32 v26, v21, v29, -v26
	v_mul_f32_e32 v21, v21, v28
	v_fmac_f32_e32 v21, v27, v29
	flat_store_dword v[24:25], v26
	s_cbranch_scc0 .LBB31_164
	s_branch .LBB31_161
.LBB31_165:                             ;   in Loop: Header=BB31_11 Depth=1
	s_or_b64 exec, exec, s[12:13]
	s_mov_b32 s55, s63
.LBB31_166:                             ;   in Loop: Header=BB31_11 Depth=1
	s_andn2_b64 vcc, exec, s[90:91]
	s_cbranch_vccnz .LBB31_174
; %bb.167:                              ;   in Loop: Header=BB31_11 Depth=1
	s_and_saveexec_b64 s[4:5], s[92:93]
	s_cbranch_execz .LBB31_173
; %bb.168:                              ;   in Loop: Header=BB31_11 Depth=1
	s_mul_i32 s12, s62, s23
	s_ashr_i32 s13, s12, 31
	s_lshl_b64 s[12:13], s[12:13], 2
	s_add_u32 s9, s44, s12
	s_addc_u32 s11, s45, s13
	s_add_i32 s12, s28, -1
	s_load_dword s15, s[50:51], 0xc
	s_cmp_eq_u32 s66, 0
	s_cselect_b32 s12, s12, 0
	s_cselect_b32 s53, s28, 0
	s_add_i32 s14, s12, s29
	s_cmp_gt_i32 s28, 0
	s_cselect_b64 s[12:13], -1, 0
	s_waitcnt lgkmcnt(0)
	s_and_b32 s25, s15, 0xffff
	s_ashr_i32 s15, s14, 31
	s_lshl_b64 s[30:31], s[68:69], 2
	s_lshl_b64 s[14:15], s[14:15], 2
	s_add_u32 s14, s30, s14
	s_addc_u32 s15, s31, s15
	s_add_u32 s14, s19, s14
	s_addc_u32 s15, s8, s15
	s_lshl_b32 s54, s66, 1
	s_add_i32 s30, s54, -2
	s_ashr_i32 s31, s30, 31
	s_lshl_b64 s[30:31], s[30:31], 2
	s_ashr_i32 s61, s60, 31
	s_or_b32 s30, s30, 4
	s_lshl_b64 s[48:49], s[60:61], 2
	s_sub_u32 s48, s48, s64
	s_subb_u32 s49, s49, s65
	s_add_u32 s48, s48, 20
	s_mul_i32 s24, s53, s23
	s_addc_u32 s49, s49, 0
	s_add_i32 s53, s53, s54
	s_add_i32 s53, s53, -1
	s_mul_i32 s53, s23, s53
	v_add_u32_e32 v4, s24, v0
	s_mul_i32 s52, s23, s70
	v_add_u32_e32 v5, s53, v0
	s_mov_b64 s[62:63], 0
	v_mov_b32_e32 v6, v0
	s_branch .LBB31_170
.LBB31_169:                             ;   in Loop: Header=BB31_170 Depth=2
	v_lshlrev_b64 v[2:3], 2, v[2:3]
	v_mov_b32_e32 v20, s11
	v_add_co_u32_e32 v2, vcc, s9, v2
	v_addc_co_u32_e32 v3, vcc, v20, v3, vcc
	v_add_u32_e32 v6, s25, v6
	v_cmp_le_i32_e32 vcc, s42, v6
	v_add_u32_e32 v4, s25, v4
	s_or_b64 s[62:63], vcc, s[62:63]
	v_add_u32_e32 v5, s25, v5
	s_waitcnt vmcnt(0) lgkmcnt(0)
	flat_store_dword v[2:3], v7
	s_andn2_b64 exec, exec, s[62:63]
	s_cbranch_execz .LBB31_173
.LBB31_170:                             ;   Parent Loop BB31_11 Depth=1
                                        ; =>  This Loop Header: Depth=2
                                        ;       Child Loop BB31_172 Depth 3
	v_add_u32_e32 v2, s24, v6
	v_ashrrev_i32_e32 v3, 31, v2
	v_lshlrev_b64 v[20:21], 2, v[2:3]
	v_mov_b32_e32 v7, s11
	v_add_co_u32_e32 v20, vcc, s9, v20
	v_addc_co_u32_e32 v21, vcc, v7, v21, vcc
	flat_load_dword v7, v[20:21]
	s_andn2_b64 vcc, exec, s[12:13]
	s_cbranch_vccnz .LBB31_169
; %bb.171:                              ;   in Loop: Header=BB31_170 Depth=2
	s_mov_b32 s53, 0
	s_mov_b64 s[70:71], s[14:15]
	s_mov_b32 s54, s28
.LBB31_172:                             ;   Parent Loop BB31_11 Depth=1
                                        ;     Parent Loop BB31_170 Depth=2
                                        ; =>    This Inner Loop Header: Depth=3
	v_add_u32_e32 v2, s53, v5
	v_ashrrev_i32_e32 v3, 31, v2
	v_lshlrev_b64 v[20:21], 2, v[2:3]
	v_mov_b32_e32 v22, s11
	s_add_u32 s72, s70, s48
	v_add_co_u32_e32 v20, vcc, s9, v20
	s_addc_u32 s73, s71, s49
	v_addc_co_u32_e32 v21, vcc, v22, v21, vcc
	global_load_dword v23, v9, s[70:71] offset:16
	global_load_dword v24, v9, s[72:73]
	flat_load_dword v25, v[20:21]
	v_add_u32_e32 v20, s53, v4
	v_ashrrev_i32_e32 v21, 31, v20
	v_lshlrev_b64 v[20:21], 2, v[20:21]
	s_add_i32 s54, s54, -1
	v_add_co_u32_e32 v20, vcc, s9, v20
	s_add_u32 s70, s70, s30
	v_addc_co_u32_e32 v21, vcc, v22, v21, vcc
	s_addc_u32 s71, s71, s31
	s_add_i32 s53, s53, s52
	s_cmp_eq_u32 s54, 0
	s_waitcnt vmcnt(0) lgkmcnt(0)
	v_mul_f32_e32 v22, v25, v24
	v_fma_f32 v22, v7, v23, -v22
	v_mul_f32_e32 v7, v7, v24
	v_fmac_f32_e32 v7, v25, v23
	flat_store_dword v[20:21], v22
	s_cbranch_scc0 .LBB31_172
	s_branch .LBB31_169
.LBB31_173:                             ;   in Loop: Header=BB31_11 Depth=1
	s_or_b64 exec, exec, s[4:5]
.LBB31_174:                             ;   in Loop: Header=BB31_11 Depth=1
	v_readlane_b32 s4, v31, 4
	v_readlane_b32 s5, v31, 5
	s_andn2_b64 vcc, exec, s[4:5]
	s_cbranch_vccnz .LBB31_10
; %bb.175:                              ;   in Loop: Header=BB31_11 Depth=1
	s_mov_b64 s[12:13], exec
	v_readlane_b32 s4, v31, 6
	v_readlane_b32 s5, v31, 7
	s_and_b64 s[4:5], s[12:13], s[4:5]
	s_mov_b64 exec, s[4:5]
	s_cbranch_execz .LBB31_9
; %bb.176:                              ;   in Loop: Header=BB31_11 Depth=1
	s_add_u32 s9, s36, s64
	s_addc_u32 s11, s37, s65
	s_add_i32 s4, s28, -1
	s_load_dword s5, s[50:51], 0xc
	s_cmp_eq_u32 s66, 0
	s_cselect_b32 s4, s4, 0
	s_cselect_b32 s24, s28, 0
	s_add_i32 s4, s4, s29
	s_cmp_gt_i32 s28, 0
	s_cselect_b64 s[14:15], -1, 0
	s_waitcnt lgkmcnt(0)
	s_and_b32 s25, s5, 0xffff
	s_ashr_i32 s5, s4, 31
	s_lshl_b64 s[30:31], s[68:69], 2
	s_lshl_b64 s[4:5], s[4:5], 2
	s_add_u32 s49, s30, s4
	s_addc_u32 s52, s31, s5
	s_add_u32 s29, s19, s49
	s_addc_u32 s48, s8, s52
	s_lshl_b32 s54, s66, 1
	s_add_i32 s30, s54, -2
	s_ashr_i32 s31, s30, 31
	s_lshl_b64 s[62:63], s[30:31], 2
	s_ashr_i32 s61, s60, 31
	s_or_b32 s62, s62, 4
	s_lshl_b64 s[4:5], s[60:61], 2
	s_add_u32 s4, s49, s4
	s_addc_u32 s5, s52, s5
	s_sub_u32 s4, s4, s64
	s_subb_u32 s5, s5, s65
	v_readlane_b32 s49, v31, 16
	s_add_u32 s49, s49, s4
	v_readlane_b32 s4, v31, 17
	s_addc_u32 s52, s4, s5
	s_add_i32 s54, s54, s24
	v_add_u32_e32 v2, s24, v16
	s_mul_i32 s53, s21, s25
	s_not_b64 s[60:61], s[30:31]
	v_add_u32_e32 v4, s54, v17
	s_or_b32 s30, s30, 1
	s_mov_b64 s[64:65], 0
	v_mov_b32_e32 v20, v0
	s_branch .LBB31_178
.LBB31_177:                             ;   in Loop: Header=BB31_178 Depth=2
	v_lshlrev_b64 v[6:7], 2, v[6:7]
	v_mov_b32_e32 v3, s11
	v_add_co_u32_e32 v6, vcc, s9, v6
	v_addc_co_u32_e32 v7, vcc, v3, v7, vcc
	v_add_u32_e32 v20, s25, v20
	v_cmp_le_i32_e32 vcc, s43, v20
	v_add_u32_e32 v2, s53, v2
	s_or_b64 s[64:65], vcc, s[64:65]
	v_add_u32_e32 v4, s53, v4
	s_waitcnt vmcnt(0) lgkmcnt(0)
	flat_store_dword v[6:7], v21
	s_andn2_b64 exec, exec, s[64:65]
	s_cbranch_execz .LBB31_9
.LBB31_178:                             ;   Parent Loop BB31_11 Depth=1
                                        ; =>  This Loop Header: Depth=2
                                        ;       Child Loop BB31_180 Depth 3
	v_mul_lo_u32 v3, v20, s21
	v_add_u32_e32 v6, s24, v3
	v_ashrrev_i32_e32 v7, 31, v6
	v_lshlrev_b64 v[22:23], 2, v[6:7]
	v_mov_b32_e32 v3, s11
	v_add_co_u32_e32 v22, vcc, s9, v22
	v_addc_co_u32_e32 v23, vcc, v3, v23, vcc
	flat_load_dword v21, v[22:23]
	s_andn2_b64 vcc, exec, s[14:15]
	s_cbranch_vccnz .LBB31_177
; %bb.179:                              ;   in Loop: Header=BB31_178 Depth=2
	v_ashrrev_i32_e32 v3, 31, v2
	v_lshlrev_b64 v[6:7], 2, v[2:3]
	v_mov_b32_e32 v23, s11
	v_add_co_u32_e32 v3, vcc, s9, v6
	v_addc_co_u32_e32 v22, vcc, v23, v7, vcc
	v_ashrrev_i32_e32 v5, 31, v4
	v_mov_b32_e32 v7, s61
	v_add_co_u32_e32 v6, vcc, s60, v4
	v_addc_co_u32_e32 v7, vcc, v7, v5, vcc
	v_lshlrev_b64 v[24:25], 2, v[4:5]
	v_add_co_u32_e32 v5, vcc, s9, v24
	v_addc_co_u32_e32 v23, vcc, v23, v25, vcc
	s_mov_b64 s[66:67], 0
	s_mov_b32 s54, s28
.LBB31_180:                             ;   Parent Loop BB31_11 Depth=1
                                        ;     Parent Loop BB31_178 Depth=2
                                        ; =>    This Inner Loop Header: Depth=3
	s_add_u32 s4, s29, s66
	s_addc_u32 s5, s48, s67
	v_mov_b32_e32 v26, s67
	v_add_co_u32_e32 v24, vcc, s66, v5
	s_add_u32 s68, s49, s66
	v_addc_co_u32_e32 v25, vcc, v23, v26, vcc
	s_addc_u32 s69, s52, s67
	flat_load_dword v27, v[24:25]
	global_load_dword v28, v9, s[4:5] offset:16
	global_load_dword v29, v9, s[68:69]
	v_add_co_u32_e64 v24, s[4:5], s66, v3
	s_add_i32 s54, s54, -1
	v_addc_co_u32_e64 v25, s[4:5], v22, v26, s[4:5]
	s_add_u32 s66, s66, s62
	v_mov_b32_e32 v30, s31
	v_add_co_u32_e32 v6, vcc, s30, v6
	s_addc_u32 s67, s67, s63
	v_addc_co_u32_e32 v7, vcc, v7, v30, vcc
	s_cmp_eq_u32 s54, 0
	s_waitcnt vmcnt(0) lgkmcnt(0)
	v_mul_f32_e32 v26, v27, v29
	v_fma_f32 v26, v21, v28, -v26
	v_mul_f32_e32 v21, v21, v29
	v_fmac_f32_e32 v21, v27, v28
	flat_store_dword v[24:25], v26
	s_cbranch_scc0 .LBB31_180
	s_branch .LBB31_177
.LBB31_181:
	s_endpgm
	.section	.rodata,"a",@progbits
	.p2align	6, 0x0
	.amdhsa_kernel _ZN9rocsolver6v33100L13bdsqr_computeILi256EffPKPfS2_S4_EEviiiiPT1_lS6_lT2_iilT3_iilT4_iiliS5_S5_S5_S5_PiS6_ilSA_
		.amdhsa_group_segment_fixed_size 1040
		.amdhsa_private_segment_fixed_size 0
		.amdhsa_kernarg_size 440
		.amdhsa_user_sgpr_count 6
		.amdhsa_user_sgpr_private_segment_buffer 1
		.amdhsa_user_sgpr_dispatch_ptr 0
		.amdhsa_user_sgpr_queue_ptr 0
		.amdhsa_user_sgpr_kernarg_segment_ptr 1
		.amdhsa_user_sgpr_dispatch_id 0
		.amdhsa_user_sgpr_flat_scratch_init 0
		.amdhsa_user_sgpr_kernarg_preload_length 0
		.amdhsa_user_sgpr_kernarg_preload_offset 0
		.amdhsa_user_sgpr_private_segment_size 0
		.amdhsa_uses_dynamic_stack 0
		.amdhsa_system_sgpr_private_segment_wavefront_offset 0
		.amdhsa_system_sgpr_workgroup_id_x 1
		.amdhsa_system_sgpr_workgroup_id_y 1
		.amdhsa_system_sgpr_workgroup_id_z 1
		.amdhsa_system_sgpr_workgroup_info 0
		.amdhsa_system_vgpr_workitem_id 0
		.amdhsa_next_free_vgpr 32
		.amdhsa_next_free_sgpr 96
		.amdhsa_accum_offset 32
		.amdhsa_reserve_vcc 1
		.amdhsa_reserve_flat_scratch 0
		.amdhsa_float_round_mode_32 0
		.amdhsa_float_round_mode_16_64 0
		.amdhsa_float_denorm_mode_32 3
		.amdhsa_float_denorm_mode_16_64 3
		.amdhsa_dx10_clamp 1
		.amdhsa_ieee_mode 1
		.amdhsa_fp16_overflow 0
		.amdhsa_tg_split 0
		.amdhsa_exception_fp_ieee_invalid_op 0
		.amdhsa_exception_fp_denorm_src 0
		.amdhsa_exception_fp_ieee_div_zero 0
		.amdhsa_exception_fp_ieee_overflow 0
		.amdhsa_exception_fp_ieee_underflow 0
		.amdhsa_exception_fp_ieee_inexact 0
		.amdhsa_exception_int_div_zero 0
	.end_amdhsa_kernel
	.section	.text._ZN9rocsolver6v33100L13bdsqr_computeILi256EffPKPfS2_S4_EEviiiiPT1_lS6_lT2_iilT3_iilT4_iiliS5_S5_S5_S5_PiS6_ilSA_,"axG",@progbits,_ZN9rocsolver6v33100L13bdsqr_computeILi256EffPKPfS2_S4_EEviiiiPT1_lS6_lT2_iilT3_iilT4_iiliS5_S5_S5_S5_PiS6_ilSA_,comdat
.Lfunc_end31:
	.size	_ZN9rocsolver6v33100L13bdsqr_computeILi256EffPKPfS2_S4_EEviiiiPT1_lS6_lT2_iilT3_iilT4_iiliS5_S5_S5_S5_PiS6_ilSA_, .Lfunc_end31-_ZN9rocsolver6v33100L13bdsqr_computeILi256EffPKPfS2_S4_EEviiiiPT1_lS6_lT2_iilT3_iilT4_iiliS5_S5_S5_S5_PiS6_ilSA_
                                        ; -- End function
	.section	.AMDGPU.csdata,"",@progbits
; Kernel info:
; codeLenInByte = 8624
; NumSgprs: 100
; NumVgprs: 32
; NumAgprs: 0
; TotalNumVgprs: 32
; ScratchSize: 0
; MemoryBound: 0
; FloatMode: 240
; IeeeMode: 1
; LDSByteSize: 1040 bytes/workgroup (compile time only)
; SGPRBlocks: 12
; VGPRBlocks: 3
; NumSGPRsForWavesPerEU: 100
; NumVGPRsForWavesPerEU: 32
; AccumOffset: 32
; Occupancy: 8
; WaveLimiterHint : 1
; COMPUTE_PGM_RSRC2:SCRATCH_EN: 0
; COMPUTE_PGM_RSRC2:USER_SGPR: 6
; COMPUTE_PGM_RSRC2:TRAP_HANDLER: 0
; COMPUTE_PGM_RSRC2:TGID_X_EN: 1
; COMPUTE_PGM_RSRC2:TGID_Y_EN: 1
; COMPUTE_PGM_RSRC2:TGID_Z_EN: 1
; COMPUTE_PGM_RSRC2:TIDIG_COMP_CNT: 0
; COMPUTE_PGM_RSRC3_GFX90A:ACCUM_OFFSET: 7
; COMPUTE_PGM_RSRC3_GFX90A:TG_SPLIT: 0
	.section	.text._ZN9rocsolver6v33100L12bdsqr_rotateIffPKPfS2_S4_EEviiiiT1_iilT2_iilT3_iiliPiPT0_ilS8_,"axG",@progbits,_ZN9rocsolver6v33100L12bdsqr_rotateIffPKPfS2_S4_EEviiiiT1_iilT2_iilT3_iiliPiPT0_ilS8_,comdat
	.globl	_ZN9rocsolver6v33100L12bdsqr_rotateIffPKPfS2_S4_EEviiiiT1_iilT2_iilT3_iiliPiPT0_ilS8_ ; -- Begin function _ZN9rocsolver6v33100L12bdsqr_rotateIffPKPfS2_S4_EEviiiiT1_iilT2_iilT3_iiliPiPT0_ilS8_
	.p2align	8
	.type	_ZN9rocsolver6v33100L12bdsqr_rotateIffPKPfS2_S4_EEviiiiT1_iilT2_iilT3_iiliPiPT0_ilS8_,@function
_ZN9rocsolver6v33100L12bdsqr_rotateIffPKPfS2_S4_EEviiiiT1_iilT2_iilT3_iiliPiPT0_ilS8_: ; @_ZN9rocsolver6v33100L12bdsqr_rotateIffPKPfS2_S4_EEviiiiT1_iilT2_iilT3_iiliPiPT0_ilS8_
; %bb.0:
	s_load_dwordx4 s[20:23], s[4:5], 0x78
	s_ashr_i32 s9, s8, 31
	s_lshl_b64 s[0:1], s[8:9], 2
	s_waitcnt lgkmcnt(0)
	s_add_u32 s0, s22, s0
	s_addc_u32 s1, s23, s1
	s_load_dword s0, s[0:1], 0x8
	s_waitcnt lgkmcnt(0)
	s_cmp_lg_u32 s0, 0
	s_cbranch_scc1 .LBB32_25
; %bb.1:
	s_load_dwordx4 s[0:3], s[4:5], 0x10
	s_add_u32 s24, s4, 0x88
	s_addc_u32 s25, s5, 0
	s_mov_b64 s[22:23], 0
	s_mov_b64 s[10:11], 0
	s_waitcnt lgkmcnt(0)
	s_cmp_eq_u64 s[0:1], 0
	s_cbranch_scc1 .LBB32_3
; %bb.2:
	s_lshl_b64 s[10:11], s[8:9], 3
	s_add_u32 s0, s0, s10
	s_addc_u32 s1, s1, s11
	s_load_dwordx2 s[0:1], s[0:1], 0x0
	s_ashr_i32 s11, s2, 31
	s_mov_b32 s10, s2
	s_lshl_b64 s[10:11], s[10:11], 2
	s_waitcnt lgkmcnt(0)
	s_add_u32 s10, s0, s10
	s_addc_u32 s11, s1, s11
.LBB32_3:
	s_load_dwordx8 s[12:19], s[4:5], 0x28
	s_waitcnt lgkmcnt(0)
	s_cmp_eq_u64 s[12:13], 0
	s_cbranch_scc1 .LBB32_5
; %bb.4:
	s_ashr_i32 s1, s14, 31
	s_mov_b32 s0, s14
	s_mul_i32 s2, s8, s17
	s_mul_hi_u32 s14, s8, s16
	s_add_i32 s2, s14, s2
	s_mul_i32 s14, s9, s16
	s_add_i32 s17, s2, s14
	s_mul_i32 s16, s8, s16
	s_lshl_b64 s[16:17], s[16:17], 2
	s_add_u32 s2, s12, s16
	s_addc_u32 s12, s13, s17
	s_lshl_b64 s[0:1], s[0:1], 2
	s_add_u32 s22, s2, s0
	s_addc_u32 s23, s12, s1
.LBB32_5:
	s_load_dwordx2 s[26:27], s[4:5], 0x48
	s_cmp_eq_u64 s[18:19], 0
	s_mov_b64 s[0:1], 0
	s_cbranch_scc1 .LBB32_7
; %bb.6:
	s_lshl_b64 s[0:1], s[8:9], 3
	s_add_u32 s0, s18, s0
	s_addc_u32 s1, s19, s1
	s_load_dwordx2 s[0:1], s[0:1], 0x0
	s_waitcnt lgkmcnt(0)
	s_ashr_i32 s13, s26, 31
	s_mov_b32 s12, s26
	s_lshl_b64 s[12:13], s[12:13], 2
	s_add_u32 s0, s0, s12
	s_addc_u32 s1, s1, s13
.LBB32_7:
	s_load_dwordx4 s[16:19], s[4:5], 0x60
	s_mul_i32 s2, s8, s21
	s_mul_hi_u32 s12, s8, s20
	s_add_i32 s2, s12, s2
	s_mul_i32 s9, s9, s20
	s_add_i32 s13, s2, s9
	s_mul_i32 s12, s8, s20
	s_lshl_b64 s[20:21], s[12:13], 2
	s_waitcnt lgkmcnt(0)
	s_add_u32 s12, s18, s20
	s_addc_u32 s13, s19, s21
	s_load_dword s2, s[12:13], 0x8
	s_waitcnt lgkmcnt(0)
	v_cvt_i32_f32_e32 v4, s2
	v_cmp_ge_i32_e32 vcc, s7, v4
	s_cbranch_vccnz .LBB32_25
; %bb.8:
	s_load_dwordx4 s[28:31], s[4:5], 0x0
	s_load_dword s14, s[4:5], 0x58
	s_load_dword s2, s[4:5], 0x94
	;; [unrolled: 1-line block ×3, first 2 shown]
	v_mov_b32_e32 v8, 0
	s_waitcnt lgkmcnt(0)
	s_mul_i32 s4, s8, s28
	s_lshl_b32 s4, s4, 1
	s_ashr_i32 s5, s4, 31
	s_lshl_b64 s[4:5], s[4:5], 2
	s_add_u32 s36, s16, s4
	s_addc_u32 s37, s17, s5
	s_and_b32 s2, 0xffff, s2
	s_mul_i32 s6, s6, s2
	s_cmp_eq_u32 s29, 0
	v_add_u32_e32 v5, s6, v0
	s_cselect_b64 s[4:5], -1, 0
	s_cmp_lg_u64 s[10:11], 0
	s_cselect_b64 s[8:9], -1, 0
	v_cmp_gt_i32_e32 vcc, s29, v5
	s_and_b64 s[8:9], vcc, s[8:9]
	s_cmp_lg_u64 s[22:23], 0
	v_mul_lo_u32 v6, v5, s3
	s_cselect_b64 s[2:3], -1, 0
	v_cmp_gt_i32_e32 vcc, s30, v5
	s_and_b64 s[2:3], vcc, s[2:3]
	s_cmp_lg_u64 s[0:1], 0
	s_cselect_b64 s[12:13], -1, 0
	v_cmp_gt_i32_e32 vcc, s31, v5
	s_and_b64 s[12:13], vcc, s[12:13]
	s_load_dword s6, s[24:25], 0x4
	s_add_u32 s38, s18, s20
	s_addc_u32 s39, s19, s21
	s_add_u32 s40, s38, 20
	v_mul_lo_u32 v7, v5, s27
	s_addc_u32 s41, s39, 0
	s_branch .LBB32_12
.LBB32_9:                               ;   in Loop: Header=BB32_12 Depth=1
	v_mov_b32_e32 v0, s21
	v_subrev_co_u32_e32 v1, vcc, s20, v2
	s_add_u32 s16, s18, s0
	v_subb_co_u32_e32 v2, vcc, v3, v0, vcc
	s_addc_u32 s17, s19, s1
	v_mov_b32_e32 v3, s17
	v_add_co_u32_e32 v0, vcc, s16, v1
	v_addc_co_u32_e32 v1, vcc, v3, v2, vcc
	flat_store_dword v[0:1], v9
.LBB32_10:                              ;   in Loop: Header=BB32_12 Depth=1
	s_or_b64 exec, exec, s[28:29]
.LBB32_11:                              ;   in Loop: Header=BB32_12 Depth=1
	s_add_i32 s7, s6, s7
	v_cmp_lt_i32_e32 vcc, s7, v4
	s_cbranch_vccz .LBB32_25
.LBB32_12:                              ; =>This Loop Header: Depth=1
                                        ;     Child Loop BB32_16 Depth 2
                                        ;     Child Loop BB32_20 Depth 2
	;; [unrolled: 1-line block ×3, first 2 shown]
	s_lshl_b32 s16, s7, 2
	s_ashr_i32 s17, s16, 31
	s_lshl_b64 s[16:17], s[16:17], 2
	s_add_u32 s16, s36, s16
	s_addc_u32 s17, s37, s17
	s_load_dwordx2 s[18:19], s[16:17], 0x0
	s_load_dword s24, s[16:17], 0x8
	s_waitcnt lgkmcnt(0)
	s_cmp_le_i32 s24, s19
	s_cbranch_scc1 .LBB32_11
; %bb.13:                               ;   in Loop: Header=BB32_12 Depth=1
	s_load_dword s16, s[16:17], 0xc
	s_waitcnt lgkmcnt(0)
	s_cmp_lt_i32 s16, s14
	s_cselect_b64 s[16:17], -1, 0
	s_cmp_lg_u32 s18, 0
	s_cselect_b64 s[20:21], -1, 0
	s_and_b64 s[16:17], s[16:17], s[20:21]
	s_andn2_b64 vcc, exec, s[16:17]
	s_cbranch_vccnz .LBB32_11
; %bb.14:                               ;   in Loop: Header=BB32_12 Depth=1
	s_mul_i32 s20, s19, s33
	s_ashr_i32 s21, s20, 31
	s_cmp_gt_i32 s18, 0
	s_cselect_b64 s[26:27], -1, 0
	s_sub_i32 s16, s24, s19
	s_and_saveexec_b64 s[28:29], s[8:9]
	s_cbranch_execz .LBB32_18
; %bb.15:                               ;   in Loop: Header=BB32_12 Depth=1
	s_and_b64 s[30:31], s[26:27], exec
	s_cselect_b32 s17, s19, s24
	v_add_u32_e32 v2, s17, v6
	v_ashrrev_i32_e32 v3, 31, v2
	v_lshlrev_b64 v[0:1], 2, v[2:3]
	v_mov_b32_e32 v11, s11
	v_add_co_u32_e32 v0, vcc, s10, v0
	v_addc_co_u32_e32 v1, vcc, v11, v1, vcc
	flat_load_dword v9, v[0:1]
	s_add_i32 s17, s16, -1
	s_and_b64 s[30:31], s[26:27], exec
	s_cselect_b32 s30, 0, s17
	s_ashr_i32 s31, s30, 31
	s_lshl_b64 s[30:31], s[30:31], 2
	s_lshl_b64 s[34:35], s[20:21], 2
	s_add_u32 s43, s30, s34
	s_addc_u32 s44, s31, s35
	s_add_u32 s17, s38, s43
	s_addc_u32 s42, s39, s44
	s_ashr_i32 s31, s18, 31
	s_mov_b32 s30, s18
	s_ashr_i32 s25, s24, 31
	s_lshl_b64 s[30:31], s[30:31], 2
	s_lshl_b64 s[34:35], s[24:25], 2
	s_add_u32 s25, s43, s34
	s_addc_u32 s43, s44, s35
	s_ashr_i32 s35, s19, 31
	s_mov_b32 s34, s19
	s_lshl_b64 s[34:35], s[34:35], 2
	v_add_u32_e32 v2, s18, v2
	s_sub_u32 s25, s25, s34
	v_ashrrev_i32_e32 v3, 31, v2
	s_subb_u32 s34, s43, s35
	v_lshlrev_b64 v[2:3], 2, v[2:3]
	s_add_u32 s25, s40, s25
	v_add_co_u32_e32 v10, vcc, s10, v2
	s_addc_u32 s43, s41, s34
	v_addc_co_u32_e32 v11, vcc, v11, v3, vcc
	s_mov_b64 s[34:35], 0
	s_mov_b32 s44, s16
.LBB32_16:                              ;   Parent Loop BB32_12 Depth=1
                                        ; =>  This Inner Loop Header: Depth=2
	s_add_u32 s46, s17, s34
	s_addc_u32 s47, s42, s35
	v_mov_b32_e32 v14, s35
	v_add_co_u32_e32 v12, vcc, s34, v10
	s_add_u32 s48, s25, s34
	v_addc_co_u32_e32 v13, vcc, v11, v14, vcc
	s_addc_u32 s49, s43, s35
	flat_load_dword v15, v[12:13]
	global_load_dword v16, v8, s[46:47] offset:16
	global_load_dword v17, v8, s[48:49]
	v_add_co_u32_e32 v12, vcc, s34, v0
	s_add_i32 s44, s44, -1
	v_addc_co_u32_e32 v13, vcc, v1, v14, vcc
	s_add_u32 s34, s34, s30
	s_addc_u32 s35, s35, s31
	s_cmp_eq_u32 s44, 0
	s_waitcnt vmcnt(0) lgkmcnt(0)
	v_mul_f32_e32 v14, v15, v17
	v_fma_f32 v14, v9, v16, -v14
	v_mul_f32_e32 v9, v9, v17
	v_fmac_f32_e32 v9, v15, v16
	flat_store_dword v[12:13], v14
	s_cbranch_scc0 .LBB32_16
; %bb.17:                               ;   in Loop: Header=BB32_12 Depth=1
	v_mov_b32_e32 v0, s31
	v_subrev_co_u32_e32 v1, vcc, s30, v2
	s_add_u32 s17, s34, s10
	v_subb_co_u32_e32 v2, vcc, v3, v0, vcc
	s_addc_u32 s25, s35, s11
	v_mov_b32_e32 v3, s25
	v_add_co_u32_e32 v0, vcc, s17, v1
	v_addc_co_u32_e32 v1, vcc, v3, v2, vcc
	flat_store_dword v[0:1], v9
.LBB32_18:                              ;   in Loop: Header=BB32_12 Depth=1
	s_or_b64 exec, exec, s[28:29]
	s_lshl_b32 s17, s16, 1
	s_add_i32 s17, s17, 2
	s_and_b64 s[28:29], s[4:5], exec
	s_cselect_b32 s25, 0, s17
	s_and_saveexec_b64 s[28:29], s[2:3]
	s_cbranch_execz .LBB32_22
; %bb.19:                               ;   in Loop: Header=BB32_12 Depth=1
	s_and_b64 s[30:31], s[26:27], exec
	s_cselect_b32 s46, s19, s24
	s_mul_i32 s42, s46, s15
	v_add_u32_e32 v0, s42, v5
	v_ashrrev_i32_e32 v1, 31, v0
	v_lshlrev_b64 v[0:1], 2, v[0:1]
	v_mov_b32_e32 v2, s23
	v_add_co_u32_e32 v0, vcc, s22, v0
	v_addc_co_u32_e32 v1, vcc, v2, v1, vcc
	flat_load_dword v2, v[0:1]
	s_add_i32 s17, s16, -1
	s_and_b64 s[30:31], s[26:27], exec
	s_cselect_b32 s17, 0, s17
	s_add_i32 s30, s25, s17
	s_ashr_i32 s31, s30, 31
	s_ashr_i32 s17, s16, 31
	s_lshl_b64 s[34:35], s[20:21], 2
	s_lshl_b64 s[30:31], s[30:31], 2
	s_add_u32 s30, s34, s30
	s_addc_u32 s31, s35, s31
	s_add_u32 s30, s38, s30
	s_addc_u32 s31, s39, s31
	s_ashr_i32 s35, s18, 31
	s_mov_b32 s34, s18
	s_lshl_b64 s[34:35], s[34:35], 2
	s_lshl_b64 s[44:45], s[16:17], 2
	s_add_u32 s17, s44, 20
	s_addc_u32 s43, s45, 0
	s_add_i32 s46, s46, s18
	s_mul_i32 s44, s15, s46
	s_mul_i32 s45, s15, s18
	v_mov_b32_e32 v3, v5
	s_mov_b32 s46, s16
.LBB32_20:                              ;   Parent Loop BB32_12 Depth=1
                                        ; =>  This Inner Loop Header: Depth=2
	v_add_u32_e32 v0, s44, v3
	v_ashrrev_i32_e32 v1, 31, v0
	v_lshlrev_b64 v[0:1], 2, v[0:1]
	v_mov_b32_e32 v9, s23
	s_add_u32 s48, s30, s17
	v_add_co_u32_e32 v0, vcc, s22, v0
	s_addc_u32 s49, s31, s43
	v_addc_co_u32_e32 v1, vcc, v9, v1, vcc
	global_load_dword v12, v8, s[30:31] offset:16
	global_load_dword v13, v8, s[48:49]
	flat_load_dword v14, v[0:1]
	v_add_u32_e32 v10, s42, v3
	v_ashrrev_i32_e32 v11, 31, v10
	v_lshlrev_b64 v[10:11], 2, v[10:11]
	s_add_i32 s46, s46, -1
	v_add_co_u32_e32 v10, vcc, s22, v10
	s_add_u32 s30, s30, s34
	v_addc_co_u32_e32 v11, vcc, v9, v11, vcc
	s_addc_u32 s31, s31, s35
	v_add_u32_e32 v3, s45, v3
	s_cmp_eq_u32 s46, 0
	s_waitcnt vmcnt(0) lgkmcnt(0)
	v_mul_f32_e32 v9, v14, v13
	v_fma_f32 v9, v2, v12, -v9
	v_mul_f32_e32 v2, v2, v13
	v_fmac_f32_e32 v2, v14, v12
	flat_store_dword v[10:11], v9
	s_cbranch_scc0 .LBB32_20
; %bb.21:                               ;   in Loop: Header=BB32_12 Depth=1
	flat_store_dword v[0:1], v2
.LBB32_22:                              ;   in Loop: Header=BB32_12 Depth=1
	s_or_b64 exec, exec, s[28:29]
	s_and_saveexec_b64 s[28:29], s[12:13]
	s_cbranch_execz .LBB32_10
; %bb.23:                               ;   in Loop: Header=BB32_12 Depth=1
	s_and_b64 s[30:31], s[26:27], exec
	s_cselect_b32 s17, s19, s24
	v_add_u32_e32 v2, s17, v7
	v_ashrrev_i32_e32 v3, 31, v2
	v_lshlrev_b64 v[0:1], 2, v[2:3]
	v_mov_b32_e32 v11, s1
	v_add_co_u32_e32 v0, vcc, s0, v0
	v_addc_co_u32_e32 v1, vcc, v11, v1, vcc
	flat_load_dword v9, v[0:1]
	s_add_i32 s17, s16, -1
	s_and_b64 s[26:27], s[26:27], exec
	s_cselect_b32 s17, 0, s17
	s_add_i32 s24, s25, s17
	s_ashr_i32 s25, s24, 31
	s_ashr_i32 s17, s16, 31
	s_lshl_b64 s[20:21], s[20:21], 2
	s_lshl_b64 s[24:25], s[24:25], 2
	s_add_u32 s30, s20, s24
	s_addc_u32 s31, s21, s25
	s_add_u32 s24, s38, s30
	s_addc_u32 s25, s39, s31
	s_ashr_i32 s19, s18, 31
	s_lshl_b64 s[20:21], s[18:19], 2
	s_lshl_b64 s[26:27], s[16:17], 2
	v_add_u32_e32 v2, s18, v2
	s_add_u32 s17, s30, s26
	v_ashrrev_i32_e32 v3, 31, v2
	s_addc_u32 s19, s31, s27
	v_lshlrev_b64 v[2:3], 2, v[2:3]
	s_add_u32 s17, s40, s17
	v_add_co_u32_e32 v10, vcc, s0, v2
	s_addc_u32 s26, s41, s19
	v_addc_co_u32_e32 v11, vcc, v11, v3, vcc
	s_mov_b64 s[18:19], 0
.LBB32_24:                              ;   Parent Loop BB32_12 Depth=1
                                        ; =>  This Inner Loop Header: Depth=2
	s_add_u32 s30, s24, s18
	s_addc_u32 s31, s25, s19
	v_mov_b32_e32 v14, s19
	v_add_co_u32_e32 v12, vcc, s18, v10
	s_add_u32 s34, s17, s18
	v_addc_co_u32_e32 v13, vcc, v11, v14, vcc
	s_addc_u32 s35, s26, s19
	flat_load_dword v15, v[12:13]
	global_load_dword v16, v8, s[30:31] offset:16
	global_load_dword v17, v8, s[34:35]
	v_add_co_u32_e32 v12, vcc, s18, v0
	s_add_i32 s16, s16, -1
	v_addc_co_u32_e32 v13, vcc, v1, v14, vcc
	s_add_u32 s18, s18, s20
	s_addc_u32 s19, s19, s21
	s_cmp_eq_u32 s16, 0
	s_waitcnt vmcnt(0) lgkmcnt(0)
	v_mul_f32_e32 v14, v15, v17
	v_fma_f32 v14, v9, v16, -v14
	v_mul_f32_e32 v9, v9, v17
	v_fmac_f32_e32 v9, v15, v16
	flat_store_dword v[12:13], v14
	s_cbranch_scc0 .LBB32_24
	s_branch .LBB32_9
.LBB32_25:
	s_endpgm
	.section	.rodata,"a",@progbits
	.p2align	6, 0x0
	.amdhsa_kernel _ZN9rocsolver6v33100L12bdsqr_rotateIffPKPfS2_S4_EEviiiiT1_iilT2_iilT3_iiliPiPT0_ilS8_
		.amdhsa_group_segment_fixed_size 0
		.amdhsa_private_segment_fixed_size 0
		.amdhsa_kernarg_size 392
		.amdhsa_user_sgpr_count 6
		.amdhsa_user_sgpr_private_segment_buffer 1
		.amdhsa_user_sgpr_dispatch_ptr 0
		.amdhsa_user_sgpr_queue_ptr 0
		.amdhsa_user_sgpr_kernarg_segment_ptr 1
		.amdhsa_user_sgpr_dispatch_id 0
		.amdhsa_user_sgpr_flat_scratch_init 0
		.amdhsa_user_sgpr_kernarg_preload_length 0
		.amdhsa_user_sgpr_kernarg_preload_offset 0
		.amdhsa_user_sgpr_private_segment_size 0
		.amdhsa_uses_dynamic_stack 0
		.amdhsa_system_sgpr_private_segment_wavefront_offset 0
		.amdhsa_system_sgpr_workgroup_id_x 1
		.amdhsa_system_sgpr_workgroup_id_y 1
		.amdhsa_system_sgpr_workgroup_id_z 1
		.amdhsa_system_sgpr_workgroup_info 0
		.amdhsa_system_vgpr_workitem_id 0
		.amdhsa_next_free_vgpr 18
		.amdhsa_next_free_sgpr 50
		.amdhsa_accum_offset 20
		.amdhsa_reserve_vcc 1
		.amdhsa_reserve_flat_scratch 0
		.amdhsa_float_round_mode_32 0
		.amdhsa_float_round_mode_16_64 0
		.amdhsa_float_denorm_mode_32 3
		.amdhsa_float_denorm_mode_16_64 3
		.amdhsa_dx10_clamp 1
		.amdhsa_ieee_mode 1
		.amdhsa_fp16_overflow 0
		.amdhsa_tg_split 0
		.amdhsa_exception_fp_ieee_invalid_op 0
		.amdhsa_exception_fp_denorm_src 0
		.amdhsa_exception_fp_ieee_div_zero 0
		.amdhsa_exception_fp_ieee_overflow 0
		.amdhsa_exception_fp_ieee_underflow 0
		.amdhsa_exception_fp_ieee_inexact 0
		.amdhsa_exception_int_div_zero 0
	.end_amdhsa_kernel
	.section	.text._ZN9rocsolver6v33100L12bdsqr_rotateIffPKPfS2_S4_EEviiiiT1_iilT2_iilT3_iiliPiPT0_ilS8_,"axG",@progbits,_ZN9rocsolver6v33100L12bdsqr_rotateIffPKPfS2_S4_EEviiiiT1_iilT2_iilT3_iiliPiPT0_ilS8_,comdat
.Lfunc_end32:
	.size	_ZN9rocsolver6v33100L12bdsqr_rotateIffPKPfS2_S4_EEviiiiT1_iilT2_iilT3_iiliPiPT0_ilS8_, .Lfunc_end32-_ZN9rocsolver6v33100L12bdsqr_rotateIffPKPfS2_S4_EEviiiiT1_iilT2_iilT3_iiliPiPT0_ilS8_
                                        ; -- End function
	.section	.AMDGPU.csdata,"",@progbits
; Kernel info:
; codeLenInByte = 1616
; NumSgprs: 54
; NumVgprs: 18
; NumAgprs: 0
; TotalNumVgprs: 18
; ScratchSize: 0
; MemoryBound: 0
; FloatMode: 240
; IeeeMode: 1
; LDSByteSize: 0 bytes/workgroup (compile time only)
; SGPRBlocks: 6
; VGPRBlocks: 2
; NumSGPRsForWavesPerEU: 54
; NumVGPRsForWavesPerEU: 18
; AccumOffset: 20
; Occupancy: 8
; WaveLimiterHint : 1
; COMPUTE_PGM_RSRC2:SCRATCH_EN: 0
; COMPUTE_PGM_RSRC2:USER_SGPR: 6
; COMPUTE_PGM_RSRC2:TRAP_HANDLER: 0
; COMPUTE_PGM_RSRC2:TGID_X_EN: 1
; COMPUTE_PGM_RSRC2:TGID_Y_EN: 1
; COMPUTE_PGM_RSRC2:TGID_Z_EN: 1
; COMPUTE_PGM_RSRC2:TIDIG_COMP_CNT: 0
; COMPUTE_PGM_RSRC3_GFX90A:ACCUM_OFFSET: 4
; COMPUTE_PGM_RSRC3_GFX90A:TG_SPLIT: 0
	.section	.text._ZN9rocsolver6v33100L22bdsqr_update_endpointsIffEEviPT0_lPiS3_lS4_,"axG",@progbits,_ZN9rocsolver6v33100L22bdsqr_update_endpointsIffEEviPT0_lPiS3_lS4_,comdat
	.globl	_ZN9rocsolver6v33100L22bdsqr_update_endpointsIffEEviPT0_lPiS3_lS4_ ; -- Begin function _ZN9rocsolver6v33100L22bdsqr_update_endpointsIffEEviPT0_lPiS3_lS4_
	.p2align	8
	.type	_ZN9rocsolver6v33100L22bdsqr_update_endpointsIffEEviPT0_lPiS3_lS4_,@function
_ZN9rocsolver6v33100L22bdsqr_update_endpointsIffEEviPT0_lPiS3_lS4_: ; @_ZN9rocsolver6v33100L22bdsqr_update_endpointsIffEEviPT0_lPiS3_lS4_
; %bb.0:
	s_load_dwordx4 s[0:3], s[4:5], 0x28
	s_ashr_i32 s9, s8, 31
	s_lshl_b64 s[10:11], s[8:9], 2
	s_waitcnt lgkmcnt(0)
	s_add_u32 s2, s2, s10
	s_addc_u32 s3, s3, s11
	s_load_dword s2, s[2:3], 0x8
	s_waitcnt lgkmcnt(0)
	s_cmp_lg_u32 s2, 0
	s_cbranch_scc1 .LBB33_31
; %bb.1:
	s_load_dwordx8 s[12:19], s[4:5], 0x8
	s_mul_i32 s1, s8, s1
	s_mul_hi_u32 s2, s8, s0
	s_add_i32 s1, s2, s1
	s_mul_i32 s2, s9, s0
	s_add_i32 s1, s1, s2
	s_mul_i32 s0, s8, s0
	s_lshl_b64 s[0:1], s[0:1], 2
	s_waitcnt lgkmcnt(0)
	s_add_u32 s2, s18, s0
	s_addc_u32 s3, s19, s1
	s_load_dwordx2 s[10:11], s[2:3], 0x4
	s_waitcnt lgkmcnt(0)
	v_cvt_i32_f32_e32 v4, s11
	v_cmp_ge_i32_e32 vcc, s7, v4
	s_cbranch_vccnz .LBB33_31
; %bb.2:
	s_mul_i32 s0, s8, s15
	s_mul_hi_u32 s1, s8, s14
	s_add_i32 s0, s1, s0
	s_mul_i32 s1, s9, s14
	s_load_dword s9, s[4:5], 0x0
	s_load_dword s18, s[4:5], 0x3c
	s_add_i32 s1, s0, s1
	s_mul_i32 s0, s8, s14
	s_lshl_b64 s[0:1], s[0:1], 2
	s_add_u32 s6, s12, s0
	s_waitcnt lgkmcnt(0)
	s_mul_i32 s0, s8, s9
	s_addc_u32 s11, s13, s1
	s_lshl_b32 s0, s0, 1
	s_ashr_i32 s1, s0, 31
	s_lshl_b64 s[0:1], s[0:1], 2
	s_add_u32 s19, s16, s0
	v_cvt_f32_i32_e32 v5, v4
	s_addc_u32 s20, s17, s1
	s_add_u32 s21, s6, -4
	s_addc_u32 s22, s11, -1
	v_mov_b32_e32 v6, 0
	s_branch .LBB33_4
.LBB33_3:                               ;   in Loop: Header=BB33_4 Depth=1
	s_add_i32 s7, s18, s7
	v_cmp_lt_i32_e32 vcc, s7, v4
	v_mov_b32_e32 v0, s23
	v_mov_b32_e32 v1, s16
	global_store_dwordx2 v6, v[0:1], s[4:5] offset:4
	s_cbranch_vccz .LBB33_31
.LBB33_4:                               ; =>This Loop Header: Depth=1
                                        ;     Child Loop BB33_9 Depth 2
                                        ;     Child Loop BB33_14 Depth 2
	;; [unrolled: 1-line block ×3, first 2 shown]
                                        ;       Child Loop BB33_26 Depth 3
	s_lshl_b32 s0, s7, 2
	s_ashr_i32 s1, s0, 31
	s_lshl_b64 s[0:1], s[0:1], 2
	s_add_u32 s4, s19, s0
	s_addc_u32 s5, s20, s1
	global_load_dwordx4 v[0:3], v6, s[4:5]
	s_waitcnt vmcnt(0)
	v_readfirstlane_b32 s0, v0
	s_cmp_eq_u32 s0, 0
	s_cselect_b64 s[0:1], -1, 0
	v_readfirstlane_b32 s12, v1
	v_readfirstlane_b32 s8, v2
	s_and_b64 vcc, exec, s[0:1]
	v_mov_b32_e32 v2, v3
	s_cbranch_vccnz .LBB33_6
; %bb.5:                                ;   in Loop: Header=BB33_4 Depth=1
	s_sub_i32 s9, s8, s12
	v_add_u32_e32 v2, s9, v3
	global_store_dword v6, v2, s[4:5] offset:12
.LBB33_6:                               ;   in Loop: Header=BB33_4 Depth=1
	s_cmp_le_i32 s8, s12
	s_cbranch_scc1 .LBB33_16
; %bb.7:                                ;   in Loop: Header=BB33_4 Depth=1
	s_ashr_i32 s13, s12, 31
	s_lshl_b64 s[14:15], s[12:13], 2
	s_add_u32 s14, s6, s14
	s_addc_u32 s15, s11, s15
	s_branch .LBB33_9
.LBB33_8:                               ;   in Loop: Header=BB33_9 Depth=2
	s_add_i32 s12, s12, 1
	global_store_dword v6, v6, s[14:15]
	s_add_u32 s14, s14, 4
	s_addc_u32 s15, s15, 0
	s_cmp_ge_i32 s12, s8
	s_cselect_b64 s[16:17], -1, 0
	s_mov_b32 s23, s8
	s_andn2_b64 vcc, exec, s[16:17]
	s_cbranch_vccz .LBB33_11
.LBB33_9:                               ;   Parent Loop BB33_4 Depth=1
                                        ; =>  This Inner Loop Header: Depth=2
	global_load_dword v0, v6, s[14:15]
	s_mov_b64 s[16:17], -1
	s_waitcnt vmcnt(0)
	v_cmp_nlt_f32_e64 s[24:25], |v0|, s10
	s_and_b64 vcc, exec, s[24:25]
	s_cbranch_vccz .LBB33_8
; %bb.10:                               ;   in Loop: Header=BB33_9 Depth=2
	s_mov_b32 s23, s12
                                        ; implicit-def: $sgpr12
                                        ; implicit-def: $sgpr14_sgpr15
	s_andn2_b64 vcc, exec, s[16:17]
	s_cbranch_vccnz .LBB33_9
.LBB33_11:                              ;   in Loop: Header=BB33_4 Depth=1
	s_cmp_le_i32 s8, s23
	s_cbranch_scc1 .LBB33_17
.LBB33_12:                              ;   in Loop: Header=BB33_4 Depth=1
	s_ashr_i32 s9, s8, 31
	s_lshl_b64 s[12:13], s[8:9], 2
	s_add_u32 s12, s21, s12
	s_addc_u32 s13, s22, s13
	s_branch .LBB33_14
.LBB33_13:                              ;   in Loop: Header=BB33_14 Depth=2
	s_add_i32 s8, s8, -1
	global_store_dword v6, v6, s[12:13]
	s_add_u32 s12, s12, -4
	s_addc_u32 s13, s13, -1
	s_cmp_le_i32 s8, s23
	s_cselect_b64 s[14:15], -1, 0
	s_mov_b32 s16, s23
	s_andn2_b64 vcc, exec, s[14:15]
	s_cbranch_vccz .LBB33_18
.LBB33_14:                              ;   Parent Loop BB33_4 Depth=1
                                        ; =>  This Inner Loop Header: Depth=2
	global_load_dword v0, v6, s[12:13]
	s_mov_b64 s[14:15], -1
	s_waitcnt vmcnt(0)
	v_cmp_nlt_f32_e64 s[16:17], |v0|, s10
	s_and_b64 vcc, exec, s[16:17]
	s_cbranch_vccz .LBB33_13
; %bb.15:                               ;   in Loop: Header=BB33_14 Depth=2
	s_mov_b32 s16, s8
                                        ; implicit-def: $sgpr8
                                        ; implicit-def: $sgpr12_sgpr13
	s_andn2_b64 vcc, exec, s[14:15]
	s_cbranch_vccnz .LBB33_14
	s_branch .LBB33_18
.LBB33_16:                              ;   in Loop: Header=BB33_4 Depth=1
	s_mov_b32 s23, s12
	s_cmp_le_i32 s8, s23
	s_cbranch_scc0 .LBB33_12
.LBB33_17:                              ;   in Loop: Header=BB33_4 Depth=1
	s_mov_b32 s16, s8
.LBB33_18:                              ;   in Loop: Header=BB33_4 Depth=1
	s_cmp_lt_i32 s23, s16
	s_cselect_b64 s[8:9], -1, 0
	s_and_b64 s[0:1], s[0:1], s[8:9]
	s_andn2_b64 vcc, exec, s[0:1]
	s_mov_b32 s8, s23
	s_cbranch_vccnz .LBB33_3
.LBB33_19:                              ;   Parent Loop BB33_4 Depth=1
                                        ; =>  This Loop Header: Depth=2
                                        ;       Child Loop BB33_26 Depth 3
	s_ashr_i32 s9, s8, 31
	s_lshl_b64 s[0:1], s[8:9], 2
	s_add_u32 s0, s6, s0
	s_addc_u32 s1, s11, s1
	global_load_dword v0, v6, s[0:1]
	s_mov_b64 s[12:13], -1
                                        ; implicit-def: $sgpr9
	s_waitcnt vmcnt(0)
	v_cmp_lt_f32_e64 s[14:15], |v0|, s10
	s_and_b64 vcc, exec, s[14:15]
	s_cbranch_vccz .LBB33_22
; %bb.20:                               ;   in Loop: Header=BB33_19 Depth=2
	s_andn2_b64 vcc, exec, s[12:13]
	s_cbranch_vccz .LBB33_23
.LBB33_21:                              ;   in Loop: Header=BB33_19 Depth=2
	s_cmp_lt_i32 s9, s16
	s_cbranch_scc1 .LBB33_30
	s_branch .LBB33_3
.LBB33_22:                              ;   in Loop: Header=BB33_19 Depth=2
	s_add_i32 s9, s8, 1
	s_cbranch_execnz .LBB33_21
.LBB33_23:                              ;   in Loop: Header=BB33_19 Depth=2
	s_cmp_ge_i32 s23, s8
	global_store_dword v6, v6, s[0:1]
	s_cbranch_scc1 .LBB33_29
; %bb.24:                               ;   in Loop: Header=BB33_19 Depth=2
	s_mov_b64 s[0:1], exec
	v_mbcnt_lo_u32_b32 v0, s0, 0
	v_mbcnt_hi_u32_b32 v0, s1, v0
	v_cmp_eq_u32_e32 vcc, 0, v0
                                        ; implicit-def: $vgpr1
	s_and_saveexec_b64 s[12:13], vcc
	s_cbranch_execz .LBB33_28
; %bb.25:                               ;   in Loop: Header=BB33_19 Depth=2
	global_load_dword v1, v6, s[2:3] offset:12
	s_bcnt1_i32_b64 s0, s[0:1]
	v_cvt_f32_ubyte0_e32 v3, s0
	s_mov_b64 s[14:15], 0
.LBB33_26:                              ;   Parent Loop BB33_4 Depth=1
                                        ;     Parent Loop BB33_19 Depth=2
                                        ; =>    This Inner Loop Header: Depth=3
	s_waitcnt vmcnt(0)
	v_mov_b32_e32 v9, v1
	v_add_f32_e32 v8, v9, v3
	global_atomic_cmpswap v1, v6, v[8:9], s[2:3] offset:12 glc
	s_waitcnt vmcnt(0)
	v_cmp_eq_u32_e64 s[0:1], v1, v9
	s_or_b64 s[14:15], s[0:1], s[14:15]
	s_andn2_b64 exec, exec, s[14:15]
	s_cbranch_execnz .LBB33_26
; %bb.27:                               ;   in Loop: Header=BB33_19 Depth=2
	s_or_b64 exec, exec, s[14:15]
.LBB33_28:                              ;   in Loop: Header=BB33_19 Depth=2
	s_or_b64 exec, exec, s[12:13]
	v_readfirstlane_b32 s0, v1
	v_cvt_f32_ubyte0_e32 v0, v0
	v_add_f32_e32 v0, s0, v0
	v_mov_b32_e32 v1, s0
	v_cndmask_b32_e32 v0, v0, v1, vcc
	v_add_f32_e32 v0, v0, v5
	v_cvt_i32_f32_e32 v0, v0
	v_mov_b32_e32 v3, s20
	v_lshlrev_b32_e32 v0, 2, v0
	v_ashrrev_i32_e32 v1, 31, v0
	v_lshlrev_b64 v[0:1], 2, v[0:1]
	v_add_co_u32_e32 v8, vcc, s19, v0
	v_addc_co_u32_e32 v9, vcc, v3, v1, vcc
	v_mov_b32_e32 v0, s23
	v_mov_b32_e32 v1, s8
	global_store_dwordx3 v[8:9], v[0:2], off offset:4
.LBB33_29:                              ;   in Loop: Header=BB33_19 Depth=2
	s_add_i32 s9, s8, 1
	s_mov_b32 s23, s9
	s_cmp_lt_i32 s9, s16
	s_cbranch_scc0 .LBB33_3
.LBB33_30:                              ;   in Loop: Header=BB33_19 Depth=2
	s_mov_b32 s8, s9
	s_branch .LBB33_19
.LBB33_31:
	s_endpgm
	.section	.rodata,"a",@progbits
	.p2align	6, 0x0
	.amdhsa_kernel _ZN9rocsolver6v33100L22bdsqr_update_endpointsIffEEviPT0_lPiS3_lS4_
		.amdhsa_group_segment_fixed_size 0
		.amdhsa_private_segment_fixed_size 0
		.amdhsa_kernarg_size 312
		.amdhsa_user_sgpr_count 6
		.amdhsa_user_sgpr_private_segment_buffer 1
		.amdhsa_user_sgpr_dispatch_ptr 0
		.amdhsa_user_sgpr_queue_ptr 0
		.amdhsa_user_sgpr_kernarg_segment_ptr 1
		.amdhsa_user_sgpr_dispatch_id 0
		.amdhsa_user_sgpr_flat_scratch_init 0
		.amdhsa_user_sgpr_kernarg_preload_length 0
		.amdhsa_user_sgpr_kernarg_preload_offset 0
		.amdhsa_user_sgpr_private_segment_size 0
		.amdhsa_uses_dynamic_stack 0
		.amdhsa_system_sgpr_private_segment_wavefront_offset 0
		.amdhsa_system_sgpr_workgroup_id_x 1
		.amdhsa_system_sgpr_workgroup_id_y 1
		.amdhsa_system_sgpr_workgroup_id_z 1
		.amdhsa_system_sgpr_workgroup_info 0
		.amdhsa_system_vgpr_workitem_id 0
		.amdhsa_next_free_vgpr 10
		.amdhsa_next_free_sgpr 26
		.amdhsa_accum_offset 12
		.amdhsa_reserve_vcc 1
		.amdhsa_reserve_flat_scratch 0
		.amdhsa_float_round_mode_32 0
		.amdhsa_float_round_mode_16_64 0
		.amdhsa_float_denorm_mode_32 3
		.amdhsa_float_denorm_mode_16_64 3
		.amdhsa_dx10_clamp 1
		.amdhsa_ieee_mode 1
		.amdhsa_fp16_overflow 0
		.amdhsa_tg_split 0
		.amdhsa_exception_fp_ieee_invalid_op 0
		.amdhsa_exception_fp_denorm_src 0
		.amdhsa_exception_fp_ieee_div_zero 0
		.amdhsa_exception_fp_ieee_overflow 0
		.amdhsa_exception_fp_ieee_underflow 0
		.amdhsa_exception_fp_ieee_inexact 0
		.amdhsa_exception_int_div_zero 0
	.end_amdhsa_kernel
	.section	.text._ZN9rocsolver6v33100L22bdsqr_update_endpointsIffEEviPT0_lPiS3_lS4_,"axG",@progbits,_ZN9rocsolver6v33100L22bdsqr_update_endpointsIffEEviPT0_lPiS3_lS4_,comdat
.Lfunc_end33:
	.size	_ZN9rocsolver6v33100L22bdsqr_update_endpointsIffEEviPT0_lPiS3_lS4_, .Lfunc_end33-_ZN9rocsolver6v33100L22bdsqr_update_endpointsIffEEviPT0_lPiS3_lS4_
                                        ; -- End function
	.section	.AMDGPU.csdata,"",@progbits
; Kernel info:
; codeLenInByte = 892
; NumSgprs: 30
; NumVgprs: 10
; NumAgprs: 0
; TotalNumVgprs: 10
; ScratchSize: 0
; MemoryBound: 0
; FloatMode: 240
; IeeeMode: 1
; LDSByteSize: 0 bytes/workgroup (compile time only)
; SGPRBlocks: 3
; VGPRBlocks: 1
; NumSGPRsForWavesPerEU: 30
; NumVGPRsForWavesPerEU: 10
; AccumOffset: 12
; Occupancy: 8
; WaveLimiterHint : 1
; COMPUTE_PGM_RSRC2:SCRATCH_EN: 0
; COMPUTE_PGM_RSRC2:USER_SGPR: 6
; COMPUTE_PGM_RSRC2:TRAP_HANDLER: 0
; COMPUTE_PGM_RSRC2:TGID_X_EN: 1
; COMPUTE_PGM_RSRC2:TGID_Y_EN: 1
; COMPUTE_PGM_RSRC2:TGID_Z_EN: 1
; COMPUTE_PGM_RSRC2:TIDIG_COMP_CNT: 0
; COMPUTE_PGM_RSRC3_GFX90A:ACCUM_OFFSET: 2
; COMPUTE_PGM_RSRC3_GFX90A:TG_SPLIT: 0
	.section	.text._ZN9rocsolver6v33100L19bdsqr_chk_completedIffEEviiPiPT0_lS2_,"axG",@progbits,_ZN9rocsolver6v33100L19bdsqr_chk_completedIffEEviiPiPT0_lS2_,comdat
	.globl	_ZN9rocsolver6v33100L19bdsqr_chk_completedIffEEviiPiPT0_lS2_ ; -- Begin function _ZN9rocsolver6v33100L19bdsqr_chk_completedIffEEviiPiPT0_lS2_
	.p2align	8
	.type	_ZN9rocsolver6v33100L19bdsqr_chk_completedIffEEviiPiPT0_lS2_,@function
_ZN9rocsolver6v33100L19bdsqr_chk_completedIffEEviiPiPT0_lS2_: ; @_ZN9rocsolver6v33100L19bdsqr_chk_completedIffEEviiPiPT0_lS2_
; %bb.0:
	s_load_dwordx8 s[8:15], s[4:5], 0x8
	s_mov_b32 s2, s7
	s_ashr_i32 s3, s7, 31
	s_lshl_b64 s[0:1], s[2:3], 2
	s_waitcnt lgkmcnt(0)
	s_add_u32 s0, s14, s0
	s_addc_u32 s1, s15, s1
	s_load_dword s6, s[0:1], 0x8
	s_waitcnt lgkmcnt(0)
	s_cmp_lg_u32 s6, 0
	s_cbranch_scc0 .LBB34_2
.LBB34_1:
	s_endpgm
.LBB34_2:
	s_mul_i32 s6, s2, s13
	s_mul_hi_u32 s7, s2, s12
	s_add_i32 s6, s7, s6
	s_mul_i32 s3, s3, s12
	s_add_i32 s7, s6, s3
	s_mul_i32 s6, s2, s12
	s_lshl_b64 s[6:7], s[6:7], 2
	s_add_u32 s6, s10, s6
	s_addc_u32 s7, s11, s7
	s_load_dwordx2 s[10:11], s[6:7], 0x8
	s_load_dword s3, s[14:15], 0x4
	v_mov_b32_e32 v3, 0
	s_waitcnt lgkmcnt(0)
	v_mov_b32_e32 v0, s11
	v_add_f32_e32 v0, s10, v0
	v_cvt_i32_f32_e32 v0, v0
	v_cvt_f32_i32_e32 v2, v0
	v_cmp_ge_i32_e32 vcc, s3, v0
	global_store_dwordx2 v3, v[2:3], s[6:7] offset:8
	s_cbranch_vccnz .LBB34_6
; %bb.3:
	s_mov_b64 s[6:7], 0
	v_mov_b32_e32 v1, s3
.LBB34_4:                               ; =>This Inner Loop Header: Depth=1
	global_atomic_cmpswap v1, v3, v[0:1], s[14:15] offset:4 glc
	s_waitcnt vmcnt(0)
	v_cmp_ge_i32_e32 vcc, v1, v0
	s_or_b64 s[6:7], vcc, s[6:7]
	s_andn2_b64 exec, exec, s[6:7]
	s_cbranch_execnz .LBB34_4
; %bb.5:
	s_or_b64 exec, exec, s[6:7]
.LBB34_6:
	v_cmp_gt_i32_e32 vcc, 1, v0
	s_cbranch_vccnz .LBB34_14
; %bb.7:
	s_load_dwordx2 s[4:5], s[4:5], 0x0
	v_mov_b32_e32 v1, 0
	s_waitcnt lgkmcnt(0)
	s_mul_i32 s2, s2, s4
	s_lshl_b32 s2, s2, 1
	s_ashr_i32 s3, s2, 31
	s_lshl_b64 s[2:3], s[2:3], 2
	s_add_u32 s2, s2, s8
	s_addc_u32 s3, s3, s9
	s_add_u32 s2, s2, 12
	s_addc_u32 s3, s3, 0
	s_branch .LBB34_9
.LBB34_8:                               ;   in Loop: Header=BB34_9 Depth=1
	v_add_u32_e32 v0, -1, v0
	s_add_u32 s2, s2, 16
	s_addc_u32 s3, s3, 0
	s_mov_b64 s[6:7], 0
	v_cmp_eq_u32_e64 s[8:9], 0, v0
	s_andn2_b64 vcc, exec, s[8:9]
	s_cbranch_vccz .LBB34_13
.LBB34_9:                               ; =>This Inner Loop Header: Depth=1
	global_load_dwordx2 v[2:3], v1, s[2:3] offset:-8
	s_mov_b64 s[8:9], -1
                                        ; implicit-def: $sgpr6_sgpr7
	s_waitcnt vmcnt(0)
	v_cmp_ge_i32_e32 vcc, v2, v3
	s_cbranch_vccnz .LBB34_11
; %bb.10:                               ;   in Loop: Header=BB34_9 Depth=1
	global_load_dword v2, v1, s[2:3]
	s_mov_b64 s[6:7], -1
	s_waitcnt vmcnt(0)
	v_cmp_le_i32_e64 s[8:9], s5, v2
.LBB34_11:                              ;   in Loop: Header=BB34_9 Depth=1
	s_andn2_b64 vcc, exec, s[8:9]
	s_cbranch_vccz .LBB34_8
; %bb.12:
                                        ; implicit-def: $vgpr0
                                        ; implicit-def: $sgpr2_sgpr3
.LBB34_13:
	s_xor_b64 s[2:3], s[6:7], -1
	s_and_b64 vcc, exec, s[2:3]
	s_cbranch_vccz .LBB34_1
	s_branch .LBB34_15
.LBB34_14:
	s_cbranch_execz .LBB34_1
.LBB34_15:
	s_mov_b64 s[2:3], exec
	v_mov_b32_e32 v0, 0
	v_mov_b32_e32 v1, 1
	global_store_dword v0, v1, s[0:1] offset:8
	v_mbcnt_lo_u32_b32 v1, s2, 0
	v_mbcnt_hi_u32_b32 v1, s3, v1
	v_cmp_eq_u32_e32 vcc, 0, v1
	s_and_saveexec_b64 s[0:1], vcc
	s_cbranch_execz .LBB34_1
; %bb.16:
	s_bcnt1_i32_b64 s0, s[2:3]
	v_mov_b32_e32 v1, s0
	global_atomic_add v0, v1, s[14:15]
	s_endpgm
	.section	.rodata,"a",@progbits
	.p2align	6, 0x0
	.amdhsa_kernel _ZN9rocsolver6v33100L19bdsqr_chk_completedIffEEviiPiPT0_lS2_
		.amdhsa_group_segment_fixed_size 0
		.amdhsa_private_segment_fixed_size 0
		.amdhsa_kernarg_size 40
		.amdhsa_user_sgpr_count 6
		.amdhsa_user_sgpr_private_segment_buffer 1
		.amdhsa_user_sgpr_dispatch_ptr 0
		.amdhsa_user_sgpr_queue_ptr 0
		.amdhsa_user_sgpr_kernarg_segment_ptr 1
		.amdhsa_user_sgpr_dispatch_id 0
		.amdhsa_user_sgpr_flat_scratch_init 0
		.amdhsa_user_sgpr_kernarg_preload_length 0
		.amdhsa_user_sgpr_kernarg_preload_offset 0
		.amdhsa_user_sgpr_private_segment_size 0
		.amdhsa_uses_dynamic_stack 0
		.amdhsa_system_sgpr_private_segment_wavefront_offset 0
		.amdhsa_system_sgpr_workgroup_id_x 1
		.amdhsa_system_sgpr_workgroup_id_y 1
		.amdhsa_system_sgpr_workgroup_id_z 0
		.amdhsa_system_sgpr_workgroup_info 0
		.amdhsa_system_vgpr_workitem_id 0
		.amdhsa_next_free_vgpr 4
		.amdhsa_next_free_sgpr 16
		.amdhsa_accum_offset 4
		.amdhsa_reserve_vcc 1
		.amdhsa_reserve_flat_scratch 0
		.amdhsa_float_round_mode_32 0
		.amdhsa_float_round_mode_16_64 0
		.amdhsa_float_denorm_mode_32 3
		.amdhsa_float_denorm_mode_16_64 3
		.amdhsa_dx10_clamp 1
		.amdhsa_ieee_mode 1
		.amdhsa_fp16_overflow 0
		.amdhsa_tg_split 0
		.amdhsa_exception_fp_ieee_invalid_op 0
		.amdhsa_exception_fp_denorm_src 0
		.amdhsa_exception_fp_ieee_div_zero 0
		.amdhsa_exception_fp_ieee_overflow 0
		.amdhsa_exception_fp_ieee_underflow 0
		.amdhsa_exception_fp_ieee_inexact 0
		.amdhsa_exception_int_div_zero 0
	.end_amdhsa_kernel
	.section	.text._ZN9rocsolver6v33100L19bdsqr_chk_completedIffEEviiPiPT0_lS2_,"axG",@progbits,_ZN9rocsolver6v33100L19bdsqr_chk_completedIffEEviiPiPT0_lS2_,comdat
.Lfunc_end34:
	.size	_ZN9rocsolver6v33100L19bdsqr_chk_completedIffEEviiPiPT0_lS2_, .Lfunc_end34-_ZN9rocsolver6v33100L19bdsqr_chk_completedIffEEviiPiPT0_lS2_
                                        ; -- End function
	.section	.AMDGPU.csdata,"",@progbits
; Kernel info:
; codeLenInByte = 424
; NumSgprs: 20
; NumVgprs: 4
; NumAgprs: 0
; TotalNumVgprs: 4
; ScratchSize: 0
; MemoryBound: 0
; FloatMode: 240
; IeeeMode: 1
; LDSByteSize: 0 bytes/workgroup (compile time only)
; SGPRBlocks: 2
; VGPRBlocks: 0
; NumSGPRsForWavesPerEU: 20
; NumVGPRsForWavesPerEU: 4
; AccumOffset: 4
; Occupancy: 8
; WaveLimiterHint : 0
; COMPUTE_PGM_RSRC2:SCRATCH_EN: 0
; COMPUTE_PGM_RSRC2:USER_SGPR: 6
; COMPUTE_PGM_RSRC2:TRAP_HANDLER: 0
; COMPUTE_PGM_RSRC2:TGID_X_EN: 1
; COMPUTE_PGM_RSRC2:TGID_Y_EN: 1
; COMPUTE_PGM_RSRC2:TGID_Z_EN: 0
; COMPUTE_PGM_RSRC2:TIDIG_COMP_CNT: 0
; COMPUTE_PGM_RSRC3_GFX90A:ACCUM_OFFSET: 0
; COMPUTE_PGM_RSRC3_GFX90A:TG_SPLIT: 0
	.text
	.p2align	2                               ; -- Begin function __ockl_fprintf_append_string_n
	.type	__ockl_fprintf_append_string_n,@function
__ockl_fprintf_append_string_n:         ; @__ockl_fprintf_append_string_n
; %bb.0:
	s_waitcnt vmcnt(0) expcnt(0) lgkmcnt(0)
	v_mov_b32_e32 v9, v3
	v_mov_b32_e32 v8, v2
	v_or_b32_e32 v2, 2, v0
	v_cmp_eq_u32_e32 vcc, 0, v6
	s_mov_b32 s22, 0
	v_cndmask_b32_e32 v0, v2, v0, vcc
	s_mov_b64 s[6:7], 0
	v_cmp_ne_u64_e32 vcc, 0, v[8:9]
	v_mbcnt_lo_u32_b32 v2, -1, 0
	s_and_saveexec_b64 s[4:5], vcc
	s_xor_b64 s[10:11], exec, s[4:5]
	s_cbranch_execz .LBB35_86
; %bb.1:
	s_load_dwordx2 s[12:13], s[8:9], 0x50
	v_and_b32_e32 v6, 2, v0
	v_mov_b32_e32 v31, 0
	v_and_b32_e32 v0, -3, v0
	v_mbcnt_hi_u32_b32 v32, -1, v2
	s_movk_i32 s23, 0xff1f
	v_mov_b32_e32 v12, 2
	v_mov_b32_e32 v13, 1
	s_branch .LBB35_3
.LBB35_2:                               ;   in Loop: Header=BB35_3 Depth=1
	s_or_b64 exec, exec, s[16:17]
	v_sub_co_u32_e32 v4, vcc, v4, v34
	v_subb_co_u32_e32 v5, vcc, v5, v35, vcc
	v_cmp_eq_u64_e32 vcc, 0, v[4:5]
	s_or_b64 s[6:7], vcc, s[6:7]
	v_add_co_u32_e32 v8, vcc, v8, v34
	v_addc_co_u32_e32 v9, vcc, v9, v35, vcc
	s_andn2_b64 exec, exec, s[6:7]
	s_cbranch_execz .LBB35_85
.LBB35_3:                               ; =>This Loop Header: Depth=1
                                        ;     Child Loop BB35_6 Depth 2
                                        ;     Child Loop BB35_14 Depth 2
                                        ;     Child Loop BB35_22 Depth 2
                                        ;     Child Loop BB35_30 Depth 2
                                        ;     Child Loop BB35_38 Depth 2
                                        ;     Child Loop BB35_46 Depth 2
                                        ;     Child Loop BB35_54 Depth 2
                                        ;     Child Loop BB35_62 Depth 2
                                        ;     Child Loop BB35_70 Depth 2
                                        ;     Child Loop BB35_79 Depth 2
                                        ;     Child Loop BB35_84 Depth 2
	v_cmp_gt_u64_e32 vcc, 56, v[4:5]
	v_cndmask_b32_e32 v35, 0, v5, vcc
	v_cndmask_b32_e32 v34, 56, v4, vcc
	v_cmp_gt_u64_e32 vcc, 8, v[4:5]
                                        ; implicit-def: $vgpr2_vgpr3
                                        ; implicit-def: $sgpr14
	s_and_saveexec_b64 s[4:5], vcc
	s_xor_b64 s[4:5], exec, s[4:5]
	s_cbranch_execz .LBB35_9
; %bb.4:                                ;   in Loop: Header=BB35_3 Depth=1
	s_mov_b64 s[16:17], 0
	v_cmp_ne_u64_e32 vcc, 0, v[4:5]
	s_waitcnt vmcnt(0)
	v_pk_mov_b32 v[2:3], 0, 0
	s_and_saveexec_b64 s[14:15], vcc
	s_cbranch_execz .LBB35_8
; %bb.5:                                ;   in Loop: Header=BB35_3 Depth=1
	v_lshlrev_b64 v[10:11], 3, v[34:35]
	v_pk_mov_b32 v[2:3], 0, 0
	v_pk_mov_b32 v[14:15], v[8:9], v[8:9] op_sel:[0,1]
	s_mov_b64 s[18:19], 0
.LBB35_6:                               ;   Parent Loop BB35_3 Depth=1
                                        ; =>  This Inner Loop Header: Depth=2
	flat_load_ubyte v7, v[14:15]
	v_mov_b32_e32 v17, s22
	v_add_co_u32_e32 v14, vcc, 1, v14
	v_addc_co_u32_e32 v15, vcc, 0, v15, vcc
	s_waitcnt vmcnt(0) lgkmcnt(0)
	v_and_b32_e32 v16, 0xffff, v7
	v_lshlrev_b64 v[16:17], s18, v[16:17]
	s_add_u32 s18, s18, 8
	s_addc_u32 s19, s19, 0
	v_cmp_eq_u32_e32 vcc, s18, v10
	v_or_b32_e32 v3, v17, v3
	s_or_b64 s[16:17], vcc, s[16:17]
	v_or_b32_e32 v2, v16, v2
	s_andn2_b64 exec, exec, s[16:17]
	s_cbranch_execnz .LBB35_6
; %bb.7:                                ;   in Loop: Header=BB35_3 Depth=1
	s_or_b64 exec, exec, s[16:17]
.LBB35_8:                               ;   in Loop: Header=BB35_3 Depth=1
	s_or_b64 exec, exec, s[14:15]
	s_mov_b32 s14, 0
.LBB35_9:                               ;   in Loop: Header=BB35_3 Depth=1
	s_or_saveexec_b64 s[4:5], s[4:5]
	v_mov_b32_e32 v7, s14
	v_pk_mov_b32 v[10:11], v[8:9], v[8:9] op_sel:[0,1]
	s_xor_b64 exec, exec, s[4:5]
	s_cbranch_execz .LBB35_11
; %bb.10:                               ;   in Loop: Header=BB35_3 Depth=1
	s_waitcnt vmcnt(0)
	flat_load_dwordx2 v[2:3], v[8:9]
	v_add_u32_e32 v7, -8, v34
	s_waitcnt vmcnt(0) lgkmcnt(0)
	v_and_b32_e32 v10, 0xff, v3
	v_and_b32_e32 v11, 0xff00, v3
	;; [unrolled: 1-line block ×4, first 2 shown]
	v_or_b32_e32 v10, v10, v11
	v_or3_b32 v3, v10, v14, v3
	v_add_co_u32_e32 v10, vcc, 8, v8
	v_or3_b32 v2, v2, 0, 0
	v_addc_co_u32_e32 v11, vcc, 0, v9, vcc
.LBB35_11:                              ;   in Loop: Header=BB35_3 Depth=1
	s_or_b64 exec, exec, s[4:5]
	v_cmp_gt_u32_e32 vcc, 8, v7
                                        ; implicit-def: $vgpr14_vgpr15
                                        ; implicit-def: $sgpr14
	s_and_saveexec_b64 s[4:5], vcc
	s_xor_b64 s[4:5], exec, s[4:5]
	s_cbranch_execz .LBB35_17
; %bb.12:                               ;   in Loop: Header=BB35_3 Depth=1
	v_cmp_ne_u32_e32 vcc, 0, v7
	v_pk_mov_b32 v[14:15], 0, 0
	s_and_saveexec_b64 s[14:15], vcc
	s_cbranch_execz .LBB35_16
; %bb.13:                               ;   in Loop: Header=BB35_3 Depth=1
	s_mov_b64 s[16:17], 0
	v_pk_mov_b32 v[14:15], 0, 0
	s_mov_b64 s[18:19], 0
	s_mov_b64 s[20:21], 0
.LBB35_14:                              ;   Parent Loop BB35_3 Depth=1
                                        ; =>  This Inner Loop Header: Depth=2
	v_mov_b32_e32 v17, s21
	v_add_co_u32_e32 v16, vcc, s20, v10
	v_addc_co_u32_e32 v17, vcc, v11, v17, vcc
	flat_load_ubyte v16, v[16:17]
	s_add_u32 s20, s20, 1
	v_mov_b32_e32 v17, s22
	s_addc_u32 s21, s21, 0
	v_cmp_eq_u32_e32 vcc, s20, v7
	s_waitcnt vmcnt(0) lgkmcnt(0)
	v_and_b32_e32 v16, 0xffff, v16
	v_lshlrev_b64 v[16:17], s18, v[16:17]
	s_add_u32 s18, s18, 8
	s_addc_u32 s19, s19, 0
	v_or_b32_e32 v15, v17, v15
	s_or_b64 s[16:17], vcc, s[16:17]
	v_or_b32_e32 v14, v16, v14
	s_andn2_b64 exec, exec, s[16:17]
	s_cbranch_execnz .LBB35_14
; %bb.15:                               ;   in Loop: Header=BB35_3 Depth=1
	s_or_b64 exec, exec, s[16:17]
.LBB35_16:                              ;   in Loop: Header=BB35_3 Depth=1
	s_or_b64 exec, exec, s[14:15]
	s_mov_b32 s14, 0
                                        ; implicit-def: $vgpr7
.LBB35_17:                              ;   in Loop: Header=BB35_3 Depth=1
	s_or_saveexec_b64 s[4:5], s[4:5]
	v_mov_b32_e32 v18, s14
	s_xor_b64 exec, exec, s[4:5]
	s_cbranch_execz .LBB35_19
; %bb.18:                               ;   in Loop: Header=BB35_3 Depth=1
	flat_load_dwordx2 v[14:15], v[10:11]
	v_add_u32_e32 v18, -8, v7
	v_add_co_u32_e32 v10, vcc, 8, v10
	v_addc_co_u32_e32 v11, vcc, 0, v11, vcc
	s_waitcnt vmcnt(0) lgkmcnt(0)
	v_and_b32_e32 v7, 0xff, v15
	v_and_b32_e32 v16, 0xff00, v15
	;; [unrolled: 1-line block ×4, first 2 shown]
	v_or_b32_e32 v7, v7, v16
	v_or3_b32 v14, v14, 0, 0
	v_or3_b32 v15, v7, v17, v15
.LBB35_19:                              ;   in Loop: Header=BB35_3 Depth=1
	s_or_b64 exec, exec, s[4:5]
	v_cmp_gt_u32_e32 vcc, 8, v18
                                        ; implicit-def: $sgpr14
	s_and_saveexec_b64 s[4:5], vcc
	s_xor_b64 s[4:5], exec, s[4:5]
	s_cbranch_execz .LBB35_25
; %bb.20:                               ;   in Loop: Header=BB35_3 Depth=1
	v_cmp_ne_u32_e32 vcc, 0, v18
	v_pk_mov_b32 v[16:17], 0, 0
	s_and_saveexec_b64 s[14:15], vcc
	s_cbranch_execz .LBB35_24
; %bb.21:                               ;   in Loop: Header=BB35_3 Depth=1
	s_mov_b64 s[16:17], 0
	v_pk_mov_b32 v[16:17], 0, 0
	s_mov_b64 s[18:19], 0
	s_mov_b64 s[20:21], 0
.LBB35_22:                              ;   Parent Loop BB35_3 Depth=1
                                        ; =>  This Inner Loop Header: Depth=2
	v_mov_b32_e32 v7, s21
	v_add_co_u32_e32 v20, vcc, s20, v10
	v_addc_co_u32_e32 v21, vcc, v11, v7, vcc
	flat_load_ubyte v7, v[20:21]
	s_add_u32 s20, s20, 1
	v_mov_b32_e32 v21, s22
	s_addc_u32 s21, s21, 0
	v_cmp_eq_u32_e32 vcc, s20, v18
	s_waitcnt vmcnt(0) lgkmcnt(0)
	v_and_b32_e32 v20, 0xffff, v7
	v_lshlrev_b64 v[20:21], s18, v[20:21]
	s_add_u32 s18, s18, 8
	s_addc_u32 s19, s19, 0
	v_or_b32_e32 v17, v21, v17
	s_or_b64 s[16:17], vcc, s[16:17]
	v_or_b32_e32 v16, v20, v16
	s_andn2_b64 exec, exec, s[16:17]
	s_cbranch_execnz .LBB35_22
; %bb.23:                               ;   in Loop: Header=BB35_3 Depth=1
	s_or_b64 exec, exec, s[16:17]
.LBB35_24:                              ;   in Loop: Header=BB35_3 Depth=1
	s_or_b64 exec, exec, s[14:15]
	s_mov_b32 s14, 0
                                        ; implicit-def: $vgpr18
.LBB35_25:                              ;   in Loop: Header=BB35_3 Depth=1
	s_or_saveexec_b64 s[4:5], s[4:5]
	v_mov_b32_e32 v7, s14
	s_xor_b64 exec, exec, s[4:5]
	s_cbranch_execz .LBB35_27
; %bb.26:                               ;   in Loop: Header=BB35_3 Depth=1
	flat_load_dwordx2 v[16:17], v[10:11]
	v_add_u32_e32 v7, -8, v18
	v_add_co_u32_e32 v10, vcc, 8, v10
	v_addc_co_u32_e32 v11, vcc, 0, v11, vcc
	s_waitcnt vmcnt(0) lgkmcnt(0)
	v_and_b32_e32 v18, 0xff, v17
	v_and_b32_e32 v19, 0xff00, v17
	v_and_b32_e32 v20, 0xff0000, v17
	v_and_b32_e32 v17, 0xff000000, v17
	v_or_b32_e32 v18, v18, v19
	v_or3_b32 v16, v16, 0, 0
	v_or3_b32 v17, v18, v20, v17
.LBB35_27:                              ;   in Loop: Header=BB35_3 Depth=1
	s_or_b64 exec, exec, s[4:5]
	v_cmp_gt_u32_e32 vcc, 8, v7
                                        ; implicit-def: $vgpr18_vgpr19
                                        ; implicit-def: $sgpr14
	s_and_saveexec_b64 s[4:5], vcc
	s_xor_b64 s[4:5], exec, s[4:5]
	s_cbranch_execz .LBB35_33
; %bb.28:                               ;   in Loop: Header=BB35_3 Depth=1
	v_cmp_ne_u32_e32 vcc, 0, v7
	v_pk_mov_b32 v[18:19], 0, 0
	s_and_saveexec_b64 s[14:15], vcc
	s_cbranch_execz .LBB35_32
; %bb.29:                               ;   in Loop: Header=BB35_3 Depth=1
	s_mov_b64 s[16:17], 0
	v_pk_mov_b32 v[18:19], 0, 0
	s_mov_b64 s[18:19], 0
	s_mov_b64 s[20:21], 0
.LBB35_30:                              ;   Parent Loop BB35_3 Depth=1
                                        ; =>  This Inner Loop Header: Depth=2
	v_mov_b32_e32 v21, s21
	v_add_co_u32_e32 v20, vcc, s20, v10
	v_addc_co_u32_e32 v21, vcc, v11, v21, vcc
	flat_load_ubyte v20, v[20:21]
	s_add_u32 s20, s20, 1
	v_mov_b32_e32 v21, s22
	s_addc_u32 s21, s21, 0
	v_cmp_eq_u32_e32 vcc, s20, v7
	s_waitcnt vmcnt(0) lgkmcnt(0)
	v_and_b32_e32 v20, 0xffff, v20
	v_lshlrev_b64 v[20:21], s18, v[20:21]
	s_add_u32 s18, s18, 8
	s_addc_u32 s19, s19, 0
	v_or_b32_e32 v19, v21, v19
	s_or_b64 s[16:17], vcc, s[16:17]
	v_or_b32_e32 v18, v20, v18
	s_andn2_b64 exec, exec, s[16:17]
	s_cbranch_execnz .LBB35_30
; %bb.31:                               ;   in Loop: Header=BB35_3 Depth=1
	s_or_b64 exec, exec, s[16:17]
.LBB35_32:                              ;   in Loop: Header=BB35_3 Depth=1
	s_or_b64 exec, exec, s[14:15]
	s_mov_b32 s14, 0
                                        ; implicit-def: $vgpr7
.LBB35_33:                              ;   in Loop: Header=BB35_3 Depth=1
	s_or_saveexec_b64 s[4:5], s[4:5]
	v_mov_b32_e32 v22, s14
	s_xor_b64 exec, exec, s[4:5]
	s_cbranch_execz .LBB35_35
; %bb.34:                               ;   in Loop: Header=BB35_3 Depth=1
	flat_load_dwordx2 v[18:19], v[10:11]
	v_add_u32_e32 v22, -8, v7
	v_add_co_u32_e32 v10, vcc, 8, v10
	v_addc_co_u32_e32 v11, vcc, 0, v11, vcc
	s_waitcnt vmcnt(0) lgkmcnt(0)
	v_and_b32_e32 v7, 0xff, v19
	v_and_b32_e32 v20, 0xff00, v19
	;; [unrolled: 1-line block ×4, first 2 shown]
	v_or_b32_e32 v7, v7, v20
	v_or3_b32 v18, v18, 0, 0
	v_or3_b32 v19, v7, v21, v19
.LBB35_35:                              ;   in Loop: Header=BB35_3 Depth=1
	s_or_b64 exec, exec, s[4:5]
	v_cmp_gt_u32_e32 vcc, 8, v22
                                        ; implicit-def: $sgpr14
	s_and_saveexec_b64 s[4:5], vcc
	s_xor_b64 s[4:5], exec, s[4:5]
	s_cbranch_execz .LBB35_41
; %bb.36:                               ;   in Loop: Header=BB35_3 Depth=1
	v_cmp_ne_u32_e32 vcc, 0, v22
	v_pk_mov_b32 v[20:21], 0, 0
	s_and_saveexec_b64 s[14:15], vcc
	s_cbranch_execz .LBB35_40
; %bb.37:                               ;   in Loop: Header=BB35_3 Depth=1
	s_mov_b64 s[16:17], 0
	v_pk_mov_b32 v[20:21], 0, 0
	s_mov_b64 s[18:19], 0
	s_mov_b64 s[20:21], 0
.LBB35_38:                              ;   Parent Loop BB35_3 Depth=1
                                        ; =>  This Inner Loop Header: Depth=2
	v_mov_b32_e32 v7, s21
	v_add_co_u32_e32 v24, vcc, s20, v10
	v_addc_co_u32_e32 v25, vcc, v11, v7, vcc
	flat_load_ubyte v7, v[24:25]
	s_add_u32 s20, s20, 1
	v_mov_b32_e32 v25, s22
	s_addc_u32 s21, s21, 0
	v_cmp_eq_u32_e32 vcc, s20, v22
	s_waitcnt vmcnt(0) lgkmcnt(0)
	v_and_b32_e32 v24, 0xffff, v7
	v_lshlrev_b64 v[24:25], s18, v[24:25]
	s_add_u32 s18, s18, 8
	s_addc_u32 s19, s19, 0
	v_or_b32_e32 v21, v25, v21
	s_or_b64 s[16:17], vcc, s[16:17]
	v_or_b32_e32 v20, v24, v20
	s_andn2_b64 exec, exec, s[16:17]
	s_cbranch_execnz .LBB35_38
; %bb.39:                               ;   in Loop: Header=BB35_3 Depth=1
	s_or_b64 exec, exec, s[16:17]
.LBB35_40:                              ;   in Loop: Header=BB35_3 Depth=1
	s_or_b64 exec, exec, s[14:15]
	s_mov_b32 s14, 0
                                        ; implicit-def: $vgpr22
.LBB35_41:                              ;   in Loop: Header=BB35_3 Depth=1
	s_or_saveexec_b64 s[4:5], s[4:5]
	v_mov_b32_e32 v7, s14
	s_xor_b64 exec, exec, s[4:5]
	s_cbranch_execz .LBB35_43
; %bb.42:                               ;   in Loop: Header=BB35_3 Depth=1
	flat_load_dwordx2 v[20:21], v[10:11]
	v_add_u32_e32 v7, -8, v22
	v_add_co_u32_e32 v10, vcc, 8, v10
	v_addc_co_u32_e32 v11, vcc, 0, v11, vcc
	s_waitcnt vmcnt(0) lgkmcnt(0)
	v_and_b32_e32 v22, 0xff, v21
	v_and_b32_e32 v23, 0xff00, v21
	v_and_b32_e32 v24, 0xff0000, v21
	v_and_b32_e32 v21, 0xff000000, v21
	v_or_b32_e32 v22, v22, v23
	v_or3_b32 v20, v20, 0, 0
	v_or3_b32 v21, v22, v24, v21
.LBB35_43:                              ;   in Loop: Header=BB35_3 Depth=1
	s_or_b64 exec, exec, s[4:5]
	v_cmp_gt_u32_e32 vcc, 8, v7
                                        ; implicit-def: $vgpr22_vgpr23
                                        ; implicit-def: $sgpr14
	s_and_saveexec_b64 s[4:5], vcc
	s_xor_b64 s[4:5], exec, s[4:5]
	s_cbranch_execz .LBB35_49
; %bb.44:                               ;   in Loop: Header=BB35_3 Depth=1
	v_cmp_ne_u32_e32 vcc, 0, v7
	v_pk_mov_b32 v[22:23], 0, 0
	s_and_saveexec_b64 s[14:15], vcc
	s_cbranch_execz .LBB35_48
; %bb.45:                               ;   in Loop: Header=BB35_3 Depth=1
	s_mov_b64 s[16:17], 0
	v_pk_mov_b32 v[22:23], 0, 0
	s_mov_b64 s[18:19], 0
	s_mov_b64 s[20:21], 0
.LBB35_46:                              ;   Parent Loop BB35_3 Depth=1
                                        ; =>  This Inner Loop Header: Depth=2
	v_mov_b32_e32 v25, s21
	v_add_co_u32_e32 v24, vcc, s20, v10
	v_addc_co_u32_e32 v25, vcc, v11, v25, vcc
	flat_load_ubyte v24, v[24:25]
	s_add_u32 s20, s20, 1
	v_mov_b32_e32 v25, s22
	s_addc_u32 s21, s21, 0
	v_cmp_eq_u32_e32 vcc, s20, v7
	s_waitcnt vmcnt(0) lgkmcnt(0)
	v_and_b32_e32 v24, 0xffff, v24
	v_lshlrev_b64 v[24:25], s18, v[24:25]
	s_add_u32 s18, s18, 8
	s_addc_u32 s19, s19, 0
	v_or_b32_e32 v23, v25, v23
	s_or_b64 s[16:17], vcc, s[16:17]
	v_or_b32_e32 v22, v24, v22
	s_andn2_b64 exec, exec, s[16:17]
	s_cbranch_execnz .LBB35_46
; %bb.47:                               ;   in Loop: Header=BB35_3 Depth=1
	s_or_b64 exec, exec, s[16:17]
.LBB35_48:                              ;   in Loop: Header=BB35_3 Depth=1
	s_or_b64 exec, exec, s[14:15]
	s_mov_b32 s14, 0
                                        ; implicit-def: $vgpr7
.LBB35_49:                              ;   in Loop: Header=BB35_3 Depth=1
	s_or_saveexec_b64 s[4:5], s[4:5]
	v_mov_b32_e32 v26, s14
	s_xor_b64 exec, exec, s[4:5]
	s_cbranch_execz .LBB35_51
; %bb.50:                               ;   in Loop: Header=BB35_3 Depth=1
	flat_load_dwordx2 v[22:23], v[10:11]
	v_add_u32_e32 v26, -8, v7
	v_add_co_u32_e32 v10, vcc, 8, v10
	v_addc_co_u32_e32 v11, vcc, 0, v11, vcc
	s_waitcnt vmcnt(0) lgkmcnt(0)
	v_and_b32_e32 v7, 0xff, v23
	v_and_b32_e32 v24, 0xff00, v23
	;; [unrolled: 1-line block ×4, first 2 shown]
	v_or_b32_e32 v7, v7, v24
	v_or3_b32 v22, v22, 0, 0
	v_or3_b32 v23, v7, v25, v23
.LBB35_51:                              ;   in Loop: Header=BB35_3 Depth=1
	s_or_b64 exec, exec, s[4:5]
	v_cmp_gt_u32_e32 vcc, 8, v26
	s_and_saveexec_b64 s[4:5], vcc
	s_xor_b64 s[4:5], exec, s[4:5]
	s_cbranch_execz .LBB35_57
; %bb.52:                               ;   in Loop: Header=BB35_3 Depth=1
	v_cmp_ne_u32_e32 vcc, 0, v26
	v_pk_mov_b32 v[24:25], 0, 0
	s_and_saveexec_b64 s[14:15], vcc
	s_cbranch_execz .LBB35_56
; %bb.53:                               ;   in Loop: Header=BB35_3 Depth=1
	s_mov_b64 s[16:17], 0
	v_pk_mov_b32 v[24:25], 0, 0
	s_mov_b64 s[18:19], 0
.LBB35_54:                              ;   Parent Loop BB35_3 Depth=1
                                        ; =>  This Inner Loop Header: Depth=2
	flat_load_ubyte v7, v[10:11]
	v_mov_b32_e32 v29, s22
	v_add_co_u32_e32 v10, vcc, 1, v10
	v_add_u32_e32 v26, -1, v26
	v_addc_co_u32_e32 v11, vcc, 0, v11, vcc
	v_cmp_eq_u32_e32 vcc, 0, v26
	s_waitcnt vmcnt(0) lgkmcnt(0)
	v_and_b32_e32 v28, 0xffff, v7
	v_lshlrev_b64 v[28:29], s18, v[28:29]
	s_add_u32 s18, s18, 8
	s_addc_u32 s19, s19, 0
	v_or_b32_e32 v25, v29, v25
	s_or_b64 s[16:17], vcc, s[16:17]
	v_or_b32_e32 v24, v28, v24
	s_andn2_b64 exec, exec, s[16:17]
	s_cbranch_execnz .LBB35_54
; %bb.55:                               ;   in Loop: Header=BB35_3 Depth=1
	s_or_b64 exec, exec, s[16:17]
.LBB35_56:                              ;   in Loop: Header=BB35_3 Depth=1
	s_or_b64 exec, exec, s[14:15]
                                        ; implicit-def: $vgpr10_vgpr11
.LBB35_57:                              ;   in Loop: Header=BB35_3 Depth=1
	s_andn2_saveexec_b64 s[4:5], s[4:5]
	s_cbranch_execz .LBB35_59
; %bb.58:                               ;   in Loop: Header=BB35_3 Depth=1
	flat_load_dwordx2 v[10:11], v[10:11]
	s_waitcnt vmcnt(0) lgkmcnt(0)
	v_and_b32_e32 v7, 0xff, v11
	v_and_b32_e32 v24, 0xff00, v11
	;; [unrolled: 1-line block ×4, first 2 shown]
	v_or_b32_e32 v7, v7, v24
	v_or3_b32 v25, v7, v25, v11
	v_or3_b32 v24, v10, 0, 0
.LBB35_59:                              ;   in Loop: Header=BB35_3 Depth=1
	s_or_b64 exec, exec, s[4:5]
	v_readfirstlane_b32 s4, v32
	v_cmp_eq_u32_e64 s[4:5], s4, v32
	v_pk_mov_b32 v[10:11], 0, 0
	s_and_saveexec_b64 s[14:15], s[4:5]
	s_cbranch_execz .LBB35_65
; %bb.60:                               ;   in Loop: Header=BB35_3 Depth=1
	s_waitcnt lgkmcnt(0)
	global_load_dwordx2 v[28:29], v31, s[12:13] offset:24 glc
	s_waitcnt vmcnt(0)
	buffer_invl2
	buffer_wbinvl1_vol
	global_load_dwordx2 v[10:11], v31, s[12:13] offset:40
	global_load_dwordx2 v[26:27], v31, s[12:13]
	s_waitcnt vmcnt(1)
	v_and_b32_e32 v7, v10, v28
	v_and_b32_e32 v10, v11, v29
	v_mul_lo_u32 v10, v10, 24
	v_mul_hi_u32 v11, v7, 24
	v_mul_lo_u32 v7, v7, 24
	v_add_u32_e32 v11, v11, v10
	s_waitcnt vmcnt(0)
	v_add_co_u32_e32 v10, vcc, v26, v7
	v_addc_co_u32_e32 v11, vcc, v27, v11, vcc
	global_load_dwordx2 v[26:27], v[10:11], off glc
	s_waitcnt vmcnt(0)
	global_atomic_cmpswap_x2 v[10:11], v31, v[26:29], s[12:13] offset:24 glc
	s_waitcnt vmcnt(0)
	buffer_invl2
	buffer_wbinvl1_vol
	v_cmp_ne_u64_e32 vcc, v[10:11], v[28:29]
	s_and_saveexec_b64 s[16:17], vcc
	s_cbranch_execz .LBB35_64
; %bb.61:                               ;   in Loop: Header=BB35_3 Depth=1
	s_mov_b64 s[18:19], 0
.LBB35_62:                              ;   Parent Loop BB35_3 Depth=1
                                        ; =>  This Inner Loop Header: Depth=2
	s_sleep 1
	global_load_dwordx2 v[26:27], v31, s[12:13] offset:40
	global_load_dwordx2 v[36:37], v31, s[12:13]
	v_pk_mov_b32 v[28:29], v[10:11], v[10:11] op_sel:[0,1]
	s_waitcnt vmcnt(1)
	v_and_b32_e32 v10, v26, v28
	s_waitcnt vmcnt(0)
	v_mad_u64_u32 v[10:11], s[20:21], v10, 24, v[36:37]
	v_and_b32_e32 v7, v27, v29
	v_mov_b32_e32 v26, v11
	v_mad_u64_u32 v[26:27], s[20:21], v7, 24, v[26:27]
	v_mov_b32_e32 v11, v26
	global_load_dwordx2 v[26:27], v[10:11], off glc
	s_waitcnt vmcnt(0)
	global_atomic_cmpswap_x2 v[10:11], v31, v[26:29], s[12:13] offset:24 glc
	s_waitcnt vmcnt(0)
	buffer_invl2
	buffer_wbinvl1_vol
	v_cmp_eq_u64_e32 vcc, v[10:11], v[28:29]
	s_or_b64 s[18:19], vcc, s[18:19]
	s_andn2_b64 exec, exec, s[18:19]
	s_cbranch_execnz .LBB35_62
; %bb.63:                               ;   in Loop: Header=BB35_3 Depth=1
	s_or_b64 exec, exec, s[18:19]
.LBB35_64:                              ;   in Loop: Header=BB35_3 Depth=1
	s_or_b64 exec, exec, s[16:17]
.LBB35_65:                              ;   in Loop: Header=BB35_3 Depth=1
	s_or_b64 exec, exec, s[14:15]
	s_waitcnt lgkmcnt(0)
	global_load_dwordx2 v[36:37], v31, s[12:13] offset:40
	global_load_dwordx4 v[26:29], v31, s[12:13]
	v_readfirstlane_b32 s14, v10
	v_readfirstlane_b32 s15, v11
	s_mov_b64 s[16:17], exec
	s_waitcnt vmcnt(1)
	v_readfirstlane_b32 s18, v36
	v_readfirstlane_b32 s19, v37
	s_and_b64 s[18:19], s[14:15], s[18:19]
	s_mul_i32 s20, s19, 24
	s_mul_hi_u32 s21, s18, 24
	s_mul_i32 s24, s18, 24
	s_add_i32 s20, s21, s20
	v_mov_b32_e32 v7, s20
	s_waitcnt vmcnt(0)
	v_add_co_u32_e32 v36, vcc, s24, v26
	v_addc_co_u32_e32 v37, vcc, v27, v7, vcc
	s_and_saveexec_b64 s[20:21], s[4:5]
	s_cbranch_execz .LBB35_67
; %bb.66:                               ;   in Loop: Header=BB35_3 Depth=1
	v_pk_mov_b32 v[10:11], s[16:17], s[16:17] op_sel:[0,1]
	global_store_dwordx4 v[36:37], v[10:13], off offset:8
.LBB35_67:                              ;   in Loop: Header=BB35_3 Depth=1
	s_or_b64 exec, exec, s[20:21]
	s_lshl_b64 s[16:17], s[18:19], 12
	v_mov_b32_e32 v7, s17
	v_add_co_u32_e32 v10, vcc, s16, v28
	v_addc_co_u32_e32 v7, vcc, v29, v7, vcc
	v_or_b32_e32 v11, 0, v1
	v_cmp_lt_u64_e32 vcc, 56, v[4:5]
	v_or_b32_e32 v28, v0, v6
	v_cndmask_b32_e32 v1, v11, v1, vcc
	v_lshl_add_u32 v11, v34, 2, 28
	v_cndmask_b32_e32 v0, v28, v0, vcc
	v_and_b32_e32 v11, 0x1e0, v11
	v_and_or_b32 v0, v0, s23, v11
	v_lshlrev_b32_e32 v11, 6, v32
	v_readfirstlane_b32 s16, v10
	v_readfirstlane_b32 s17, v7
	s_nop 4
	global_store_dwordx4 v11, v[0:3], s[16:17]
	global_store_dwordx4 v11, v[14:17], s[16:17] offset:16
	global_store_dwordx4 v11, v[18:21], s[16:17] offset:32
	;; [unrolled: 1-line block ×3, first 2 shown]
	s_and_saveexec_b64 s[16:17], s[4:5]
	s_cbranch_execz .LBB35_75
; %bb.68:                               ;   in Loop: Header=BB35_3 Depth=1
	global_load_dwordx2 v[18:19], v31, s[12:13] offset:32 glc
	global_load_dwordx2 v[0:1], v31, s[12:13] offset:40
	v_mov_b32_e32 v16, s14
	v_mov_b32_e32 v17, s15
	s_waitcnt vmcnt(0)
	v_readfirstlane_b32 s18, v0
	v_readfirstlane_b32 s19, v1
	s_and_b64 s[18:19], s[18:19], s[14:15]
	s_mul_i32 s19, s19, 24
	s_mul_hi_u32 s20, s18, 24
	s_mul_i32 s18, s18, 24
	s_add_i32 s19, s20, s19
	v_mov_b32_e32 v0, s19
	v_add_co_u32_e32 v14, vcc, s18, v26
	v_addc_co_u32_e32 v15, vcc, v27, v0, vcc
	global_store_dwordx2 v[14:15], v[18:19], off
	buffer_wbl2
	s_waitcnt vmcnt(0)
	global_atomic_cmpswap_x2 v[2:3], v31, v[16:19], s[12:13] offset:32 glc
	s_waitcnt vmcnt(0)
	v_cmp_ne_u64_e32 vcc, v[2:3], v[18:19]
	s_and_saveexec_b64 s[18:19], vcc
	s_cbranch_execz .LBB35_71
; %bb.69:                               ;   in Loop: Header=BB35_3 Depth=1
	s_mov_b64 s[20:21], 0
.LBB35_70:                              ;   Parent Loop BB35_3 Depth=1
                                        ; =>  This Inner Loop Header: Depth=2
	s_sleep 1
	global_store_dwordx2 v[14:15], v[2:3], off
	v_mov_b32_e32 v0, s14
	v_mov_b32_e32 v1, s15
	buffer_wbl2
	s_waitcnt vmcnt(0)
	global_atomic_cmpswap_x2 v[0:1], v31, v[0:3], s[12:13] offset:32 glc
	s_waitcnt vmcnt(0)
	v_cmp_eq_u64_e32 vcc, v[0:1], v[2:3]
	s_or_b64 s[20:21], vcc, s[20:21]
	v_pk_mov_b32 v[2:3], v[0:1], v[0:1] op_sel:[0,1]
	s_andn2_b64 exec, exec, s[20:21]
	s_cbranch_execnz .LBB35_70
.LBB35_71:                              ;   in Loop: Header=BB35_3 Depth=1
	s_or_b64 exec, exec, s[18:19]
	global_load_dwordx2 v[0:1], v31, s[12:13] offset:16
	s_mov_b64 s[20:21], exec
	v_mbcnt_lo_u32_b32 v2, s20, 0
	v_mbcnt_hi_u32_b32 v2, s21, v2
	v_cmp_eq_u32_e32 vcc, 0, v2
	s_and_saveexec_b64 s[18:19], vcc
	s_cbranch_execz .LBB35_73
; %bb.72:                               ;   in Loop: Header=BB35_3 Depth=1
	s_bcnt1_i32_b64 s20, s[20:21]
	v_mov_b32_e32 v30, s20
	buffer_wbl2
	s_waitcnt vmcnt(0)
	global_atomic_add_x2 v[0:1], v[30:31], off offset:8
.LBB35_73:                              ;   in Loop: Header=BB35_3 Depth=1
	s_or_b64 exec, exec, s[18:19]
	s_waitcnt vmcnt(0)
	global_load_dwordx2 v[2:3], v[0:1], off offset:16
	s_waitcnt vmcnt(0)
	v_cmp_eq_u64_e32 vcc, 0, v[2:3]
	s_cbranch_vccnz .LBB35_75
; %bb.74:                               ;   in Loop: Header=BB35_3 Depth=1
	global_load_dword v30, v[0:1], off offset:24
	s_waitcnt vmcnt(0)
	v_and_b32_e32 v0, 0xffffff, v30
	v_readfirstlane_b32 m0, v0
	buffer_wbl2
	global_store_dwordx2 v[2:3], v[30:31], off
	s_sendmsg sendmsg(MSG_INTERRUPT)
.LBB35_75:                              ;   in Loop: Header=BB35_3 Depth=1
	s_or_b64 exec, exec, s[16:17]
	v_add_co_u32_e32 v0, vcc, v10, v11
	v_addc_co_u32_e32 v1, vcc, 0, v7, vcc
	s_branch .LBB35_79
.LBB35_76:                              ;   in Loop: Header=BB35_79 Depth=2
	s_or_b64 exec, exec, s[16:17]
	v_readfirstlane_b32 s16, v2
	s_cmp_eq_u32 s16, 0
	s_cbranch_scc1 .LBB35_78
; %bb.77:                               ;   in Loop: Header=BB35_79 Depth=2
	s_sleep 1
	s_cbranch_execnz .LBB35_79
	s_branch .LBB35_81
.LBB35_78:                              ;   in Loop: Header=BB35_3 Depth=1
	s_branch .LBB35_81
.LBB35_79:                              ;   Parent Loop BB35_3 Depth=1
                                        ; =>  This Inner Loop Header: Depth=2
	v_mov_b32_e32 v2, 1
	s_and_saveexec_b64 s[16:17], s[4:5]
	s_cbranch_execz .LBB35_76
; %bb.80:                               ;   in Loop: Header=BB35_79 Depth=2
	global_load_dword v2, v[36:37], off offset:20 glc
	s_waitcnt vmcnt(0)
	buffer_invl2
	buffer_wbinvl1_vol
	v_and_b32_e32 v2, 1, v2
	s_branch .LBB35_76
.LBB35_81:                              ;   in Loop: Header=BB35_3 Depth=1
	global_load_dwordx4 v[0:3], v[0:1], off
	s_and_saveexec_b64 s[16:17], s[4:5]
	s_cbranch_execz .LBB35_2
; %bb.82:                               ;   in Loop: Header=BB35_3 Depth=1
	global_load_dwordx2 v[2:3], v31, s[12:13] offset:40
	global_load_dwordx2 v[10:11], v31, s[12:13] offset:24 glc
	global_load_dwordx2 v[18:19], v31, s[12:13]
	v_mov_b32_e32 v7, s15
	s_waitcnt vmcnt(2)
	v_add_co_u32_e32 v17, vcc, 1, v2
	v_addc_co_u32_e32 v20, vcc, 0, v3, vcc
	v_add_co_u32_e32 v14, vcc, s14, v17
	v_addc_co_u32_e32 v15, vcc, v20, v7, vcc
	v_cmp_eq_u64_e32 vcc, 0, v[14:15]
	v_cndmask_b32_e32 v15, v15, v20, vcc
	v_cndmask_b32_e32 v14, v14, v17, vcc
	v_and_b32_e32 v3, v15, v3
	v_and_b32_e32 v2, v14, v2
	v_mul_lo_u32 v3, v3, 24
	v_mul_hi_u32 v7, v2, 24
	v_mul_lo_u32 v2, v2, 24
	v_add_u32_e32 v3, v7, v3
	s_waitcnt vmcnt(0)
	v_add_co_u32_e32 v2, vcc, v18, v2
	v_addc_co_u32_e32 v3, vcc, v19, v3, vcc
	v_mov_b32_e32 v16, v10
	global_store_dwordx2 v[2:3], v[10:11], off
	v_mov_b32_e32 v17, v11
	buffer_wbl2
	s_waitcnt vmcnt(0)
	global_atomic_cmpswap_x2 v[16:17], v31, v[14:17], s[12:13] offset:24 glc
	s_waitcnt vmcnt(0)
	v_cmp_ne_u64_e32 vcc, v[16:17], v[10:11]
	s_and_b64 exec, exec, vcc
	s_cbranch_execz .LBB35_2
; %bb.83:                               ;   in Loop: Header=BB35_3 Depth=1
	s_mov_b64 s[4:5], 0
.LBB35_84:                              ;   Parent Loop BB35_3 Depth=1
                                        ; =>  This Inner Loop Header: Depth=2
	s_sleep 1
	global_store_dwordx2 v[2:3], v[16:17], off
	buffer_wbl2
	s_waitcnt vmcnt(0)
	global_atomic_cmpswap_x2 v[10:11], v31, v[14:17], s[12:13] offset:24 glc
	s_waitcnt vmcnt(0)
	v_cmp_eq_u64_e32 vcc, v[10:11], v[16:17]
	s_or_b64 s[4:5], vcc, s[4:5]
	v_pk_mov_b32 v[16:17], v[10:11], v[10:11] op_sel:[0,1]
	s_andn2_b64 exec, exec, s[4:5]
	s_cbranch_execnz .LBB35_84
	s_branch .LBB35_2
.LBB35_85:
	s_or_b64 exec, exec, s[6:7]
                                        ; implicit-def: $vgpr0
                                        ; implicit-def: $vgpr1
                                        ; implicit-def: $vgpr2
.LBB35_86:
	s_andn2_saveexec_b64 s[6:7], s[10:11]
	s_cbranch_execz .LBB35_109
; %bb.87:
	s_load_dwordx2 s[8:9], s[8:9], 0x50
	s_waitcnt vmcnt(0)
	v_mbcnt_hi_u32_b32 v3, -1, v2
	v_readfirstlane_b32 s4, v3
	v_cmp_eq_u32_e64 s[4:5], s4, v3
	v_pk_mov_b32 v[8:9], 0, 0
	s_and_saveexec_b64 s[10:11], s[4:5]
	s_cbranch_execz .LBB35_93
; %bb.88:
	v_mov_b32_e32 v2, 0
	s_waitcnt lgkmcnt(0)
	global_load_dwordx2 v[6:7], v2, s[8:9] offset:24 glc
	s_waitcnt vmcnt(0)
	buffer_invl2
	buffer_wbinvl1_vol
	global_load_dwordx2 v[4:5], v2, s[8:9] offset:40
	global_load_dwordx2 v[8:9], v2, s[8:9]
	s_waitcnt vmcnt(1)
	v_and_b32_e32 v4, v4, v6
	v_and_b32_e32 v5, v5, v7
	v_mul_lo_u32 v5, v5, 24
	v_mul_hi_u32 v10, v4, 24
	v_mul_lo_u32 v4, v4, 24
	v_add_u32_e32 v5, v10, v5
	s_waitcnt vmcnt(0)
	v_add_co_u32_e32 v4, vcc, v8, v4
	v_addc_co_u32_e32 v5, vcc, v9, v5, vcc
	global_load_dwordx2 v[4:5], v[4:5], off glc
	s_waitcnt vmcnt(0)
	global_atomic_cmpswap_x2 v[8:9], v2, v[4:7], s[8:9] offset:24 glc
	s_waitcnt vmcnt(0)
	buffer_invl2
	buffer_wbinvl1_vol
	v_cmp_ne_u64_e32 vcc, v[8:9], v[6:7]
	s_and_saveexec_b64 s[12:13], vcc
	s_cbranch_execz .LBB35_92
; %bb.89:
	s_mov_b64 s[14:15], 0
.LBB35_90:                              ; =>This Inner Loop Header: Depth=1
	s_sleep 1
	global_load_dwordx2 v[4:5], v2, s[8:9] offset:40
	global_load_dwordx2 v[10:11], v2, s[8:9]
	v_pk_mov_b32 v[6:7], v[8:9], v[8:9] op_sel:[0,1]
	s_waitcnt vmcnt(1)
	v_and_b32_e32 v4, v4, v6
	v_and_b32_e32 v9, v5, v7
	s_waitcnt vmcnt(0)
	v_mad_u64_u32 v[4:5], s[16:17], v4, 24, v[10:11]
	v_mov_b32_e32 v8, v5
	v_mad_u64_u32 v[8:9], s[16:17], v9, 24, v[8:9]
	v_mov_b32_e32 v5, v8
	global_load_dwordx2 v[4:5], v[4:5], off glc
	s_waitcnt vmcnt(0)
	global_atomic_cmpswap_x2 v[8:9], v2, v[4:7], s[8:9] offset:24 glc
	s_waitcnt vmcnt(0)
	buffer_invl2
	buffer_wbinvl1_vol
	v_cmp_eq_u64_e32 vcc, v[8:9], v[6:7]
	s_or_b64 s[14:15], vcc, s[14:15]
	s_andn2_b64 exec, exec, s[14:15]
	s_cbranch_execnz .LBB35_90
; %bb.91:
	s_or_b64 exec, exec, s[14:15]
.LBB35_92:
	s_or_b64 exec, exec, s[12:13]
.LBB35_93:
	s_or_b64 exec, exec, s[10:11]
	v_mov_b32_e32 v2, 0
	s_waitcnt lgkmcnt(0)
	global_load_dwordx2 v[10:11], v2, s[8:9] offset:40
	global_load_dwordx4 v[4:7], v2, s[8:9]
	v_readfirstlane_b32 s10, v8
	v_readfirstlane_b32 s11, v9
	s_mov_b64 s[12:13], exec
	s_waitcnt vmcnt(1)
	v_readfirstlane_b32 s14, v10
	v_readfirstlane_b32 s15, v11
	s_and_b64 s[14:15], s[10:11], s[14:15]
	s_mul_i32 s16, s15, 24
	s_mul_hi_u32 s17, s14, 24
	s_mul_i32 s18, s14, 24
	s_add_i32 s16, s17, s16
	v_mov_b32_e32 v9, s16
	s_waitcnt vmcnt(0)
	v_add_co_u32_e32 v8, vcc, s18, v4
	v_addc_co_u32_e32 v9, vcc, v5, v9, vcc
	s_and_saveexec_b64 s[16:17], s[4:5]
	s_cbranch_execz .LBB35_95
; %bb.94:
	v_pk_mov_b32 v[10:11], s[12:13], s[12:13] op_sel:[0,1]
	v_mov_b32_e32 v12, 2
	v_mov_b32_e32 v13, 1
	global_store_dwordx4 v[8:9], v[10:13], off offset:8
.LBB35_95:
	s_or_b64 exec, exec, s[16:17]
	s_lshl_b64 s[12:13], s[14:15], 12
	v_mov_b32_e32 v10, s13
	v_add_co_u32_e32 v6, vcc, s12, v6
	s_movk_i32 s12, 0xff1f
	v_addc_co_u32_e32 v7, vcc, v7, v10, vcc
	v_and_or_b32 v0, v0, s12, 32
	s_mov_b32 s12, 0
	v_lshlrev_b32_e32 v10, 6, v3
	v_mov_b32_e32 v3, v2
	v_readfirstlane_b32 s16, v6
	v_readfirstlane_b32 s17, v7
	s_mov_b32 s13, s12
	s_mov_b32 s14, s12
	;; [unrolled: 1-line block ×3, first 2 shown]
	s_nop 1
	global_store_dwordx4 v10, v[0:3], s[16:17]
	s_nop 0
	v_pk_mov_b32 v[0:1], s[12:13], s[12:13] op_sel:[0,1]
	v_pk_mov_b32 v[2:3], s[14:15], s[14:15] op_sel:[0,1]
	global_store_dwordx4 v10, v[0:3], s[16:17] offset:16
	global_store_dwordx4 v10, v[0:3], s[16:17] offset:32
	global_store_dwordx4 v10, v[0:3], s[16:17] offset:48
	s_and_saveexec_b64 s[12:13], s[4:5]
	s_cbranch_execz .LBB35_103
; %bb.96:
	v_mov_b32_e32 v6, 0
	global_load_dwordx2 v[12:13], v6, s[8:9] offset:32 glc
	global_load_dwordx2 v[0:1], v6, s[8:9] offset:40
	v_mov_b32_e32 v10, s10
	v_mov_b32_e32 v11, s11
	s_waitcnt vmcnt(0)
	v_and_b32_e32 v0, s10, v0
	v_and_b32_e32 v1, s11, v1
	v_mul_lo_u32 v1, v1, 24
	v_mul_hi_u32 v2, v0, 24
	v_mul_lo_u32 v0, v0, 24
	v_add_u32_e32 v1, v2, v1
	v_add_co_u32_e32 v4, vcc, v4, v0
	v_addc_co_u32_e32 v5, vcc, v5, v1, vcc
	global_store_dwordx2 v[4:5], v[12:13], off
	buffer_wbl2
	s_waitcnt vmcnt(0)
	global_atomic_cmpswap_x2 v[2:3], v6, v[10:13], s[8:9] offset:32 glc
	s_waitcnt vmcnt(0)
	v_cmp_ne_u64_e32 vcc, v[2:3], v[12:13]
	s_and_saveexec_b64 s[14:15], vcc
	s_cbranch_execz .LBB35_99
; %bb.97:
	s_mov_b64 s[16:17], 0
.LBB35_98:                              ; =>This Inner Loop Header: Depth=1
	s_sleep 1
	global_store_dwordx2 v[4:5], v[2:3], off
	v_mov_b32_e32 v0, s10
	v_mov_b32_e32 v1, s11
	buffer_wbl2
	s_waitcnt vmcnt(0)
	global_atomic_cmpswap_x2 v[0:1], v6, v[0:3], s[8:9] offset:32 glc
	s_waitcnt vmcnt(0)
	v_cmp_eq_u64_e32 vcc, v[0:1], v[2:3]
	s_or_b64 s[16:17], vcc, s[16:17]
	v_pk_mov_b32 v[2:3], v[0:1], v[0:1] op_sel:[0,1]
	s_andn2_b64 exec, exec, s[16:17]
	s_cbranch_execnz .LBB35_98
.LBB35_99:
	s_or_b64 exec, exec, s[14:15]
	v_mov_b32_e32 v3, 0
	global_load_dwordx2 v[0:1], v3, s[8:9] offset:16
	s_mov_b64 s[14:15], exec
	v_mbcnt_lo_u32_b32 v2, s14, 0
	v_mbcnt_hi_u32_b32 v2, s15, v2
	v_cmp_eq_u32_e32 vcc, 0, v2
	s_and_saveexec_b64 s[16:17], vcc
	s_cbranch_execz .LBB35_101
; %bb.100:
	s_bcnt1_i32_b64 s14, s[14:15]
	v_mov_b32_e32 v2, s14
	buffer_wbl2
	s_waitcnt vmcnt(0)
	global_atomic_add_x2 v[0:1], v[2:3], off offset:8
.LBB35_101:
	s_or_b64 exec, exec, s[16:17]
	s_waitcnt vmcnt(0)
	global_load_dwordx2 v[2:3], v[0:1], off offset:16
	s_waitcnt vmcnt(0)
	v_cmp_eq_u64_e32 vcc, 0, v[2:3]
	s_cbranch_vccnz .LBB35_103
; %bb.102:
	global_load_dword v0, v[0:1], off offset:24
	v_mov_b32_e32 v1, 0
	buffer_wbl2
	s_waitcnt vmcnt(0)
	global_store_dwordx2 v[2:3], v[0:1], off
	v_and_b32_e32 v0, 0xffffff, v0
	v_readfirstlane_b32 m0, v0
	s_sendmsg sendmsg(MSG_INTERRUPT)
.LBB35_103:
	s_or_b64 exec, exec, s[12:13]
	s_branch .LBB35_107
.LBB35_104:                             ;   in Loop: Header=BB35_107 Depth=1
	s_or_b64 exec, exec, s[12:13]
	v_readfirstlane_b32 s12, v0
	s_cmp_eq_u32 s12, 0
	s_cbranch_scc1 .LBB35_106
; %bb.105:                              ;   in Loop: Header=BB35_107 Depth=1
	s_sleep 1
	s_cbranch_execnz .LBB35_107
	s_branch .LBB35_110
.LBB35_106:
	s_branch .LBB35_110
.LBB35_107:                             ; =>This Inner Loop Header: Depth=1
	v_mov_b32_e32 v0, 1
	s_and_saveexec_b64 s[12:13], s[4:5]
	s_cbranch_execz .LBB35_104
; %bb.108:                              ;   in Loop: Header=BB35_107 Depth=1
	global_load_dword v0, v[8:9], off offset:20 glc
	s_waitcnt vmcnt(0)
	buffer_invl2
	buffer_wbinvl1_vol
	v_and_b32_e32 v0, 1, v0
	s_branch .LBB35_104
.LBB35_109:
	s_or_b64 exec, exec, s[6:7]
	s_waitcnt vmcnt(0) lgkmcnt(0)
	s_setpc_b64 s[30:31]
.LBB35_110:
	s_and_saveexec_b64 s[12:13], s[4:5]
	s_cbranch_execz .LBB35_113
; %bb.111:
	v_mov_b32_e32 v6, 0
	global_load_dwordx2 v[4:5], v6, s[8:9] offset:40
	global_load_dwordx2 v[8:9], v6, s[8:9] offset:24 glc
	global_load_dwordx2 v[10:11], v6, s[8:9]
	v_mov_b32_e32 v1, s11
	s_mov_b64 s[4:5], 0
	s_waitcnt vmcnt(2)
	v_add_co_u32_e32 v3, vcc, 1, v4
	v_addc_co_u32_e32 v7, vcc, 0, v5, vcc
	v_add_co_u32_e32 v0, vcc, s10, v3
	v_addc_co_u32_e32 v1, vcc, v7, v1, vcc
	v_cmp_eq_u64_e32 vcc, 0, v[0:1]
	v_cndmask_b32_e32 v1, v1, v7, vcc
	v_cndmask_b32_e32 v0, v0, v3, vcc
	v_and_b32_e32 v3, v1, v5
	v_and_b32_e32 v4, v0, v4
	v_mul_lo_u32 v3, v3, 24
	v_mul_hi_u32 v5, v4, 24
	v_mul_lo_u32 v4, v4, 24
	v_add_u32_e32 v3, v5, v3
	s_waitcnt vmcnt(0)
	v_add_co_u32_e32 v4, vcc, v10, v4
	v_addc_co_u32_e32 v5, vcc, v11, v3, vcc
	v_mov_b32_e32 v2, v8
	global_store_dwordx2 v[4:5], v[8:9], off
	v_mov_b32_e32 v3, v9
	buffer_wbl2
	s_waitcnt vmcnt(0)
	global_atomic_cmpswap_x2 v[2:3], v6, v[0:3], s[8:9] offset:24 glc
	s_waitcnt vmcnt(0)
	v_cmp_ne_u64_e32 vcc, v[2:3], v[8:9]
	s_and_b64 exec, exec, vcc
	s_cbranch_execz .LBB35_113
.LBB35_112:                             ; =>This Inner Loop Header: Depth=1
	s_sleep 1
	global_store_dwordx2 v[4:5], v[2:3], off
	buffer_wbl2
	s_waitcnt vmcnt(0)
	global_atomic_cmpswap_x2 v[8:9], v6, v[0:3], s[8:9] offset:24 glc
	s_waitcnt vmcnt(0)
	v_cmp_eq_u64_e32 vcc, v[8:9], v[2:3]
	s_or_b64 s[4:5], vcc, s[4:5]
	v_pk_mov_b32 v[2:3], v[8:9], v[8:9] op_sel:[0,1]
	s_andn2_b64 exec, exec, s[4:5]
	s_cbranch_execnz .LBB35_112
.LBB35_113:
	s_or_b64 exec, exec, s[12:13]
	s_or_b64 exec, exec, s[6:7]
	s_waitcnt vmcnt(0) lgkmcnt(0)
	s_setpc_b64 s[30:31]
.Lfunc_end35:
	.size	__ockl_fprintf_append_string_n, .Lfunc_end35-__ockl_fprintf_append_string_n
                                        ; -- End function
	.section	.AMDGPU.csdata,"",@progbits
; Function info:
; codeLenInByte = 4372
; NumSgprs: 36
; NumVgprs: 38
; NumAgprs: 0
; TotalNumVgprs: 38
; ScratchSize: 0
; MemoryBound: 0
	.text
	.p2align	2                               ; -- Begin function __assert_fail
	.type	__assert_fail,@function
__assert_fail:                          ; @__assert_fail
; %bb.0:
	s_waitcnt vmcnt(0) expcnt(0) lgkmcnt(0)
	s_mov_b32 s25, s33
	s_mov_b32 s33, s32
	s_or_saveexec_b64 s[4:5], -1
	buffer_store_dword v40, off, s[0:3], s33 offset:48 ; 4-byte Folded Spill
	s_mov_b64 exec, s[4:5]
	v_writelane_b32 v40, s30, 0
	s_addk_i32 s32, 0x1000
	v_writelane_b32 v40, s31, 1
	s_getpc_b64 s[4:5]
	s_add_u32 s4, s4, __const.__assert_fail.fmt@rel32@lo+4
	s_addc_u32 s5, s5, __const.__assert_fail.fmt@rel32@hi+12
	s_load_dwordx4 s[4:7], s[4:5], 0x0
	v_mov_b32_e32 v4, v0
	v_mov_b32_e32 v0, 0xa2e
	buffer_store_short v0, off, s[0:3], s33 offset:44
	v_mov_b32_e32 v0, 0x64656c69
	buffer_store_dword v0, off, s[0:3], s33 offset:40
	v_mov_b32_e32 v0, 0x61662027
	s_getpc_b64 s[10:11]
	s_add_u32 s10, s10, __const.__assert_fail.fmt@rel32@lo+20
	s_addc_u32 s11, s11, __const.__assert_fail.fmt@rel32@hi+28
	buffer_store_dword v0, off, s[0:3], s33 offset:36
	v_mov_b32_e32 v0, 0x73256020
	s_load_dwordx4 s[12:15], s[10:11], 0x0
	buffer_store_dword v0, off, s[0:3], s33 offset:32
	s_waitcnt lgkmcnt(0)
	v_mov_b32_e32 v0, s7
	buffer_store_dword v0, off, s[0:3], s33 offset:12
	v_mov_b32_e32 v0, s6
	buffer_store_dword v0, off, s[0:3], s33 offset:8
	;; [unrolled: 2-line block ×3, first 2 shown]
	v_mov_b32_e32 v0, s4
	buffer_store_dword v0, off, s[0:3], s33
	v_mov_b32_e32 v0, s15
	buffer_store_dword v0, off, s[0:3], s33 offset:28
	v_mov_b32_e32 v0, s14
	buffer_store_dword v0, off, s[0:3], s33 offset:24
	;; [unrolled: 2-line block ×3, first 2 shown]
	v_mov_b32_e32 v0, s12
	s_load_dwordx2 s[10:11], s[8:9], 0x50
	buffer_store_dword v0, off, s[0:3], s33 offset:16
	v_mbcnt_lo_u32_b32 v0, -1, 0
	v_mbcnt_hi_u32_b32 v37, -1, v0
	v_readfirstlane_b32 s4, v37
	v_mov_b32_e32 v5, v1
	v_mov_b32_e32 v8, 0
	v_cmp_eq_u32_e64 s[4:5], s4, v37
	v_pk_mov_b32 v[6:7], 0, 0
	buffer_store_byte v8, off, s[0:3], s33 offset:46
	s_and_saveexec_b64 s[6:7], s[4:5]
	s_cbranch_execz .LBB36_6
; %bb.1:
	s_waitcnt lgkmcnt(0)
	global_load_dwordx2 v[2:3], v8, s[10:11] offset:24 glc
	s_waitcnt vmcnt(0)
	buffer_invl2
	buffer_wbinvl1_vol
	global_load_dwordx2 v[0:1], v8, s[10:11] offset:40
	global_load_dwordx2 v[6:7], v8, s[10:11]
	s_waitcnt vmcnt(1)
	v_and_b32_e32 v0, v0, v2
	v_and_b32_e32 v1, v1, v3
	v_mul_lo_u32 v1, v1, 24
	v_mul_hi_u32 v9, v0, 24
	v_mul_lo_u32 v0, v0, 24
	v_add_u32_e32 v1, v9, v1
	s_waitcnt vmcnt(0)
	v_add_co_u32_e32 v0, vcc, v6, v0
	v_addc_co_u32_e32 v1, vcc, v7, v1, vcc
	global_load_dwordx2 v[0:1], v[0:1], off glc
	s_waitcnt vmcnt(0)
	global_atomic_cmpswap_x2 v[6:7], v8, v[0:3], s[10:11] offset:24 glc
	s_waitcnt vmcnt(0)
	buffer_invl2
	buffer_wbinvl1_vol
	v_cmp_ne_u64_e32 vcc, v[6:7], v[2:3]
	s_and_saveexec_b64 s[12:13], vcc
	s_cbranch_execz .LBB36_5
; %bb.2:
	s_mov_b64 s[14:15], 0
.LBB36_3:                               ; =>This Inner Loop Header: Depth=1
	s_sleep 1
	global_load_dwordx2 v[0:1], v8, s[10:11] offset:40
	global_load_dwordx2 v[10:11], v8, s[10:11]
	v_pk_mov_b32 v[2:3], v[6:7], v[6:7] op_sel:[0,1]
	s_waitcnt vmcnt(1)
	v_and_b32_e32 v0, v0, v2
	v_and_b32_e32 v7, v1, v3
	s_waitcnt vmcnt(0)
	v_mad_u64_u32 v[0:1], s[16:17], v0, 24, v[10:11]
	v_mov_b32_e32 v6, v1
	v_mad_u64_u32 v[6:7], s[16:17], v7, 24, v[6:7]
	v_mov_b32_e32 v1, v6
	global_load_dwordx2 v[0:1], v[0:1], off glc
	s_waitcnt vmcnt(0)
	global_atomic_cmpswap_x2 v[6:7], v8, v[0:3], s[10:11] offset:24 glc
	s_waitcnt vmcnt(0)
	buffer_invl2
	buffer_wbinvl1_vol
	v_cmp_eq_u64_e32 vcc, v[6:7], v[2:3]
	s_or_b64 s[14:15], vcc, s[14:15]
	s_andn2_b64 exec, exec, s[14:15]
	s_cbranch_execnz .LBB36_3
; %bb.4:
	s_or_b64 exec, exec, s[14:15]
.LBB36_5:
	s_or_b64 exec, exec, s[12:13]
.LBB36_6:
	s_or_b64 exec, exec, s[6:7]
	s_waitcnt lgkmcnt(0)
	global_load_dwordx2 v[10:11], v8, s[10:11] offset:40
	global_load_dwordx4 v[0:3], v8, s[10:11]
	v_readfirstlane_b32 s6, v6
	v_readfirstlane_b32 s7, v7
	s_mov_b64 s[12:13], exec
	s_waitcnt vmcnt(1)
	v_readfirstlane_b32 s14, v10
	v_readfirstlane_b32 s15, v11
	s_and_b64 s[14:15], s[6:7], s[14:15]
	s_mul_i32 s16, s15, 24
	s_mul_hi_u32 s17, s14, 24
	s_mul_i32 s18, s14, 24
	s_add_i32 s16, s17, s16
	v_mov_b32_e32 v6, s16
	s_waitcnt vmcnt(0)
	v_add_co_u32_e32 v10, vcc, s18, v0
	v_addc_co_u32_e32 v11, vcc, v1, v6, vcc
	s_and_saveexec_b64 s[16:17], s[4:5]
	s_cbranch_execz .LBB36_8
; %bb.7:
	v_pk_mov_b32 v[6:7], s[12:13], s[12:13] op_sel:[0,1]
	v_mov_b32_e32 v8, 2
	v_mov_b32_e32 v9, 1
	global_store_dwordx4 v[10:11], v[6:9], off offset:8
.LBB36_8:
	s_or_b64 exec, exec, s[16:17]
	s_lshl_b64 s[12:13], s[14:15], 12
	v_mov_b32_e32 v6, s13
	v_add_co_u32_e32 v2, vcc, s12, v2
	s_mov_b32 s12, 0
	v_addc_co_u32_e32 v3, vcc, v3, v6, vcc
	v_lshlrev_b32_e32 v36, 6, v37
	s_mov_b32 s14, s12
	s_mov_b32 s15, s12
	v_mov_b32_e32 v7, 0
	v_add_co_u32_e32 v12, vcc, v2, v36
	s_mov_b32 s13, s12
	v_pk_mov_b32 v[16:17], s[14:15], s[14:15] op_sel:[0,1]
	v_addc_co_u32_e32 v13, vcc, 0, v3, vcc
	v_mov_b32_e32 v6, 33
	v_mov_b32_e32 v8, 1
	;; [unrolled: 1-line block ×3, first 2 shown]
	v_readfirstlane_b32 s16, v2
	v_readfirstlane_b32 s17, v3
	v_pk_mov_b32 v[14:15], s[12:13], s[12:13] op_sel:[0,1]
	s_nop 3
	global_store_dwordx4 v36, v[6:9], s[16:17]
	global_store_dwordx4 v36, v[14:17], s[16:17] offset:16
	global_store_dwordx4 v36, v[14:17], s[16:17] offset:32
	;; [unrolled: 1-line block ×3, first 2 shown]
	s_and_saveexec_b64 s[12:13], s[4:5]
	s_cbranch_execz .LBB36_16
; %bb.9:
	global_load_dwordx2 v[16:17], v7, s[10:11] offset:32 glc
	global_load_dwordx2 v[2:3], v7, s[10:11] offset:40
	v_mov_b32_e32 v14, s6
	v_mov_b32_e32 v15, s7
	s_waitcnt vmcnt(0)
	v_and_b32_e32 v2, s6, v2
	v_and_b32_e32 v3, s7, v3
	v_mul_lo_u32 v3, v3, 24
	v_mul_hi_u32 v6, v2, 24
	v_mul_lo_u32 v2, v2, 24
	v_add_u32_e32 v3, v6, v3
	v_add_co_u32_e32 v8, vcc, v0, v2
	v_addc_co_u32_e32 v9, vcc, v1, v3, vcc
	global_store_dwordx2 v[8:9], v[16:17], off
	buffer_wbl2
	s_waitcnt vmcnt(0)
	global_atomic_cmpswap_x2 v[2:3], v7, v[14:17], s[10:11] offset:32 glc
	s_waitcnt vmcnt(0)
	v_cmp_ne_u64_e32 vcc, v[2:3], v[16:17]
	s_and_saveexec_b64 s[14:15], vcc
	s_cbranch_execz .LBB36_12
; %bb.10:
	s_mov_b64 s[16:17], 0
.LBB36_11:                              ; =>This Inner Loop Header: Depth=1
	s_sleep 1
	global_store_dwordx2 v[8:9], v[2:3], off
	v_mov_b32_e32 v0, s6
	v_mov_b32_e32 v1, s7
	buffer_wbl2
	s_waitcnt vmcnt(0)
	global_atomic_cmpswap_x2 v[0:1], v7, v[0:3], s[10:11] offset:32 glc
	s_waitcnt vmcnt(0)
	v_cmp_eq_u64_e32 vcc, v[0:1], v[2:3]
	s_or_b64 s[16:17], vcc, s[16:17]
	v_pk_mov_b32 v[2:3], v[0:1], v[0:1] op_sel:[0,1]
	s_andn2_b64 exec, exec, s[16:17]
	s_cbranch_execnz .LBB36_11
.LBB36_12:
	s_or_b64 exec, exec, s[14:15]
	v_mov_b32_e32 v3, 0
	global_load_dwordx2 v[0:1], v3, s[10:11] offset:16
	s_mov_b64 s[14:15], exec
	v_mbcnt_lo_u32_b32 v2, s14, 0
	v_mbcnt_hi_u32_b32 v2, s15, v2
	v_cmp_eq_u32_e32 vcc, 0, v2
	s_and_saveexec_b64 s[16:17], vcc
	s_cbranch_execz .LBB36_14
; %bb.13:
	s_bcnt1_i32_b64 s14, s[14:15]
	v_mov_b32_e32 v2, s14
	buffer_wbl2
	s_waitcnt vmcnt(0)
	global_atomic_add_x2 v[0:1], v[2:3], off offset:8
.LBB36_14:
	s_or_b64 exec, exec, s[16:17]
	s_waitcnt vmcnt(0)
	global_load_dwordx2 v[2:3], v[0:1], off offset:16
	s_waitcnt vmcnt(0)
	v_cmp_eq_u64_e32 vcc, 0, v[2:3]
	s_cbranch_vccnz .LBB36_16
; %bb.15:
	global_load_dword v0, v[0:1], off offset:24
	v_mov_b32_e32 v1, 0
	buffer_wbl2
	s_waitcnt vmcnt(0)
	global_store_dwordx2 v[2:3], v[0:1], off
	v_and_b32_e32 v0, 0xffffff, v0
	v_readfirstlane_b32 m0, v0
	s_sendmsg sendmsg(MSG_INTERRUPT)
.LBB36_16:
	s_or_b64 exec, exec, s[12:13]
	s_branch .LBB36_20
.LBB36_17:                              ;   in Loop: Header=BB36_20 Depth=1
	s_or_b64 exec, exec, s[12:13]
	v_readfirstlane_b32 s12, v0
	s_cmp_eq_u32 s12, 0
	s_cbranch_scc1 .LBB36_19
; %bb.18:                               ;   in Loop: Header=BB36_20 Depth=1
	s_sleep 1
	s_cbranch_execnz .LBB36_20
	s_branch .LBB36_22
.LBB36_19:
	s_branch .LBB36_22
.LBB36_20:                              ; =>This Inner Loop Header: Depth=1
	v_mov_b32_e32 v0, 1
	s_and_saveexec_b64 s[12:13], s[4:5]
	s_cbranch_execz .LBB36_17
; %bb.21:                               ;   in Loop: Header=BB36_20 Depth=1
	global_load_dword v0, v[10:11], off offset:20 glc
	s_waitcnt vmcnt(0)
	buffer_invl2
	buffer_wbinvl1_vol
	v_and_b32_e32 v0, 1, v0
	s_branch .LBB36_17
.LBB36_22:
	global_load_dwordx2 v[6:7], v[12:13], off
	s_and_saveexec_b64 s[12:13], s[4:5]
	s_cbranch_execz .LBB36_25
; %bb.23:
	v_mov_b32_e32 v10, 0
	global_load_dwordx2 v[8:9], v10, s[10:11] offset:40
	global_load_dwordx2 v[12:13], v10, s[10:11] offset:24 glc
	global_load_dwordx2 v[14:15], v10, s[10:11]
	v_mov_b32_e32 v1, s7
	s_mov_b64 s[4:5], 0
	s_waitcnt vmcnt(2)
	v_add_co_u32_e32 v3, vcc, 1, v8
	v_addc_co_u32_e32 v11, vcc, 0, v9, vcc
	v_add_co_u32_e32 v0, vcc, s6, v3
	v_addc_co_u32_e32 v1, vcc, v11, v1, vcc
	v_cmp_eq_u64_e32 vcc, 0, v[0:1]
	v_cndmask_b32_e32 v1, v1, v11, vcc
	v_cndmask_b32_e32 v0, v0, v3, vcc
	v_and_b32_e32 v3, v1, v9
	v_and_b32_e32 v8, v0, v8
	v_mul_lo_u32 v3, v3, 24
	v_mul_hi_u32 v9, v8, 24
	v_mul_lo_u32 v8, v8, 24
	v_add_u32_e32 v3, v9, v3
	s_waitcnt vmcnt(0)
	v_add_co_u32_e32 v8, vcc, v14, v8
	v_addc_co_u32_e32 v9, vcc, v15, v3, vcc
	v_mov_b32_e32 v2, v12
	global_store_dwordx2 v[8:9], v[12:13], off
	v_mov_b32_e32 v3, v13
	buffer_wbl2
	s_waitcnt vmcnt(0)
	global_atomic_cmpswap_x2 v[2:3], v10, v[0:3], s[10:11] offset:24 glc
	s_waitcnt vmcnt(0)
	v_cmp_ne_u64_e32 vcc, v[2:3], v[12:13]
	s_and_b64 exec, exec, vcc
	s_cbranch_execz .LBB36_25
.LBB36_24:                              ; =>This Inner Loop Header: Depth=1
	s_sleep 1
	global_store_dwordx2 v[8:9], v[2:3], off
	buffer_wbl2
	s_waitcnt vmcnt(0)
	global_atomic_cmpswap_x2 v[12:13], v10, v[0:3], s[10:11] offset:24 glc
	s_waitcnt vmcnt(0)
	v_cmp_eq_u64_e32 vcc, v[12:13], v[2:3]
	s_or_b64 s[4:5], vcc, s[4:5]
	v_pk_mov_b32 v[2:3], v[12:13], v[12:13] op_sel:[0,1]
	s_andn2_b64 exec, exec, s[4:5]
	s_cbranch_execnz .LBB36_24
.LBB36_25:
	s_or_b64 exec, exec, s[12:13]
	v_lshrrev_b32_e64 v1, 6, s33
	s_mov_b64 s[4:5], 0
.LBB36_26:                              ; =>This Inner Loop Header: Depth=1
	buffer_load_ubyte v2, v1, s[0:3], 0 offen
	v_add_u32_e32 v0, 1, v1
	v_mov_b32_e32 v1, v0
	s_waitcnt vmcnt(0)
	v_cmp_eq_u16_e32 vcc, 0, v2
	s_or_b64 s[4:5], vcc, s[4:5]
	s_andn2_b64 exec, exec, s[4:5]
	s_cbranch_execnz .LBB36_26
; %bb.27:
	s_or_b64 exec, exec, s[4:5]
	v_lshrrev_b32_e64 v31, 6, s33
	v_cmp_ne_u32_e32 vcc, -1, v31
	s_cbranch_vccz .LBB36_112
; %bb.28:
	v_lshrrev_b32_e64 v1, 6, s33
	v_subrev_u32_e32 v28, v1, v0
	v_ashrrev_i32_e32 v29, 31, v28
	v_and_b32_e32 v30, 2, v6
	v_mov_b32_e32 v33, 0
	v_and_b32_e32 v0, -3, v6
	v_mov_b32_e32 v1, v7
	s_mov_b64 s[12:13], 0
	s_mov_b32 s20, 0
	s_movk_i32 s21, 0xff1f
	v_mov_b32_e32 v10, 2
	v_mov_b32_e32 v11, 1
	s_branch .LBB36_30
.LBB36_29:                              ;   in Loop: Header=BB36_30 Depth=1
	s_or_b64 exec, exec, s[6:7]
	v_sub_co_u32_e32 v28, vcc, v28, v38
	v_subb_co_u32_e32 v29, vcc, v29, v39, vcc
	v_cmp_eq_u64_e32 vcc, 0, v[28:29]
	s_or_b64 s[12:13], vcc, s[12:13]
	v_add_u32_e32 v31, v31, v38
	s_andn2_b64 exec, exec, s[12:13]
	s_cbranch_execz .LBB36_113
.LBB36_30:                              ; =>This Loop Header: Depth=1
                                        ;     Child Loop BB36_33 Depth 2
                                        ;     Child Loop BB36_41 Depth 2
	;; [unrolled: 1-line block ×11, first 2 shown]
	v_cmp_gt_u64_e32 vcc, 56, v[28:29]
	v_cndmask_b32_e32 v38, 56, v28, vcc
	v_cmp_gt_u64_e64 s[4:5], 8, v[28:29]
                                        ; implicit-def: $vgpr2_vgpr3
                                        ; implicit-def: $sgpr14
	s_and_saveexec_b64 s[6:7], s[4:5]
	s_xor_b64 s[6:7], exec, s[6:7]
	s_cbranch_execz .LBB36_36
; %bb.31:                               ;   in Loop: Header=BB36_30 Depth=1
	s_mov_b64 s[16:17], 0
	v_cmp_ne_u64_e64 s[4:5], 0, v[28:29]
	s_waitcnt vmcnt(0)
	v_pk_mov_b32 v[2:3], 0, 0
	s_and_saveexec_b64 s[14:15], s[4:5]
	s_cbranch_execz .LBB36_35
; %bb.32:                               ;   in Loop: Header=BB36_30 Depth=1
	s_mov_b32 s22, 0
	v_pk_mov_b32 v[2:3], 0, 0
	s_mov_b64 s[18:19], 0
.LBB36_33:                              ;   Parent Loop BB36_30 Depth=1
                                        ; =>  This Inner Loop Header: Depth=2
	v_add_u32_e32 v8, s22, v31
	buffer_load_ubyte v8, v8, s[0:3], 0 offen
	v_mov_b32_e32 v9, s20
	s_add_i32 s22, s22, 1
	v_cmp_eq_u32_e64 s[4:5], s22, v38
	s_waitcnt vmcnt(0)
	v_and_b32_e32 v8, 0xffff, v8
	v_lshlrev_b64 v[8:9], s18, v[8:9]
	s_add_u32 s18, s18, 8
	s_addc_u32 s19, s19, 0
	v_or_b32_e32 v3, v9, v3
	s_or_b64 s[16:17], s[4:5], s[16:17]
	v_or_b32_e32 v2, v8, v2
	s_andn2_b64 exec, exec, s[16:17]
	s_cbranch_execnz .LBB36_33
; %bb.34:                               ;   in Loop: Header=BB36_30 Depth=1
	s_or_b64 exec, exec, s[16:17]
.LBB36_35:                              ;   in Loop: Header=BB36_30 Depth=1
	s_or_b64 exec, exec, s[14:15]
	s_mov_b32 s14, 0
.LBB36_36:                              ;   in Loop: Header=BB36_30 Depth=1
	s_or_saveexec_b64 s[4:5], s[6:7]
	v_mov_b32_e32 v9, s14
	v_mov_b32_e32 v8, v31
	s_xor_b64 exec, exec, s[4:5]
	s_cbranch_execz .LBB36_38
; %bb.37:                               ;   in Loop: Header=BB36_30 Depth=1
	buffer_load_dword v2, v31, s[0:3], 0 offen offset:4
	buffer_load_dword v3, v31, s[0:3], 0 offen
	v_add_u32_e32 v9, -8, v38
	s_waitcnt vmcnt(1)
	v_and_b32_e32 v8, 0xff, v2
	v_and_b32_e32 v12, 0xff00, v2
	s_waitcnt vmcnt(0)
	v_or3_b32 v3, v3, 0, 0
	v_and_b32_e32 v13, 0xff0000, v2
	v_and_b32_e32 v14, 0xff000000, v2
	v_or3_b32 v8, 0, v8, v12
	v_or3_b32 v2, v3, 0, 0
	;; [unrolled: 1-line block ×3, first 2 shown]
	v_add_u32_e32 v8, 8, v31
.LBB36_38:                              ;   in Loop: Header=BB36_30 Depth=1
	s_or_b64 exec, exec, s[4:5]
	v_cmp_gt_u32_e64 s[4:5], 8, v9
                                        ; implicit-def: $vgpr12_vgpr13
                                        ; implicit-def: $sgpr14
	s_and_saveexec_b64 s[6:7], s[4:5]
	s_xor_b64 s[6:7], exec, s[6:7]
	s_cbranch_execz .LBB36_44
; %bb.39:                               ;   in Loop: Header=BB36_30 Depth=1
	v_cmp_ne_u32_e64 s[4:5], 0, v9
	v_pk_mov_b32 v[12:13], 0, 0
	s_and_saveexec_b64 s[14:15], s[4:5]
	s_cbranch_execz .LBB36_43
; %bb.40:                               ;   in Loop: Header=BB36_30 Depth=1
	s_mov_b32 s22, 0
	s_mov_b64 s[16:17], 0
	v_pk_mov_b32 v[12:13], 0, 0
	s_mov_b64 s[18:19], 0
.LBB36_41:                              ;   Parent Loop BB36_30 Depth=1
                                        ; =>  This Inner Loop Header: Depth=2
	v_add_u32_e32 v14, s22, v8
	buffer_load_ubyte v14, v14, s[0:3], 0 offen
	v_mov_b32_e32 v15, s20
	s_add_i32 s22, s22, 1
	v_cmp_eq_u32_e64 s[4:5], s22, v9
	s_waitcnt vmcnt(0)
	v_and_b32_e32 v14, 0xffff, v14
	v_lshlrev_b64 v[14:15], s18, v[14:15]
	s_add_u32 s18, s18, 8
	s_addc_u32 s19, s19, 0
	v_or_b32_e32 v13, v15, v13
	s_or_b64 s[16:17], s[4:5], s[16:17]
	v_or_b32_e32 v12, v14, v12
	s_andn2_b64 exec, exec, s[16:17]
	s_cbranch_execnz .LBB36_41
; %bb.42:                               ;   in Loop: Header=BB36_30 Depth=1
	s_or_b64 exec, exec, s[16:17]
.LBB36_43:                              ;   in Loop: Header=BB36_30 Depth=1
	s_or_b64 exec, exec, s[14:15]
	s_mov_b32 s14, 0
                                        ; implicit-def: $vgpr9
.LBB36_44:                              ;   in Loop: Header=BB36_30 Depth=1
	s_or_saveexec_b64 s[4:5], s[6:7]
	v_mov_b32_e32 v16, s14
	s_xor_b64 exec, exec, s[4:5]
	s_cbranch_execz .LBB36_46
; %bb.45:                               ;   in Loop: Header=BB36_30 Depth=1
	buffer_load_dword v12, v8, s[0:3], 0 offen offset:4
	buffer_load_dword v13, v8, s[0:3], 0 offen
	v_add_u32_e32 v16, -8, v9
	v_add_u32_e32 v8, 8, v8
	s_waitcnt vmcnt(1)
	v_and_b32_e32 v9, 0xff, v12
	v_and_b32_e32 v14, 0xff00, v12
	s_waitcnt vmcnt(0)
	v_or3_b32 v13, v13, 0, 0
	v_and_b32_e32 v15, 0xff0000, v12
	v_and_b32_e32 v17, 0xff000000, v12
	v_or3_b32 v9, 0, v9, v14
	v_or3_b32 v12, v13, 0, 0
	v_or3_b32 v13, v9, v15, v17
.LBB36_46:                              ;   in Loop: Header=BB36_30 Depth=1
	s_or_b64 exec, exec, s[4:5]
	v_cmp_gt_u32_e64 s[4:5], 8, v16
                                        ; implicit-def: $sgpr14
	s_and_saveexec_b64 s[6:7], s[4:5]
	s_xor_b64 s[6:7], exec, s[6:7]
	s_cbranch_execz .LBB36_52
; %bb.47:                               ;   in Loop: Header=BB36_30 Depth=1
	v_cmp_ne_u32_e64 s[4:5], 0, v16
	v_pk_mov_b32 v[14:15], 0, 0
	s_and_saveexec_b64 s[14:15], s[4:5]
	s_cbranch_execz .LBB36_51
; %bb.48:                               ;   in Loop: Header=BB36_30 Depth=1
	s_mov_b32 s22, 0
	s_mov_b64 s[16:17], 0
	v_pk_mov_b32 v[14:15], 0, 0
	s_mov_b64 s[18:19], 0
.LBB36_49:                              ;   Parent Loop BB36_30 Depth=1
                                        ; =>  This Inner Loop Header: Depth=2
	v_add_u32_e32 v9, s22, v8
	buffer_load_ubyte v9, v9, s[0:3], 0 offen
	v_mov_b32_e32 v19, s20
	s_add_i32 s22, s22, 1
	v_cmp_eq_u32_e64 s[4:5], s22, v16
	s_waitcnt vmcnt(0)
	v_and_b32_e32 v18, 0xffff, v9
	v_lshlrev_b64 v[18:19], s18, v[18:19]
	s_add_u32 s18, s18, 8
	s_addc_u32 s19, s19, 0
	v_or_b32_e32 v15, v19, v15
	s_or_b64 s[16:17], s[4:5], s[16:17]
	v_or_b32_e32 v14, v18, v14
	s_andn2_b64 exec, exec, s[16:17]
	s_cbranch_execnz .LBB36_49
; %bb.50:                               ;   in Loop: Header=BB36_30 Depth=1
	s_or_b64 exec, exec, s[16:17]
.LBB36_51:                              ;   in Loop: Header=BB36_30 Depth=1
	s_or_b64 exec, exec, s[14:15]
	s_mov_b32 s14, 0
                                        ; implicit-def: $vgpr16
.LBB36_52:                              ;   in Loop: Header=BB36_30 Depth=1
	s_or_saveexec_b64 s[4:5], s[6:7]
	v_mov_b32_e32 v9, s14
	s_xor_b64 exec, exec, s[4:5]
	s_cbranch_execz .LBB36_54
; %bb.53:                               ;   in Loop: Header=BB36_30 Depth=1
	buffer_load_dword v14, v8, s[0:3], 0 offen offset:4
	buffer_load_dword v15, v8, s[0:3], 0 offen
	v_add_u32_e32 v9, -8, v16
	v_add_u32_e32 v8, 8, v8
	s_waitcnt vmcnt(1)
	v_and_b32_e32 v16, 0xff, v14
	v_and_b32_e32 v17, 0xff00, v14
	s_waitcnt vmcnt(0)
	v_or3_b32 v15, v15, 0, 0
	v_and_b32_e32 v18, 0xff0000, v14
	v_and_b32_e32 v19, 0xff000000, v14
	v_or3_b32 v16, 0, v16, v17
	v_or3_b32 v14, v15, 0, 0
	;; [unrolled: 1-line block ×3, first 2 shown]
.LBB36_54:                              ;   in Loop: Header=BB36_30 Depth=1
	s_or_b64 exec, exec, s[4:5]
	v_cmp_gt_u32_e64 s[4:5], 8, v9
                                        ; implicit-def: $vgpr16_vgpr17
                                        ; implicit-def: $sgpr14
	s_and_saveexec_b64 s[6:7], s[4:5]
	s_xor_b64 s[6:7], exec, s[6:7]
	s_cbranch_execz .LBB36_60
; %bb.55:                               ;   in Loop: Header=BB36_30 Depth=1
	v_cmp_ne_u32_e64 s[4:5], 0, v9
	v_pk_mov_b32 v[16:17], 0, 0
	s_and_saveexec_b64 s[14:15], s[4:5]
	s_cbranch_execz .LBB36_59
; %bb.56:                               ;   in Loop: Header=BB36_30 Depth=1
	s_mov_b32 s22, 0
	s_mov_b64 s[16:17], 0
	v_pk_mov_b32 v[16:17], 0, 0
	s_mov_b64 s[18:19], 0
.LBB36_57:                              ;   Parent Loop BB36_30 Depth=1
                                        ; =>  This Inner Loop Header: Depth=2
	v_add_u32_e32 v18, s22, v8
	buffer_load_ubyte v18, v18, s[0:3], 0 offen
	v_mov_b32_e32 v19, s20
	s_add_i32 s22, s22, 1
	v_cmp_eq_u32_e64 s[4:5], s22, v9
	s_waitcnt vmcnt(0)
	v_and_b32_e32 v18, 0xffff, v18
	v_lshlrev_b64 v[18:19], s18, v[18:19]
	s_add_u32 s18, s18, 8
	s_addc_u32 s19, s19, 0
	v_or_b32_e32 v17, v19, v17
	s_or_b64 s[16:17], s[4:5], s[16:17]
	v_or_b32_e32 v16, v18, v16
	s_andn2_b64 exec, exec, s[16:17]
	s_cbranch_execnz .LBB36_57
; %bb.58:                               ;   in Loop: Header=BB36_30 Depth=1
	s_or_b64 exec, exec, s[16:17]
.LBB36_59:                              ;   in Loop: Header=BB36_30 Depth=1
	s_or_b64 exec, exec, s[14:15]
	s_mov_b32 s14, 0
                                        ; implicit-def: $vgpr9
.LBB36_60:                              ;   in Loop: Header=BB36_30 Depth=1
	s_or_saveexec_b64 s[4:5], s[6:7]
	v_mov_b32_e32 v20, s14
	s_xor_b64 exec, exec, s[4:5]
	s_cbranch_execz .LBB36_62
; %bb.61:                               ;   in Loop: Header=BB36_30 Depth=1
	buffer_load_dword v16, v8, s[0:3], 0 offen offset:4
	buffer_load_dword v17, v8, s[0:3], 0 offen
	v_add_u32_e32 v20, -8, v9
	v_add_u32_e32 v8, 8, v8
	s_waitcnt vmcnt(1)
	v_and_b32_e32 v9, 0xff, v16
	v_and_b32_e32 v18, 0xff00, v16
	s_waitcnt vmcnt(0)
	v_or3_b32 v17, v17, 0, 0
	v_and_b32_e32 v19, 0xff0000, v16
	v_and_b32_e32 v21, 0xff000000, v16
	v_or3_b32 v9, 0, v9, v18
	v_or3_b32 v16, v17, 0, 0
	;; [unrolled: 1-line block ×3, first 2 shown]
.LBB36_62:                              ;   in Loop: Header=BB36_30 Depth=1
	s_or_b64 exec, exec, s[4:5]
	v_cmp_gt_u32_e64 s[4:5], 8, v20
                                        ; implicit-def: $sgpr14
	s_and_saveexec_b64 s[6:7], s[4:5]
	s_xor_b64 s[6:7], exec, s[6:7]
	s_cbranch_execz .LBB36_68
; %bb.63:                               ;   in Loop: Header=BB36_30 Depth=1
	v_cmp_ne_u32_e64 s[4:5], 0, v20
	v_pk_mov_b32 v[18:19], 0, 0
	s_and_saveexec_b64 s[14:15], s[4:5]
	s_cbranch_execz .LBB36_67
; %bb.64:                               ;   in Loop: Header=BB36_30 Depth=1
	s_mov_b32 s22, 0
	s_mov_b64 s[16:17], 0
	v_pk_mov_b32 v[18:19], 0, 0
	s_mov_b64 s[18:19], 0
.LBB36_65:                              ;   Parent Loop BB36_30 Depth=1
                                        ; =>  This Inner Loop Header: Depth=2
	v_add_u32_e32 v9, s22, v8
	buffer_load_ubyte v9, v9, s[0:3], 0 offen
	v_mov_b32_e32 v23, s20
	s_add_i32 s22, s22, 1
	v_cmp_eq_u32_e64 s[4:5], s22, v20
	s_waitcnt vmcnt(0)
	v_and_b32_e32 v22, 0xffff, v9
	v_lshlrev_b64 v[22:23], s18, v[22:23]
	s_add_u32 s18, s18, 8
	s_addc_u32 s19, s19, 0
	v_or_b32_e32 v19, v23, v19
	s_or_b64 s[16:17], s[4:5], s[16:17]
	v_or_b32_e32 v18, v22, v18
	s_andn2_b64 exec, exec, s[16:17]
	s_cbranch_execnz .LBB36_65
; %bb.66:                               ;   in Loop: Header=BB36_30 Depth=1
	s_or_b64 exec, exec, s[16:17]
.LBB36_67:                              ;   in Loop: Header=BB36_30 Depth=1
	s_or_b64 exec, exec, s[14:15]
	s_mov_b32 s14, 0
                                        ; implicit-def: $vgpr20
.LBB36_68:                              ;   in Loop: Header=BB36_30 Depth=1
	s_or_saveexec_b64 s[4:5], s[6:7]
	v_mov_b32_e32 v9, s14
	s_xor_b64 exec, exec, s[4:5]
	s_cbranch_execz .LBB36_70
; %bb.69:                               ;   in Loop: Header=BB36_30 Depth=1
	buffer_load_dword v18, v8, s[0:3], 0 offen offset:4
	buffer_load_dword v19, v8, s[0:3], 0 offen
	v_add_u32_e32 v9, -8, v20
	v_add_u32_e32 v8, 8, v8
	s_waitcnt vmcnt(1)
	v_and_b32_e32 v20, 0xff, v18
	v_and_b32_e32 v21, 0xff00, v18
	s_waitcnt vmcnt(0)
	v_or3_b32 v19, v19, 0, 0
	v_and_b32_e32 v22, 0xff0000, v18
	v_and_b32_e32 v23, 0xff000000, v18
	v_or3_b32 v20, 0, v20, v21
	v_or3_b32 v18, v19, 0, 0
	;; [unrolled: 1-line block ×3, first 2 shown]
.LBB36_70:                              ;   in Loop: Header=BB36_30 Depth=1
	s_or_b64 exec, exec, s[4:5]
	v_cmp_gt_u32_e64 s[4:5], 8, v9
                                        ; implicit-def: $vgpr20_vgpr21
                                        ; implicit-def: $sgpr14
	s_and_saveexec_b64 s[6:7], s[4:5]
	s_xor_b64 s[6:7], exec, s[6:7]
	s_cbranch_execz .LBB36_76
; %bb.71:                               ;   in Loop: Header=BB36_30 Depth=1
	v_cmp_ne_u32_e64 s[4:5], 0, v9
	v_pk_mov_b32 v[20:21], 0, 0
	s_and_saveexec_b64 s[14:15], s[4:5]
	s_cbranch_execz .LBB36_75
; %bb.72:                               ;   in Loop: Header=BB36_30 Depth=1
	s_mov_b32 s22, 0
	s_mov_b64 s[16:17], 0
	v_pk_mov_b32 v[20:21], 0, 0
	s_mov_b64 s[18:19], 0
.LBB36_73:                              ;   Parent Loop BB36_30 Depth=1
                                        ; =>  This Inner Loop Header: Depth=2
	v_add_u32_e32 v22, s22, v8
	buffer_load_ubyte v22, v22, s[0:3], 0 offen
	v_mov_b32_e32 v23, s20
	s_add_i32 s22, s22, 1
	v_cmp_eq_u32_e64 s[4:5], s22, v9
	s_waitcnt vmcnt(0)
	v_and_b32_e32 v22, 0xffff, v22
	v_lshlrev_b64 v[22:23], s18, v[22:23]
	s_add_u32 s18, s18, 8
	s_addc_u32 s19, s19, 0
	v_or_b32_e32 v21, v23, v21
	s_or_b64 s[16:17], s[4:5], s[16:17]
	v_or_b32_e32 v20, v22, v20
	s_andn2_b64 exec, exec, s[16:17]
	s_cbranch_execnz .LBB36_73
; %bb.74:                               ;   in Loop: Header=BB36_30 Depth=1
	s_or_b64 exec, exec, s[16:17]
.LBB36_75:                              ;   in Loop: Header=BB36_30 Depth=1
	s_or_b64 exec, exec, s[14:15]
	s_mov_b32 s14, 0
                                        ; implicit-def: $vgpr9
.LBB36_76:                              ;   in Loop: Header=BB36_30 Depth=1
	s_or_saveexec_b64 s[4:5], s[6:7]
	v_mov_b32_e32 v24, s14
	s_xor_b64 exec, exec, s[4:5]
	s_cbranch_execz .LBB36_78
; %bb.77:                               ;   in Loop: Header=BB36_30 Depth=1
	buffer_load_dword v20, v8, s[0:3], 0 offen offset:4
	buffer_load_dword v21, v8, s[0:3], 0 offen
	v_add_u32_e32 v24, -8, v9
	v_add_u32_e32 v8, 8, v8
	s_waitcnt vmcnt(1)
	v_and_b32_e32 v9, 0xff, v20
	v_and_b32_e32 v22, 0xff00, v20
	s_waitcnt vmcnt(0)
	v_or3_b32 v21, v21, 0, 0
	v_and_b32_e32 v23, 0xff0000, v20
	v_and_b32_e32 v25, 0xff000000, v20
	v_or3_b32 v9, 0, v9, v22
	v_or3_b32 v20, v21, 0, 0
	;; [unrolled: 1-line block ×3, first 2 shown]
.LBB36_78:                              ;   in Loop: Header=BB36_30 Depth=1
	s_or_b64 exec, exec, s[4:5]
	v_cmp_gt_u32_e64 s[4:5], 8, v24
	s_and_saveexec_b64 s[6:7], s[4:5]
	s_xor_b64 s[6:7], exec, s[6:7]
	s_cbranch_execz .LBB36_84
; %bb.79:                               ;   in Loop: Header=BB36_30 Depth=1
	v_cmp_ne_u32_e64 s[4:5], 0, v24
	v_pk_mov_b32 v[22:23], 0, 0
	s_and_saveexec_b64 s[14:15], s[4:5]
	s_cbranch_execz .LBB36_83
; %bb.80:                               ;   in Loop: Header=BB36_30 Depth=1
	s_mov_b64 s[16:17], 0
	v_pk_mov_b32 v[22:23], 0, 0
	s_mov_b64 s[18:19], 0
.LBB36_81:                              ;   Parent Loop BB36_30 Depth=1
                                        ; =>  This Inner Loop Header: Depth=2
	buffer_load_ubyte v9, v8, s[0:3], 0 offen
	v_mov_b32_e32 v27, s20
	v_add_u32_e32 v24, -1, v24
	v_cmp_eq_u32_e64 s[4:5], 0, v24
	v_add_u32_e32 v8, 1, v8
	s_waitcnt vmcnt(0)
	v_and_b32_e32 v26, 0xffff, v9
	v_lshlrev_b64 v[26:27], s18, v[26:27]
	s_add_u32 s18, s18, 8
	s_addc_u32 s19, s19, 0
	v_or_b32_e32 v23, v27, v23
	s_or_b64 s[16:17], s[4:5], s[16:17]
	v_or_b32_e32 v22, v26, v22
	s_andn2_b64 exec, exec, s[16:17]
	s_cbranch_execnz .LBB36_81
; %bb.82:                               ;   in Loop: Header=BB36_30 Depth=1
	s_or_b64 exec, exec, s[16:17]
.LBB36_83:                              ;   in Loop: Header=BB36_30 Depth=1
	s_or_b64 exec, exec, s[14:15]
                                        ; implicit-def: $vgpr8
.LBB36_84:                              ;   in Loop: Header=BB36_30 Depth=1
	s_andn2_saveexec_b64 s[4:5], s[6:7]
	s_cbranch_execz .LBB36_86
; %bb.85:                               ;   in Loop: Header=BB36_30 Depth=1
	buffer_load_dword v9, v8, s[0:3], 0 offen offset:4
	buffer_load_dword v22, v8, s[0:3], 0 offen
	s_waitcnt vmcnt(1)
	v_and_b32_e32 v8, 0xff, v9
	v_and_b32_e32 v23, 0xff00, v9
	s_waitcnt vmcnt(0)
	v_or3_b32 v22, v22, 0, 0
	v_and_b32_e32 v24, 0xff0000, v9
	v_and_b32_e32 v9, 0xff000000, v9
	v_or3_b32 v8, 0, v8, v23
	v_or3_b32 v23, v8, v24, v9
	;; [unrolled: 1-line block ×3, first 2 shown]
.LBB36_86:                              ;   in Loop: Header=BB36_30 Depth=1
	s_or_b64 exec, exec, s[4:5]
	v_readfirstlane_b32 s4, v37
	v_cmp_eq_u32_e64 s[4:5], s4, v37
	v_pk_mov_b32 v[8:9], 0, 0
	s_and_saveexec_b64 s[14:15], s[4:5]
	s_cbranch_execz .LBB36_92
; %bb.87:                               ;   in Loop: Header=BB36_30 Depth=1
	global_load_dwordx2 v[26:27], v33, s[10:11] offset:24 glc
	s_waitcnt vmcnt(0)
	buffer_invl2
	buffer_wbinvl1_vol
	global_load_dwordx2 v[8:9], v33, s[10:11] offset:40
	global_load_dwordx2 v[24:25], v33, s[10:11]
	s_waitcnt vmcnt(1)
	v_and_b32_e32 v8, v8, v26
	v_and_b32_e32 v9, v9, v27
	v_mul_lo_u32 v9, v9, 24
	v_mul_hi_u32 v32, v8, 24
	v_mul_lo_u32 v8, v8, 24
	v_add_u32_e32 v9, v32, v9
	s_waitcnt vmcnt(0)
	v_add_co_u32_e64 v8, s[6:7], v24, v8
	v_addc_co_u32_e64 v9, s[6:7], v25, v9, s[6:7]
	global_load_dwordx2 v[24:25], v[8:9], off glc
	s_waitcnt vmcnt(0)
	global_atomic_cmpswap_x2 v[8:9], v33, v[24:27], s[10:11] offset:24 glc
	s_waitcnt vmcnt(0)
	buffer_invl2
	buffer_wbinvl1_vol
	v_cmp_ne_u64_e64 s[6:7], v[8:9], v[26:27]
	s_and_saveexec_b64 s[16:17], s[6:7]
	s_cbranch_execz .LBB36_91
; %bb.88:                               ;   in Loop: Header=BB36_30 Depth=1
	s_mov_b64 s[18:19], 0
.LBB36_89:                              ;   Parent Loop BB36_30 Depth=1
                                        ; =>  This Inner Loop Header: Depth=2
	s_sleep 1
	global_load_dwordx2 v[24:25], v33, s[10:11] offset:40
	global_load_dwordx2 v[34:35], v33, s[10:11]
	v_pk_mov_b32 v[26:27], v[8:9], v[8:9] op_sel:[0,1]
	s_waitcnt vmcnt(1)
	v_and_b32_e32 v8, v24, v26
	s_waitcnt vmcnt(0)
	v_mad_u64_u32 v[8:9], s[6:7], v8, 24, v[34:35]
	v_and_b32_e32 v25, v25, v27
	v_mov_b32_e32 v24, v9
	v_mad_u64_u32 v[24:25], s[6:7], v25, 24, v[24:25]
	v_mov_b32_e32 v9, v24
	global_load_dwordx2 v[24:25], v[8:9], off glc
	s_waitcnt vmcnt(0)
	global_atomic_cmpswap_x2 v[8:9], v33, v[24:27], s[10:11] offset:24 glc
	s_waitcnt vmcnt(0)
	buffer_invl2
	buffer_wbinvl1_vol
	v_cmp_eq_u64_e64 s[6:7], v[8:9], v[26:27]
	s_or_b64 s[18:19], s[6:7], s[18:19]
	s_andn2_b64 exec, exec, s[18:19]
	s_cbranch_execnz .LBB36_89
; %bb.90:                               ;   in Loop: Header=BB36_30 Depth=1
	s_or_b64 exec, exec, s[18:19]
.LBB36_91:                              ;   in Loop: Header=BB36_30 Depth=1
	s_or_b64 exec, exec, s[16:17]
.LBB36_92:                              ;   in Loop: Header=BB36_30 Depth=1
	s_or_b64 exec, exec, s[14:15]
	global_load_dwordx2 v[34:35], v33, s[10:11] offset:40
	global_load_dwordx4 v[24:27], v33, s[10:11]
	v_readfirstlane_b32 s14, v8
	v_readfirstlane_b32 s15, v9
	s_mov_b64 s[16:17], exec
	s_waitcnt vmcnt(1)
	v_readfirstlane_b32 s6, v34
	v_readfirstlane_b32 s7, v35
	s_and_b64 s[18:19], s[14:15], s[6:7]
	s_mul_i32 s6, s19, 24
	s_mul_hi_u32 s7, s18, 24
	s_mul_i32 s22, s18, 24
	s_add_i32 s6, s7, s6
	v_mov_b32_e32 v8, s6
	s_waitcnt vmcnt(0)
	v_add_co_u32_e64 v34, s[6:7], s22, v24
	v_addc_co_u32_e64 v35, s[6:7], v25, v8, s[6:7]
	s_and_saveexec_b64 s[6:7], s[4:5]
	s_cbranch_execz .LBB36_94
; %bb.93:                               ;   in Loop: Header=BB36_30 Depth=1
	v_pk_mov_b32 v[8:9], s[16:17], s[16:17] op_sel:[0,1]
	global_store_dwordx4 v[34:35], v[8:11], off offset:8
.LBB36_94:                              ;   in Loop: Header=BB36_30 Depth=1
	s_or_b64 exec, exec, s[6:7]
	s_lshl_b64 s[6:7], s[18:19], 12
	v_cndmask_b32_e32 v39, 0, v29, vcc
	v_mov_b32_e32 v9, s7
	v_add_co_u32_e32 v8, vcc, s6, v26
	v_addc_co_u32_e32 v9, vcc, v27, v9, vcc
	v_or_b32_e32 v26, 0, v1
	v_cmp_lt_u64_e32 vcc, 56, v[28:29]
	v_or_b32_e32 v27, v0, v30
	v_cndmask_b32_e32 v1, v26, v1, vcc
	v_lshl_add_u32 v26, v38, 2, 28
	v_cndmask_b32_e32 v0, v27, v0, vcc
	v_and_b32_e32 v26, 0x1e0, v26
	v_and_or_b32 v0, v0, s21, v26
	v_readfirstlane_b32 s6, v8
	v_readfirstlane_b32 s7, v9
	s_nop 4
	global_store_dwordx4 v36, v[0:3], s[6:7]
	global_store_dwordx4 v36, v[12:15], s[6:7] offset:16
	global_store_dwordx4 v36, v[16:19], s[6:7] offset:32
	;; [unrolled: 1-line block ×3, first 2 shown]
	s_and_saveexec_b64 s[6:7], s[4:5]
	s_cbranch_execz .LBB36_102
; %bb.95:                               ;   in Loop: Header=BB36_30 Depth=1
	global_load_dwordx2 v[16:17], v33, s[10:11] offset:32 glc
	global_load_dwordx2 v[0:1], v33, s[10:11] offset:40
	v_mov_b32_e32 v14, s14
	v_mov_b32_e32 v15, s15
	s_waitcnt vmcnt(0)
	v_readfirstlane_b32 s16, v0
	v_readfirstlane_b32 s17, v1
	s_and_b64 s[16:17], s[16:17], s[14:15]
	s_mul_i32 s17, s17, 24
	s_mul_hi_u32 s18, s16, 24
	s_mul_i32 s16, s16, 24
	s_add_i32 s17, s18, s17
	v_mov_b32_e32 v0, s17
	v_add_co_u32_e32 v12, vcc, s16, v24
	v_addc_co_u32_e32 v13, vcc, v25, v0, vcc
	global_store_dwordx2 v[12:13], v[16:17], off
	buffer_wbl2
	s_waitcnt vmcnt(0)
	global_atomic_cmpswap_x2 v[2:3], v33, v[14:17], s[10:11] offset:32 glc
	s_waitcnt vmcnt(0)
	v_cmp_ne_u64_e32 vcc, v[2:3], v[16:17]
	s_and_saveexec_b64 s[16:17], vcc
	s_cbranch_execz .LBB36_98
; %bb.96:                               ;   in Loop: Header=BB36_30 Depth=1
	s_mov_b64 s[18:19], 0
.LBB36_97:                              ;   Parent Loop BB36_30 Depth=1
                                        ; =>  This Inner Loop Header: Depth=2
	s_sleep 1
	global_store_dwordx2 v[12:13], v[2:3], off
	v_mov_b32_e32 v0, s14
	v_mov_b32_e32 v1, s15
	buffer_wbl2
	s_waitcnt vmcnt(0)
	global_atomic_cmpswap_x2 v[0:1], v33, v[0:3], s[10:11] offset:32 glc
	s_waitcnt vmcnt(0)
	v_cmp_eq_u64_e32 vcc, v[0:1], v[2:3]
	s_or_b64 s[18:19], vcc, s[18:19]
	v_pk_mov_b32 v[2:3], v[0:1], v[0:1] op_sel:[0,1]
	s_andn2_b64 exec, exec, s[18:19]
	s_cbranch_execnz .LBB36_97
.LBB36_98:                              ;   in Loop: Header=BB36_30 Depth=1
	s_or_b64 exec, exec, s[16:17]
	global_load_dwordx2 v[0:1], v33, s[10:11] offset:16
	s_mov_b64 s[18:19], exec
	v_mbcnt_lo_u32_b32 v2, s18, 0
	v_mbcnt_hi_u32_b32 v2, s19, v2
	v_cmp_eq_u32_e32 vcc, 0, v2
	s_and_saveexec_b64 s[16:17], vcc
	s_cbranch_execz .LBB36_100
; %bb.99:                               ;   in Loop: Header=BB36_30 Depth=1
	s_bcnt1_i32_b64 s18, s[18:19]
	v_mov_b32_e32 v32, s18
	buffer_wbl2
	s_waitcnt vmcnt(0)
	global_atomic_add_x2 v[0:1], v[32:33], off offset:8
.LBB36_100:                             ;   in Loop: Header=BB36_30 Depth=1
	s_or_b64 exec, exec, s[16:17]
	s_waitcnt vmcnt(0)
	global_load_dwordx2 v[2:3], v[0:1], off offset:16
	s_waitcnt vmcnt(0)
	v_cmp_eq_u64_e32 vcc, 0, v[2:3]
	s_cbranch_vccnz .LBB36_102
; %bb.101:                              ;   in Loop: Header=BB36_30 Depth=1
	global_load_dword v32, v[0:1], off offset:24
	s_waitcnt vmcnt(0)
	v_and_b32_e32 v0, 0xffffff, v32
	v_readfirstlane_b32 m0, v0
	buffer_wbl2
	global_store_dwordx2 v[2:3], v[32:33], off
	s_sendmsg sendmsg(MSG_INTERRUPT)
.LBB36_102:                             ;   in Loop: Header=BB36_30 Depth=1
	s_or_b64 exec, exec, s[6:7]
	v_add_co_u32_e32 v0, vcc, v8, v36
	v_addc_co_u32_e32 v1, vcc, 0, v9, vcc
	s_branch .LBB36_106
.LBB36_103:                             ;   in Loop: Header=BB36_106 Depth=2
	s_or_b64 exec, exec, s[6:7]
	v_readfirstlane_b32 s6, v2
	s_cmp_eq_u32 s6, 0
	s_cbranch_scc1 .LBB36_105
; %bb.104:                              ;   in Loop: Header=BB36_106 Depth=2
	s_sleep 1
	s_cbranch_execnz .LBB36_106
	s_branch .LBB36_108
.LBB36_105:                             ;   in Loop: Header=BB36_30 Depth=1
	s_branch .LBB36_108
.LBB36_106:                             ;   Parent Loop BB36_30 Depth=1
                                        ; =>  This Inner Loop Header: Depth=2
	v_mov_b32_e32 v2, 1
	s_and_saveexec_b64 s[6:7], s[4:5]
	s_cbranch_execz .LBB36_103
; %bb.107:                              ;   in Loop: Header=BB36_106 Depth=2
	global_load_dword v2, v[34:35], off offset:20 glc
	s_waitcnt vmcnt(0)
	buffer_invl2
	buffer_wbinvl1_vol
	v_and_b32_e32 v2, 1, v2
	s_branch .LBB36_103
.LBB36_108:                             ;   in Loop: Header=BB36_30 Depth=1
	global_load_dwordx4 v[0:3], v[0:1], off
	s_and_saveexec_b64 s[6:7], s[4:5]
	s_cbranch_execz .LBB36_29
; %bb.109:                              ;   in Loop: Header=BB36_30 Depth=1
	global_load_dwordx2 v[2:3], v33, s[10:11] offset:40
	global_load_dwordx2 v[8:9], v33, s[10:11] offset:24 glc
	global_load_dwordx2 v[16:17], v33, s[10:11]
	v_mov_b32_e32 v13, s15
	s_waitcnt vmcnt(2)
	v_add_co_u32_e32 v15, vcc, 1, v2
	v_addc_co_u32_e32 v18, vcc, 0, v3, vcc
	v_add_co_u32_e32 v12, vcc, s14, v15
	v_addc_co_u32_e32 v13, vcc, v18, v13, vcc
	v_cmp_eq_u64_e32 vcc, 0, v[12:13]
	v_cndmask_b32_e32 v13, v13, v18, vcc
	v_cndmask_b32_e32 v12, v12, v15, vcc
	v_and_b32_e32 v3, v13, v3
	v_and_b32_e32 v2, v12, v2
	v_mul_lo_u32 v3, v3, 24
	v_mul_hi_u32 v15, v2, 24
	v_mul_lo_u32 v2, v2, 24
	v_add_u32_e32 v3, v15, v3
	s_waitcnt vmcnt(0)
	v_add_co_u32_e32 v2, vcc, v16, v2
	v_addc_co_u32_e32 v3, vcc, v17, v3, vcc
	v_mov_b32_e32 v14, v8
	global_store_dwordx2 v[2:3], v[8:9], off
	v_mov_b32_e32 v15, v9
	buffer_wbl2
	s_waitcnt vmcnt(0)
	global_atomic_cmpswap_x2 v[14:15], v33, v[12:15], s[10:11] offset:24 glc
	s_waitcnt vmcnt(0)
	v_cmp_ne_u64_e32 vcc, v[14:15], v[8:9]
	s_and_b64 exec, exec, vcc
	s_cbranch_execz .LBB36_29
; %bb.110:                              ;   in Loop: Header=BB36_30 Depth=1
	s_mov_b64 s[4:5], 0
.LBB36_111:                             ;   Parent Loop BB36_30 Depth=1
                                        ; =>  This Inner Loop Header: Depth=2
	s_sleep 1
	global_store_dwordx2 v[2:3], v[14:15], off
	buffer_wbl2
	s_waitcnt vmcnt(0)
	global_atomic_cmpswap_x2 v[8:9], v33, v[12:15], s[10:11] offset:24 glc
	s_waitcnt vmcnt(0)
	v_cmp_eq_u64_e32 vcc, v[8:9], v[14:15]
	s_or_b64 s[4:5], vcc, s[4:5]
	v_pk_mov_b32 v[14:15], v[8:9], v[8:9] op_sel:[0,1]
	s_andn2_b64 exec, exec, s[4:5]
	s_cbranch_execnz .LBB36_111
	s_branch .LBB36_29
.LBB36_112:
                                        ; implicit-def: $vgpr0_vgpr1
	s_cbranch_execnz .LBB36_114
	s_branch .LBB36_140
.LBB36_113:
	s_or_b64 exec, exec, s[12:13]
	s_branch .LBB36_140
.LBB36_114:
	v_readfirstlane_b32 s4, v37
	v_cmp_eq_u32_e64 s[4:5], s4, v37
	v_pk_mov_b32 v[10:11], 0, 0
	s_and_saveexec_b64 s[6:7], s[4:5]
	s_cbranch_execz .LBB36_120
; %bb.115:
	s_waitcnt vmcnt(0)
	v_mov_b32_e32 v0, 0
	global_load_dwordx2 v[12:13], v0, s[10:11] offset:24 glc
	s_waitcnt vmcnt(0)
	buffer_invl2
	buffer_wbinvl1_vol
	global_load_dwordx2 v[2:3], v0, s[10:11] offset:40
	global_load_dwordx2 v[8:9], v0, s[10:11]
	s_waitcnt vmcnt(1)
	v_and_b32_e32 v1, v2, v12
	v_and_b32_e32 v2, v3, v13
	v_mul_lo_u32 v2, v2, 24
	v_mul_hi_u32 v3, v1, 24
	v_mul_lo_u32 v1, v1, 24
	v_add_u32_e32 v3, v3, v2
	s_waitcnt vmcnt(0)
	v_add_co_u32_e32 v2, vcc, v8, v1
	v_addc_co_u32_e32 v3, vcc, v9, v3, vcc
	global_load_dwordx2 v[10:11], v[2:3], off glc
	s_waitcnt vmcnt(0)
	global_atomic_cmpswap_x2 v[10:11], v0, v[10:13], s[10:11] offset:24 glc
	s_waitcnt vmcnt(0)
	buffer_invl2
	buffer_wbinvl1_vol
	v_cmp_ne_u64_e32 vcc, v[10:11], v[12:13]
	s_and_saveexec_b64 s[12:13], vcc
	s_cbranch_execz .LBB36_119
; %bb.116:
	s_mov_b64 s[14:15], 0
.LBB36_117:                             ; =>This Inner Loop Header: Depth=1
	s_sleep 1
	global_load_dwordx2 v[2:3], v0, s[10:11] offset:40
	global_load_dwordx2 v[8:9], v0, s[10:11]
	v_pk_mov_b32 v[12:13], v[10:11], v[10:11] op_sel:[0,1]
	s_waitcnt vmcnt(1)
	v_and_b32_e32 v2, v2, v12
	v_and_b32_e32 v1, v3, v13
	s_waitcnt vmcnt(0)
	v_mad_u64_u32 v[2:3], s[16:17], v2, 24, v[8:9]
	v_mov_b32_e32 v8, v3
	v_mad_u64_u32 v[8:9], s[16:17], v1, 24, v[8:9]
	v_mov_b32_e32 v3, v8
	global_load_dwordx2 v[10:11], v[2:3], off glc
	s_waitcnt vmcnt(0)
	global_atomic_cmpswap_x2 v[10:11], v0, v[10:13], s[10:11] offset:24 glc
	s_waitcnt vmcnt(0)
	buffer_invl2
	buffer_wbinvl1_vol
	v_cmp_eq_u64_e32 vcc, v[10:11], v[12:13]
	s_or_b64 s[14:15], vcc, s[14:15]
	s_andn2_b64 exec, exec, s[14:15]
	s_cbranch_execnz .LBB36_117
; %bb.118:
	s_or_b64 exec, exec, s[14:15]
.LBB36_119:
	s_or_b64 exec, exec, s[12:13]
.LBB36_120:
	s_or_b64 exec, exec, s[6:7]
	v_mov_b32_e32 v8, 0
	global_load_dwordx2 v[12:13], v8, s[10:11] offset:40
	global_load_dwordx4 v[0:3], v8, s[10:11]
	v_readfirstlane_b32 s6, v10
	v_readfirstlane_b32 s7, v11
	s_mov_b64 s[12:13], exec
	s_waitcnt vmcnt(1)
	v_readfirstlane_b32 s14, v12
	v_readfirstlane_b32 s15, v13
	s_and_b64 s[14:15], s[6:7], s[14:15]
	s_mul_i32 s16, s15, 24
	s_mul_hi_u32 s17, s14, 24
	s_mul_i32 s18, s14, 24
	s_add_i32 s16, s17, s16
	v_mov_b32_e32 v9, s16
	s_waitcnt vmcnt(0)
	v_add_co_u32_e32 v10, vcc, s18, v0
	v_addc_co_u32_e32 v11, vcc, v1, v9, vcc
	s_and_saveexec_b64 s[16:17], s[4:5]
	s_cbranch_execz .LBB36_122
; %bb.121:
	v_pk_mov_b32 v[12:13], s[12:13], s[12:13] op_sel:[0,1]
	v_mov_b32_e32 v14, 2
	v_mov_b32_e32 v15, 1
	global_store_dwordx4 v[10:11], v[12:15], off offset:8
.LBB36_122:
	s_or_b64 exec, exec, s[16:17]
	s_lshl_b64 s[12:13], s[14:15], 12
	v_mov_b32_e32 v9, s13
	v_add_co_u32_e32 v2, vcc, s12, v2
	s_movk_i32 s12, 0xff1f
	v_addc_co_u32_e32 v3, vcc, v3, v9, vcc
	v_and_or_b32 v6, v6, s12, 32
	s_mov_b32 s12, 0
	v_mov_b32_e32 v9, v8
	v_readfirstlane_b32 s16, v2
	v_readfirstlane_b32 s17, v3
	s_mov_b32 s13, s12
	v_add_co_u32_e32 v12, vcc, v2, v36
	s_mov_b32 s14, s12
	s_mov_b32 s15, s12
	s_nop 0
	global_store_dwordx4 v36, v[6:9], s[16:17]
	v_addc_co_u32_e32 v13, vcc, 0, v3, vcc
	v_pk_mov_b32 v[6:7], s[12:13], s[12:13] op_sel:[0,1]
	v_pk_mov_b32 v[8:9], s[14:15], s[14:15] op_sel:[0,1]
	global_store_dwordx4 v36, v[6:9], s[16:17] offset:16
	global_store_dwordx4 v36, v[6:9], s[16:17] offset:32
	;; [unrolled: 1-line block ×3, first 2 shown]
	s_and_saveexec_b64 s[12:13], s[4:5]
	s_cbranch_execz .LBB36_130
; %bb.123:
	v_mov_b32_e32 v8, 0
	global_load_dwordx2 v[16:17], v8, s[10:11] offset:32 glc
	global_load_dwordx2 v[2:3], v8, s[10:11] offset:40
	v_mov_b32_e32 v14, s6
	v_mov_b32_e32 v15, s7
	s_waitcnt vmcnt(0)
	v_readfirstlane_b32 s14, v2
	v_readfirstlane_b32 s15, v3
	s_and_b64 s[14:15], s[14:15], s[6:7]
	s_mul_i32 s15, s15, 24
	s_mul_hi_u32 s16, s14, 24
	s_mul_i32 s14, s14, 24
	s_add_i32 s15, s16, s15
	v_mov_b32_e32 v2, s15
	v_add_co_u32_e32 v6, vcc, s14, v0
	v_addc_co_u32_e32 v7, vcc, v1, v2, vcc
	global_store_dwordx2 v[6:7], v[16:17], off
	buffer_wbl2
	s_waitcnt vmcnt(0)
	global_atomic_cmpswap_x2 v[2:3], v8, v[14:17], s[10:11] offset:32 glc
	s_waitcnt vmcnt(0)
	v_cmp_ne_u64_e32 vcc, v[2:3], v[16:17]
	s_and_saveexec_b64 s[14:15], vcc
	s_cbranch_execz .LBB36_126
; %bb.124:
	s_mov_b64 s[16:17], 0
.LBB36_125:                             ; =>This Inner Loop Header: Depth=1
	s_sleep 1
	global_store_dwordx2 v[6:7], v[2:3], off
	v_mov_b32_e32 v0, s6
	v_mov_b32_e32 v1, s7
	buffer_wbl2
	s_waitcnt vmcnt(0)
	global_atomic_cmpswap_x2 v[0:1], v8, v[0:3], s[10:11] offset:32 glc
	s_waitcnt vmcnt(0)
	v_cmp_eq_u64_e32 vcc, v[0:1], v[2:3]
	s_or_b64 s[16:17], vcc, s[16:17]
	v_pk_mov_b32 v[2:3], v[0:1], v[0:1] op_sel:[0,1]
	s_andn2_b64 exec, exec, s[16:17]
	s_cbranch_execnz .LBB36_125
.LBB36_126:
	s_or_b64 exec, exec, s[14:15]
	v_mov_b32_e32 v3, 0
	global_load_dwordx2 v[0:1], v3, s[10:11] offset:16
	s_mov_b64 s[14:15], exec
	v_mbcnt_lo_u32_b32 v2, s14, 0
	v_mbcnt_hi_u32_b32 v2, s15, v2
	v_cmp_eq_u32_e32 vcc, 0, v2
	s_and_saveexec_b64 s[16:17], vcc
	s_cbranch_execz .LBB36_128
; %bb.127:
	s_bcnt1_i32_b64 s14, s[14:15]
	v_mov_b32_e32 v2, s14
	buffer_wbl2
	s_waitcnt vmcnt(0)
	global_atomic_add_x2 v[0:1], v[2:3], off offset:8
.LBB36_128:
	s_or_b64 exec, exec, s[16:17]
	s_waitcnt vmcnt(0)
	global_load_dwordx2 v[2:3], v[0:1], off offset:16
	s_waitcnt vmcnt(0)
	v_cmp_eq_u64_e32 vcc, 0, v[2:3]
	s_cbranch_vccnz .LBB36_130
; %bb.129:
	global_load_dword v0, v[0:1], off offset:24
	v_mov_b32_e32 v1, 0
	buffer_wbl2
	s_waitcnt vmcnt(0)
	global_store_dwordx2 v[2:3], v[0:1], off
	v_and_b32_e32 v0, 0xffffff, v0
	v_readfirstlane_b32 m0, v0
	s_sendmsg sendmsg(MSG_INTERRUPT)
.LBB36_130:
	s_or_b64 exec, exec, s[12:13]
	s_branch .LBB36_134
.LBB36_131:                             ;   in Loop: Header=BB36_134 Depth=1
	s_or_b64 exec, exec, s[12:13]
	v_readfirstlane_b32 s12, v0
	s_cmp_eq_u32 s12, 0
	s_cbranch_scc1 .LBB36_133
; %bb.132:                              ;   in Loop: Header=BB36_134 Depth=1
	s_sleep 1
	s_cbranch_execnz .LBB36_134
	s_branch .LBB36_136
.LBB36_133:
	s_branch .LBB36_136
.LBB36_134:                             ; =>This Inner Loop Header: Depth=1
	v_mov_b32_e32 v0, 1
	s_and_saveexec_b64 s[12:13], s[4:5]
	s_cbranch_execz .LBB36_131
; %bb.135:                              ;   in Loop: Header=BB36_134 Depth=1
	global_load_dword v0, v[10:11], off offset:20 glc
	s_waitcnt vmcnt(0)
	buffer_invl2
	buffer_wbinvl1_vol
	v_and_b32_e32 v0, 1, v0
	s_branch .LBB36_131
.LBB36_136:
	global_load_dwordx2 v[0:1], v[12:13], off
	s_and_saveexec_b64 s[12:13], s[4:5]
	s_cbranch_execz .LBB36_139
; %bb.137:
	v_mov_b32_e32 v10, 0
	global_load_dwordx2 v[2:3], v10, s[10:11] offset:40
	global_load_dwordx2 v[12:13], v10, s[10:11] offset:24 glc
	global_load_dwordx2 v[14:15], v10, s[10:11]
	v_mov_b32_e32 v7, s7
	s_mov_b64 s[4:5], 0
	s_waitcnt vmcnt(2)
	v_add_co_u32_e32 v9, vcc, 1, v2
	v_addc_co_u32_e32 v11, vcc, 0, v3, vcc
	v_add_co_u32_e32 v6, vcc, s6, v9
	v_addc_co_u32_e32 v7, vcc, v11, v7, vcc
	v_cmp_eq_u64_e32 vcc, 0, v[6:7]
	v_cndmask_b32_e32 v7, v7, v11, vcc
	v_cndmask_b32_e32 v6, v6, v9, vcc
	v_and_b32_e32 v3, v7, v3
	v_and_b32_e32 v2, v6, v2
	v_mul_lo_u32 v3, v3, 24
	v_mul_hi_u32 v9, v2, 24
	v_mul_lo_u32 v2, v2, 24
	v_add_u32_e32 v3, v9, v3
	s_waitcnt vmcnt(0)
	v_add_co_u32_e32 v2, vcc, v14, v2
	v_addc_co_u32_e32 v3, vcc, v15, v3, vcc
	v_mov_b32_e32 v8, v12
	global_store_dwordx2 v[2:3], v[12:13], off
	v_mov_b32_e32 v9, v13
	buffer_wbl2
	s_waitcnt vmcnt(0)
	global_atomic_cmpswap_x2 v[8:9], v10, v[6:9], s[10:11] offset:24 glc
	s_waitcnt vmcnt(0)
	v_cmp_ne_u64_e32 vcc, v[8:9], v[12:13]
	s_and_b64 exec, exec, vcc
	s_cbranch_execz .LBB36_139
.LBB36_138:                             ; =>This Inner Loop Header: Depth=1
	s_sleep 1
	global_store_dwordx2 v[2:3], v[8:9], off
	buffer_wbl2
	s_waitcnt vmcnt(0)
	global_atomic_cmpswap_x2 v[12:13], v10, v[6:9], s[10:11] offset:24 glc
	s_waitcnt vmcnt(0)
	v_cmp_eq_u64_e32 vcc, v[12:13], v[8:9]
	s_or_b64 s[4:5], vcc, s[4:5]
	v_pk_mov_b32 v[8:9], v[12:13], v[12:13] op_sel:[0,1]
	s_andn2_b64 exec, exec, s[4:5]
	s_cbranch_execnz .LBB36_138
.LBB36_139:
	s_or_b64 exec, exec, s[12:13]
.LBB36_140:
	s_getpc_b64 s[6:7]
	s_add_u32 s6, s6, .str.4@rel32@lo+4
	s_addc_u32 s7, s7, .str.4@rel32@hi+12
	s_cmp_lg_u64 s[6:7], 0
	s_cbranch_scc0 .LBB36_224
; %bb.141:
	s_getpc_b64 s[4:5]
	s_add_u32 s4, s4, .str.4@rel32@lo+95
	s_addc_u32 s5, s5, .str.4@rel32@hi+103
	s_sub_i32 s12, s4, s6
	s_ashr_i32 s13, s12, 31
	s_waitcnt vmcnt(0)
	v_and_b32_e32 v2, 2, v0
	v_mov_b32_e32 v33, 0
	v_and_b32_e32 v6, -3, v0
	v_mov_b32_e32 v7, v1
	v_mov_b32_e32 v10, 2
	;; [unrolled: 1-line block ×3, first 2 shown]
	s_branch .LBB36_143
.LBB36_142:                             ;   in Loop: Header=BB36_143 Depth=1
	s_or_b64 exec, exec, s[18:19]
	s_sub_u32 s12, s12, s14
	s_subb_u32 s13, s13, s15
	s_add_u32 s6, s6, s14
	s_addc_u32 s7, s7, s15
	s_cmp_lg_u64 s[12:13], 0
	s_cbranch_scc0 .LBB36_225
.LBB36_143:                             ; =>This Loop Header: Depth=1
                                        ;     Child Loop BB36_146 Depth 2
                                        ;     Child Loop BB36_153 Depth 2
	;; [unrolled: 1-line block ×11, first 2 shown]
	v_cmp_lt_u64_e64 s[4:5], s[12:13], 56
	s_and_b64 s[4:5], s[4:5], exec
	v_cmp_gt_u64_e64 s[4:5], s[12:13], 7
	s_cselect_b32 s15, s13, 0
	s_cselect_b32 s14, s12, 56
	s_and_b64 vcc, exec, s[4:5]
	s_cbranch_vccnz .LBB36_148
; %bb.144:                              ;   in Loop: Header=BB36_143 Depth=1
	s_mov_b64 s[4:5], 0
	s_cmp_eq_u64 s[12:13], 0
	v_pk_mov_b32 v[14:15], 0, 0
	s_cbranch_scc1 .LBB36_147
; %bb.145:                              ;   in Loop: Header=BB36_143 Depth=1
	s_lshl_b64 s[16:17], s[14:15], 3
	s_mov_b64 s[18:19], 0
	v_pk_mov_b32 v[14:15], 0, 0
	s_mov_b64 s[20:21], s[6:7]
.LBB36_146:                             ;   Parent Loop BB36_143 Depth=1
                                        ; =>  This Inner Loop Header: Depth=2
	global_load_ubyte v3, v33, s[20:21]
	s_waitcnt vmcnt(0)
	v_and_b32_e32 v32, 0xffff, v3
	v_lshlrev_b64 v[8:9], s18, v[32:33]
	s_add_u32 s18, s18, 8
	s_addc_u32 s19, s19, 0
	s_add_u32 s20, s20, 1
	s_addc_u32 s21, s21, 0
	v_or_b32_e32 v14, v8, v14
	s_cmp_lg_u32 s16, s18
	v_or_b32_e32 v15, v9, v15
	s_cbranch_scc1 .LBB36_146
.LBB36_147:                             ;   in Loop: Header=BB36_143 Depth=1
	s_mov_b32 s20, 0
	s_andn2_b64 vcc, exec, s[4:5]
	s_mov_b64 s[4:5], s[6:7]
	s_cbranch_vccz .LBB36_149
	s_branch .LBB36_150
.LBB36_148:                             ;   in Loop: Header=BB36_143 Depth=1
                                        ; implicit-def: $vgpr14_vgpr15
                                        ; implicit-def: $sgpr20
	s_mov_b64 s[4:5], s[6:7]
.LBB36_149:                             ;   in Loop: Header=BB36_143 Depth=1
	global_load_dwordx2 v[14:15], v33, s[6:7]
	s_add_i32 s20, s14, -8
	s_add_u32 s4, s6, 8
	s_addc_u32 s5, s7, 0
.LBB36_150:                             ;   in Loop: Header=BB36_143 Depth=1
	s_cmp_gt_u32 s20, 7
	s_cbranch_scc1 .LBB36_154
; %bb.151:                              ;   in Loop: Header=BB36_143 Depth=1
	s_cmp_eq_u32 s20, 0
	s_cbranch_scc1 .LBB36_155
; %bb.152:                              ;   in Loop: Header=BB36_143 Depth=1
	s_mov_b64 s[16:17], 0
	v_pk_mov_b32 v[16:17], 0, 0
	s_mov_b64 s[18:19], 0
.LBB36_153:                             ;   Parent Loop BB36_143 Depth=1
                                        ; =>  This Inner Loop Header: Depth=2
	s_add_u32 s22, s4, s18
	s_addc_u32 s23, s5, s19
	global_load_ubyte v3, v33, s[22:23]
	s_add_u32 s18, s18, 1
	s_addc_u32 s19, s19, 0
	s_waitcnt vmcnt(0)
	v_and_b32_e32 v32, 0xffff, v3
	v_lshlrev_b64 v[8:9], s16, v[32:33]
	s_add_u32 s16, s16, 8
	s_addc_u32 s17, s17, 0
	v_or_b32_e32 v16, v8, v16
	s_cmp_lg_u32 s20, s18
	v_or_b32_e32 v17, v9, v17
	s_cbranch_scc1 .LBB36_153
	s_branch .LBB36_156
.LBB36_154:                             ;   in Loop: Header=BB36_143 Depth=1
                                        ; implicit-def: $vgpr16_vgpr17
                                        ; implicit-def: $sgpr21
	s_branch .LBB36_157
.LBB36_155:                             ;   in Loop: Header=BB36_143 Depth=1
	v_pk_mov_b32 v[16:17], 0, 0
.LBB36_156:                             ;   in Loop: Header=BB36_143 Depth=1
	s_mov_b32 s21, 0
	s_cbranch_execnz .LBB36_158
.LBB36_157:                             ;   in Loop: Header=BB36_143 Depth=1
	global_load_dwordx2 v[16:17], v33, s[4:5]
	s_add_i32 s21, s20, -8
	s_add_u32 s4, s4, 8
	s_addc_u32 s5, s5, 0
.LBB36_158:                             ;   in Loop: Header=BB36_143 Depth=1
	s_cmp_gt_u32 s21, 7
	s_cbranch_scc1 .LBB36_162
; %bb.159:                              ;   in Loop: Header=BB36_143 Depth=1
	s_cmp_eq_u32 s21, 0
	s_cbranch_scc1 .LBB36_163
; %bb.160:                              ;   in Loop: Header=BB36_143 Depth=1
	s_mov_b64 s[16:17], 0
	v_pk_mov_b32 v[18:19], 0, 0
	s_mov_b64 s[18:19], 0
.LBB36_161:                             ;   Parent Loop BB36_143 Depth=1
                                        ; =>  This Inner Loop Header: Depth=2
	s_add_u32 s22, s4, s18
	s_addc_u32 s23, s5, s19
	global_load_ubyte v3, v33, s[22:23]
	s_add_u32 s18, s18, 1
	s_addc_u32 s19, s19, 0
	s_waitcnt vmcnt(0)
	v_and_b32_e32 v32, 0xffff, v3
	v_lshlrev_b64 v[8:9], s16, v[32:33]
	s_add_u32 s16, s16, 8
	s_addc_u32 s17, s17, 0
	v_or_b32_e32 v18, v8, v18
	s_cmp_lg_u32 s21, s18
	v_or_b32_e32 v19, v9, v19
	s_cbranch_scc1 .LBB36_161
	s_branch .LBB36_164
.LBB36_162:                             ;   in Loop: Header=BB36_143 Depth=1
                                        ; implicit-def: $sgpr20
	s_branch .LBB36_165
.LBB36_163:                             ;   in Loop: Header=BB36_143 Depth=1
	v_pk_mov_b32 v[18:19], 0, 0
.LBB36_164:                             ;   in Loop: Header=BB36_143 Depth=1
	s_mov_b32 s20, 0
	s_cbranch_execnz .LBB36_166
.LBB36_165:                             ;   in Loop: Header=BB36_143 Depth=1
	global_load_dwordx2 v[18:19], v33, s[4:5]
	s_add_i32 s20, s21, -8
	s_add_u32 s4, s4, 8
	s_addc_u32 s5, s5, 0
.LBB36_166:                             ;   in Loop: Header=BB36_143 Depth=1
	s_cmp_gt_u32 s20, 7
	s_cbranch_scc1 .LBB36_170
; %bb.167:                              ;   in Loop: Header=BB36_143 Depth=1
	s_cmp_eq_u32 s20, 0
	s_cbranch_scc1 .LBB36_171
; %bb.168:                              ;   in Loop: Header=BB36_143 Depth=1
	s_mov_b64 s[16:17], 0
	v_pk_mov_b32 v[20:21], 0, 0
	s_mov_b64 s[18:19], 0
.LBB36_169:                             ;   Parent Loop BB36_143 Depth=1
                                        ; =>  This Inner Loop Header: Depth=2
	s_add_u32 s22, s4, s18
	s_addc_u32 s23, s5, s19
	global_load_ubyte v3, v33, s[22:23]
	s_add_u32 s18, s18, 1
	s_addc_u32 s19, s19, 0
	s_waitcnt vmcnt(0)
	v_and_b32_e32 v32, 0xffff, v3
	v_lshlrev_b64 v[8:9], s16, v[32:33]
	s_add_u32 s16, s16, 8
	s_addc_u32 s17, s17, 0
	v_or_b32_e32 v20, v8, v20
	s_cmp_lg_u32 s20, s18
	v_or_b32_e32 v21, v9, v21
	s_cbranch_scc1 .LBB36_169
	s_branch .LBB36_172
.LBB36_170:                             ;   in Loop: Header=BB36_143 Depth=1
                                        ; implicit-def: $vgpr20_vgpr21
                                        ; implicit-def: $sgpr21
	s_branch .LBB36_173
.LBB36_171:                             ;   in Loop: Header=BB36_143 Depth=1
	v_pk_mov_b32 v[20:21], 0, 0
.LBB36_172:                             ;   in Loop: Header=BB36_143 Depth=1
	s_mov_b32 s21, 0
	s_cbranch_execnz .LBB36_174
.LBB36_173:                             ;   in Loop: Header=BB36_143 Depth=1
	global_load_dwordx2 v[20:21], v33, s[4:5]
	s_add_i32 s21, s20, -8
	s_add_u32 s4, s4, 8
	s_addc_u32 s5, s5, 0
.LBB36_174:                             ;   in Loop: Header=BB36_143 Depth=1
	s_cmp_gt_u32 s21, 7
	s_cbranch_scc1 .LBB36_178
; %bb.175:                              ;   in Loop: Header=BB36_143 Depth=1
	s_cmp_eq_u32 s21, 0
	s_cbranch_scc1 .LBB36_179
; %bb.176:                              ;   in Loop: Header=BB36_143 Depth=1
	s_mov_b64 s[16:17], 0
	v_pk_mov_b32 v[22:23], 0, 0
	s_mov_b64 s[18:19], 0
.LBB36_177:                             ;   Parent Loop BB36_143 Depth=1
                                        ; =>  This Inner Loop Header: Depth=2
	s_add_u32 s22, s4, s18
	s_addc_u32 s23, s5, s19
	global_load_ubyte v3, v33, s[22:23]
	s_add_u32 s18, s18, 1
	s_addc_u32 s19, s19, 0
	s_waitcnt vmcnt(0)
	v_and_b32_e32 v32, 0xffff, v3
	v_lshlrev_b64 v[8:9], s16, v[32:33]
	s_add_u32 s16, s16, 8
	s_addc_u32 s17, s17, 0
	v_or_b32_e32 v22, v8, v22
	s_cmp_lg_u32 s21, s18
	v_or_b32_e32 v23, v9, v23
	s_cbranch_scc1 .LBB36_177
	s_branch .LBB36_180
.LBB36_178:                             ;   in Loop: Header=BB36_143 Depth=1
                                        ; implicit-def: $sgpr20
	s_branch .LBB36_181
.LBB36_179:                             ;   in Loop: Header=BB36_143 Depth=1
	v_pk_mov_b32 v[22:23], 0, 0
.LBB36_180:                             ;   in Loop: Header=BB36_143 Depth=1
	s_mov_b32 s20, 0
	s_cbranch_execnz .LBB36_182
.LBB36_181:                             ;   in Loop: Header=BB36_143 Depth=1
	global_load_dwordx2 v[22:23], v33, s[4:5]
	s_add_i32 s20, s21, -8
	s_add_u32 s4, s4, 8
	s_addc_u32 s5, s5, 0
.LBB36_182:                             ;   in Loop: Header=BB36_143 Depth=1
	s_cmp_gt_u32 s20, 7
	s_cbranch_scc1 .LBB36_186
; %bb.183:                              ;   in Loop: Header=BB36_143 Depth=1
	s_cmp_eq_u32 s20, 0
	s_cbranch_scc1 .LBB36_187
; %bb.184:                              ;   in Loop: Header=BB36_143 Depth=1
	s_mov_b64 s[16:17], 0
	v_pk_mov_b32 v[24:25], 0, 0
	s_mov_b64 s[18:19], 0
.LBB36_185:                             ;   Parent Loop BB36_143 Depth=1
                                        ; =>  This Inner Loop Header: Depth=2
	s_add_u32 s22, s4, s18
	s_addc_u32 s23, s5, s19
	global_load_ubyte v3, v33, s[22:23]
	s_add_u32 s18, s18, 1
	s_addc_u32 s19, s19, 0
	s_waitcnt vmcnt(0)
	v_and_b32_e32 v32, 0xffff, v3
	v_lshlrev_b64 v[8:9], s16, v[32:33]
	s_add_u32 s16, s16, 8
	s_addc_u32 s17, s17, 0
	v_or_b32_e32 v24, v8, v24
	s_cmp_lg_u32 s20, s18
	v_or_b32_e32 v25, v9, v25
	s_cbranch_scc1 .LBB36_185
	s_branch .LBB36_188
.LBB36_186:                             ;   in Loop: Header=BB36_143 Depth=1
                                        ; implicit-def: $vgpr24_vgpr25
                                        ; implicit-def: $sgpr21
	s_branch .LBB36_189
.LBB36_187:                             ;   in Loop: Header=BB36_143 Depth=1
	v_pk_mov_b32 v[24:25], 0, 0
.LBB36_188:                             ;   in Loop: Header=BB36_143 Depth=1
	s_mov_b32 s21, 0
	s_cbranch_execnz .LBB36_190
.LBB36_189:                             ;   in Loop: Header=BB36_143 Depth=1
	global_load_dwordx2 v[24:25], v33, s[4:5]
	s_add_i32 s21, s20, -8
	s_add_u32 s4, s4, 8
	s_addc_u32 s5, s5, 0
.LBB36_190:                             ;   in Loop: Header=BB36_143 Depth=1
	s_cmp_gt_u32 s21, 7
	s_cbranch_scc1 .LBB36_194
; %bb.191:                              ;   in Loop: Header=BB36_143 Depth=1
	s_cmp_eq_u32 s21, 0
	s_cbranch_scc1 .LBB36_195
; %bb.192:                              ;   in Loop: Header=BB36_143 Depth=1
	s_mov_b64 s[16:17], 0
	v_pk_mov_b32 v[26:27], 0, 0
	s_mov_b64 s[18:19], s[4:5]
.LBB36_193:                             ;   Parent Loop BB36_143 Depth=1
                                        ; =>  This Inner Loop Header: Depth=2
	global_load_ubyte v3, v33, s[18:19]
	s_add_i32 s21, s21, -1
	s_waitcnt vmcnt(0)
	v_and_b32_e32 v32, 0xffff, v3
	v_lshlrev_b64 v[8:9], s16, v[32:33]
	s_add_u32 s16, s16, 8
	s_addc_u32 s17, s17, 0
	s_add_u32 s18, s18, 1
	s_addc_u32 s19, s19, 0
	v_or_b32_e32 v26, v8, v26
	s_cmp_lg_u32 s21, 0
	v_or_b32_e32 v27, v9, v27
	s_cbranch_scc1 .LBB36_193
	s_branch .LBB36_196
.LBB36_194:                             ;   in Loop: Header=BB36_143 Depth=1
	s_branch .LBB36_197
.LBB36_195:                             ;   in Loop: Header=BB36_143 Depth=1
	v_pk_mov_b32 v[26:27], 0, 0
.LBB36_196:                             ;   in Loop: Header=BB36_143 Depth=1
	s_cbranch_execnz .LBB36_198
.LBB36_197:                             ;   in Loop: Header=BB36_143 Depth=1
	global_load_dwordx2 v[26:27], v33, s[4:5]
.LBB36_198:                             ;   in Loop: Header=BB36_143 Depth=1
	v_readfirstlane_b32 s4, v37
	v_cmp_eq_u32_e64 s[4:5], s4, v37
	s_waitcnt vmcnt(0)
	v_pk_mov_b32 v[8:9], 0, 0
	s_and_saveexec_b64 s[16:17], s[4:5]
	s_cbranch_execz .LBB36_204
; %bb.199:                              ;   in Loop: Header=BB36_143 Depth=1
	global_load_dwordx2 v[30:31], v33, s[10:11] offset:24 glc
	s_waitcnt vmcnt(0)
	buffer_invl2
	buffer_wbinvl1_vol
	global_load_dwordx2 v[8:9], v33, s[10:11] offset:40
	global_load_dwordx2 v[12:13], v33, s[10:11]
	s_waitcnt vmcnt(1)
	v_and_b32_e32 v3, v8, v30
	v_and_b32_e32 v8, v9, v31
	v_mul_lo_u32 v8, v8, 24
	v_mul_hi_u32 v9, v3, 24
	v_mul_lo_u32 v3, v3, 24
	v_add_u32_e32 v9, v9, v8
	s_waitcnt vmcnt(0)
	v_add_co_u32_e32 v8, vcc, v12, v3
	v_addc_co_u32_e32 v9, vcc, v13, v9, vcc
	global_load_dwordx2 v[28:29], v[8:9], off glc
	s_waitcnt vmcnt(0)
	global_atomic_cmpswap_x2 v[8:9], v33, v[28:31], s[10:11] offset:24 glc
	s_waitcnt vmcnt(0)
	buffer_invl2
	buffer_wbinvl1_vol
	v_cmp_ne_u64_e32 vcc, v[8:9], v[30:31]
	s_and_saveexec_b64 s[18:19], vcc
	s_cbranch_execz .LBB36_203
; %bb.200:                              ;   in Loop: Header=BB36_143 Depth=1
	s_mov_b64 s[20:21], 0
.LBB36_201:                             ;   Parent Loop BB36_143 Depth=1
                                        ; =>  This Inner Loop Header: Depth=2
	s_sleep 1
	global_load_dwordx2 v[12:13], v33, s[10:11] offset:40
	global_load_dwordx2 v[28:29], v33, s[10:11]
	v_pk_mov_b32 v[30:31], v[8:9], v[8:9] op_sel:[0,1]
	s_waitcnt vmcnt(1)
	v_and_b32_e32 v8, v12, v30
	s_waitcnt vmcnt(0)
	v_mad_u64_u32 v[8:9], s[22:23], v8, 24, v[28:29]
	v_and_b32_e32 v3, v13, v31
	v_mov_b32_e32 v12, v9
	v_mad_u64_u32 v[12:13], s[22:23], v3, 24, v[12:13]
	v_mov_b32_e32 v9, v12
	global_load_dwordx2 v[28:29], v[8:9], off glc
	s_waitcnt vmcnt(0)
	global_atomic_cmpswap_x2 v[8:9], v33, v[28:31], s[10:11] offset:24 glc
	s_waitcnt vmcnt(0)
	buffer_invl2
	buffer_wbinvl1_vol
	v_cmp_eq_u64_e32 vcc, v[8:9], v[30:31]
	s_or_b64 s[20:21], vcc, s[20:21]
	s_andn2_b64 exec, exec, s[20:21]
	s_cbranch_execnz .LBB36_201
; %bb.202:                              ;   in Loop: Header=BB36_143 Depth=1
	s_or_b64 exec, exec, s[20:21]
.LBB36_203:                             ;   in Loop: Header=BB36_143 Depth=1
	s_or_b64 exec, exec, s[18:19]
.LBB36_204:                             ;   in Loop: Header=BB36_143 Depth=1
	s_or_b64 exec, exec, s[16:17]
	global_load_dwordx2 v[12:13], v33, s[10:11] offset:40
	global_load_dwordx4 v[28:31], v33, s[10:11]
	v_readfirstlane_b32 s16, v8
	v_readfirstlane_b32 s17, v9
	s_mov_b64 s[18:19], exec
	s_waitcnt vmcnt(1)
	v_readfirstlane_b32 s20, v12
	v_readfirstlane_b32 s21, v13
	s_and_b64 s[20:21], s[16:17], s[20:21]
	s_mul_i32 s22, s21, 24
	s_mul_hi_u32 s23, s20, 24
	s_mul_i32 s24, s20, 24
	s_add_i32 s22, s23, s22
	v_mov_b32_e32 v3, s22
	s_waitcnt vmcnt(0)
	v_add_co_u32_e32 v34, vcc, s24, v28
	v_addc_co_u32_e32 v35, vcc, v29, v3, vcc
	s_and_saveexec_b64 s[22:23], s[4:5]
	s_cbranch_execz .LBB36_206
; %bb.205:                              ;   in Loop: Header=BB36_143 Depth=1
	v_pk_mov_b32 v[8:9], s[18:19], s[18:19] op_sel:[0,1]
	global_store_dwordx4 v[34:35], v[8:11], off offset:8
.LBB36_206:                             ;   in Loop: Header=BB36_143 Depth=1
	s_or_b64 exec, exec, s[22:23]
	s_lshl_b64 s[18:19], s[20:21], 12
	v_mov_b32_e32 v3, s19
	v_add_co_u32_e32 v30, vcc, s18, v30
	v_addc_co_u32_e32 v3, vcc, v31, v3, vcc
	v_or_b32_e32 v9, v6, v2
	v_cmp_gt_u64_e64 vcc, s[12:13], 56
	s_lshl_b32 s18, s14, 2
	v_cndmask_b32_e32 v6, v9, v6, vcc
	s_add_i32 s18, s18, 28
	v_or_b32_e32 v8, 0, v7
	s_and_b32 s18, s18, 0x1e0
	v_and_b32_e32 v6, 0xffffff1f, v6
	v_cndmask_b32_e32 v13, v8, v7, vcc
	v_or_b32_e32 v12, s18, v6
	v_readfirstlane_b32 s18, v30
	v_readfirstlane_b32 s19, v3
	s_nop 4
	global_store_dwordx4 v36, v[12:15], s[18:19]
	global_store_dwordx4 v36, v[16:19], s[18:19] offset:16
	global_store_dwordx4 v36, v[20:23], s[18:19] offset:32
	;; [unrolled: 1-line block ×3, first 2 shown]
	s_and_saveexec_b64 s[18:19], s[4:5]
	s_cbranch_execz .LBB36_214
; %bb.207:                              ;   in Loop: Header=BB36_143 Depth=1
	global_load_dwordx2 v[16:17], v33, s[10:11] offset:32 glc
	global_load_dwordx2 v[6:7], v33, s[10:11] offset:40
	v_mov_b32_e32 v14, s16
	v_mov_b32_e32 v15, s17
	s_waitcnt vmcnt(0)
	v_readfirstlane_b32 s20, v6
	v_readfirstlane_b32 s21, v7
	s_and_b64 s[20:21], s[20:21], s[16:17]
	s_mul_i32 s21, s21, 24
	s_mul_hi_u32 s22, s20, 24
	s_mul_i32 s20, s20, 24
	s_add_i32 s21, s22, s21
	v_mov_b32_e32 v6, s21
	v_add_co_u32_e32 v12, vcc, s20, v28
	v_addc_co_u32_e32 v13, vcc, v29, v6, vcc
	global_store_dwordx2 v[12:13], v[16:17], off
	buffer_wbl2
	s_waitcnt vmcnt(0)
	global_atomic_cmpswap_x2 v[8:9], v33, v[14:17], s[10:11] offset:32 glc
	s_waitcnt vmcnt(0)
	v_cmp_ne_u64_e32 vcc, v[8:9], v[16:17]
	s_and_saveexec_b64 s[20:21], vcc
	s_cbranch_execz .LBB36_210
; %bb.208:                              ;   in Loop: Header=BB36_143 Depth=1
	s_mov_b64 s[22:23], 0
.LBB36_209:                             ;   Parent Loop BB36_143 Depth=1
                                        ; =>  This Inner Loop Header: Depth=2
	s_sleep 1
	global_store_dwordx2 v[12:13], v[8:9], off
	v_mov_b32_e32 v6, s16
	v_mov_b32_e32 v7, s17
	buffer_wbl2
	s_waitcnt vmcnt(0)
	global_atomic_cmpswap_x2 v[6:7], v33, v[6:9], s[10:11] offset:32 glc
	s_waitcnt vmcnt(0)
	v_cmp_eq_u64_e32 vcc, v[6:7], v[8:9]
	s_or_b64 s[22:23], vcc, s[22:23]
	v_pk_mov_b32 v[8:9], v[6:7], v[6:7] op_sel:[0,1]
	s_andn2_b64 exec, exec, s[22:23]
	s_cbranch_execnz .LBB36_209
.LBB36_210:                             ;   in Loop: Header=BB36_143 Depth=1
	s_or_b64 exec, exec, s[20:21]
	global_load_dwordx2 v[6:7], v33, s[10:11] offset:16
	s_mov_b64 s[22:23], exec
	v_mbcnt_lo_u32_b32 v8, s22, 0
	v_mbcnt_hi_u32_b32 v8, s23, v8
	v_cmp_eq_u32_e32 vcc, 0, v8
	s_and_saveexec_b64 s[20:21], vcc
	s_cbranch_execz .LBB36_212
; %bb.211:                              ;   in Loop: Header=BB36_143 Depth=1
	s_bcnt1_i32_b64 s22, s[22:23]
	v_mov_b32_e32 v32, s22
	buffer_wbl2
	s_waitcnt vmcnt(0)
	global_atomic_add_x2 v[6:7], v[32:33], off offset:8
.LBB36_212:                             ;   in Loop: Header=BB36_143 Depth=1
	s_or_b64 exec, exec, s[20:21]
	s_waitcnt vmcnt(0)
	global_load_dwordx2 v[8:9], v[6:7], off offset:16
	s_waitcnt vmcnt(0)
	v_cmp_eq_u64_e32 vcc, 0, v[8:9]
	s_cbranch_vccnz .LBB36_214
; %bb.213:                              ;   in Loop: Header=BB36_143 Depth=1
	global_load_dword v32, v[6:7], off offset:24
	s_waitcnt vmcnt(0)
	v_and_b32_e32 v6, 0xffffff, v32
	v_readfirstlane_b32 m0, v6
	buffer_wbl2
	global_store_dwordx2 v[8:9], v[32:33], off
	s_sendmsg sendmsg(MSG_INTERRUPT)
.LBB36_214:                             ;   in Loop: Header=BB36_143 Depth=1
	s_or_b64 exec, exec, s[18:19]
	v_add_co_u32_e32 v6, vcc, v30, v36
	v_addc_co_u32_e32 v7, vcc, 0, v3, vcc
	s_branch .LBB36_218
.LBB36_215:                             ;   in Loop: Header=BB36_218 Depth=2
	s_or_b64 exec, exec, s[18:19]
	v_readfirstlane_b32 s18, v3
	s_cmp_eq_u32 s18, 0
	s_cbranch_scc1 .LBB36_217
; %bb.216:                              ;   in Loop: Header=BB36_218 Depth=2
	s_sleep 1
	s_cbranch_execnz .LBB36_218
	s_branch .LBB36_220
.LBB36_217:                             ;   in Loop: Header=BB36_143 Depth=1
	s_branch .LBB36_220
.LBB36_218:                             ;   Parent Loop BB36_143 Depth=1
                                        ; =>  This Inner Loop Header: Depth=2
	v_mov_b32_e32 v3, 1
	s_and_saveexec_b64 s[18:19], s[4:5]
	s_cbranch_execz .LBB36_215
; %bb.219:                              ;   in Loop: Header=BB36_218 Depth=2
	global_load_dword v3, v[34:35], off offset:20 glc
	s_waitcnt vmcnt(0)
	buffer_invl2
	buffer_wbinvl1_vol
	v_and_b32_e32 v3, 1, v3
	s_branch .LBB36_215
.LBB36_220:                             ;   in Loop: Header=BB36_143 Depth=1
	global_load_dwordx4 v[6:9], v[6:7], off
	s_and_saveexec_b64 s[18:19], s[4:5]
	s_cbranch_execz .LBB36_142
; %bb.221:                              ;   in Loop: Header=BB36_143 Depth=1
	global_load_dwordx2 v[8:9], v33, s[10:11] offset:40
	global_load_dwordx2 v[16:17], v33, s[10:11] offset:24 glc
	global_load_dwordx2 v[18:19], v33, s[10:11]
	v_mov_b32_e32 v3, s17
	s_waitcnt vmcnt(2)
	v_add_co_u32_e32 v15, vcc, 1, v8
	v_addc_co_u32_e32 v20, vcc, 0, v9, vcc
	v_add_co_u32_e32 v12, vcc, s16, v15
	v_addc_co_u32_e32 v13, vcc, v20, v3, vcc
	v_cmp_eq_u64_e32 vcc, 0, v[12:13]
	v_cndmask_b32_e32 v13, v13, v20, vcc
	v_cndmask_b32_e32 v12, v12, v15, vcc
	v_and_b32_e32 v3, v13, v9
	v_and_b32_e32 v8, v12, v8
	v_mul_lo_u32 v3, v3, 24
	v_mul_hi_u32 v9, v8, 24
	v_mul_lo_u32 v8, v8, 24
	v_add_u32_e32 v3, v9, v3
	s_waitcnt vmcnt(0)
	v_add_co_u32_e32 v8, vcc, v18, v8
	v_addc_co_u32_e32 v9, vcc, v19, v3, vcc
	v_mov_b32_e32 v14, v16
	global_store_dwordx2 v[8:9], v[16:17], off
	v_mov_b32_e32 v15, v17
	buffer_wbl2
	s_waitcnt vmcnt(0)
	global_atomic_cmpswap_x2 v[14:15], v33, v[12:15], s[10:11] offset:24 glc
	s_waitcnt vmcnt(0)
	v_cmp_ne_u64_e32 vcc, v[14:15], v[16:17]
	s_and_b64 exec, exec, vcc
	s_cbranch_execz .LBB36_142
; %bb.222:                              ;   in Loop: Header=BB36_143 Depth=1
	s_mov_b64 s[4:5], 0
.LBB36_223:                             ;   Parent Loop BB36_143 Depth=1
                                        ; =>  This Inner Loop Header: Depth=2
	s_sleep 1
	global_store_dwordx2 v[8:9], v[14:15], off
	buffer_wbl2
	s_waitcnt vmcnt(0)
	global_atomic_cmpswap_x2 v[16:17], v33, v[12:15], s[10:11] offset:24 glc
	s_waitcnt vmcnt(0)
	v_cmp_eq_u64_e32 vcc, v[16:17], v[14:15]
	s_or_b64 s[4:5], vcc, s[4:5]
	v_pk_mov_b32 v[14:15], v[16:17], v[16:17] op_sel:[0,1]
	s_andn2_b64 exec, exec, s[4:5]
	s_cbranch_execnz .LBB36_223
	s_branch .LBB36_142
.LBB36_224:
                                        ; implicit-def: $vgpr6_vgpr7
	s_cbranch_execnz .LBB36_226
	s_branch .LBB36_252
.LBB36_225:
	s_branch .LBB36_252
.LBB36_226:
	v_readfirstlane_b32 s4, v37
	v_cmp_eq_u32_e64 s[4:5], s4, v37
	v_pk_mov_b32 v[10:11], 0, 0
	s_and_saveexec_b64 s[6:7], s[4:5]
	s_cbranch_execz .LBB36_232
; %bb.227:
	s_waitcnt vmcnt(0)
	v_mov_b32_e32 v2, 0
	global_load_dwordx2 v[8:9], v2, s[10:11] offset:24 glc
	s_waitcnt vmcnt(0)
	buffer_invl2
	buffer_wbinvl1_vol
	global_load_dwordx2 v[6:7], v2, s[10:11] offset:40
	global_load_dwordx2 v[10:11], v2, s[10:11]
	s_waitcnt vmcnt(1)
	v_and_b32_e32 v3, v6, v8
	v_and_b32_e32 v6, v7, v9
	v_mul_lo_u32 v6, v6, 24
	v_mul_hi_u32 v7, v3, 24
	v_mul_lo_u32 v3, v3, 24
	v_add_u32_e32 v7, v7, v6
	s_waitcnt vmcnt(0)
	v_add_co_u32_e32 v6, vcc, v10, v3
	v_addc_co_u32_e32 v7, vcc, v11, v7, vcc
	global_load_dwordx2 v[6:7], v[6:7], off glc
	s_waitcnt vmcnt(0)
	global_atomic_cmpswap_x2 v[10:11], v2, v[6:9], s[10:11] offset:24 glc
	s_waitcnt vmcnt(0)
	buffer_invl2
	buffer_wbinvl1_vol
	v_cmp_ne_u64_e32 vcc, v[10:11], v[8:9]
	s_and_saveexec_b64 s[12:13], vcc
	s_cbranch_execz .LBB36_231
; %bb.228:
	s_mov_b64 s[14:15], 0
.LBB36_229:                             ; =>This Inner Loop Header: Depth=1
	s_sleep 1
	global_load_dwordx2 v[6:7], v2, s[10:11] offset:40
	global_load_dwordx2 v[12:13], v2, s[10:11]
	v_pk_mov_b32 v[8:9], v[10:11], v[10:11] op_sel:[0,1]
	s_waitcnt vmcnt(1)
	v_and_b32_e32 v6, v6, v8
	v_and_b32_e32 v3, v7, v9
	s_waitcnt vmcnt(0)
	v_mad_u64_u32 v[6:7], s[16:17], v6, 24, v[12:13]
	v_mov_b32_e32 v10, v7
	v_mad_u64_u32 v[10:11], s[16:17], v3, 24, v[10:11]
	v_mov_b32_e32 v7, v10
	global_load_dwordx2 v[6:7], v[6:7], off glc
	s_waitcnt vmcnt(0)
	global_atomic_cmpswap_x2 v[10:11], v2, v[6:9], s[10:11] offset:24 glc
	s_waitcnt vmcnt(0)
	buffer_invl2
	buffer_wbinvl1_vol
	v_cmp_eq_u64_e32 vcc, v[10:11], v[8:9]
	s_or_b64 s[14:15], vcc, s[14:15]
	s_andn2_b64 exec, exec, s[14:15]
	s_cbranch_execnz .LBB36_229
; %bb.230:
	s_or_b64 exec, exec, s[14:15]
.LBB36_231:
	s_or_b64 exec, exec, s[12:13]
.LBB36_232:
	s_or_b64 exec, exec, s[6:7]
	s_waitcnt vmcnt(0)
	v_mov_b32_e32 v2, 0
	global_load_dwordx2 v[12:13], v2, s[10:11] offset:40
	global_load_dwordx4 v[6:9], v2, s[10:11]
	v_readfirstlane_b32 s6, v10
	v_readfirstlane_b32 s7, v11
	s_mov_b64 s[12:13], exec
	s_waitcnt vmcnt(1)
	v_readfirstlane_b32 s14, v12
	v_readfirstlane_b32 s15, v13
	s_and_b64 s[14:15], s[6:7], s[14:15]
	s_mul_i32 s16, s15, 24
	s_mul_hi_u32 s17, s14, 24
	s_mul_i32 s18, s14, 24
	s_add_i32 s16, s17, s16
	v_mov_b32_e32 v3, s16
	s_waitcnt vmcnt(0)
	v_add_co_u32_e32 v10, vcc, s18, v6
	v_addc_co_u32_e32 v11, vcc, v7, v3, vcc
	s_and_saveexec_b64 s[16:17], s[4:5]
	s_cbranch_execz .LBB36_234
; %bb.233:
	v_pk_mov_b32 v[12:13], s[12:13], s[12:13] op_sel:[0,1]
	v_mov_b32_e32 v14, 2
	v_mov_b32_e32 v15, 1
	global_store_dwordx4 v[10:11], v[12:15], off offset:8
.LBB36_234:
	s_or_b64 exec, exec, s[16:17]
	s_lshl_b64 s[12:13], s[14:15], 12
	v_mov_b32_e32 v3, s13
	v_add_co_u32_e32 v12, vcc, s12, v8
	s_movk_i32 s12, 0xff1f
	v_addc_co_u32_e32 v13, vcc, v9, v3, vcc
	v_and_or_b32 v0, v0, s12, 32
	s_mov_b32 s12, 0
	v_mov_b32_e32 v3, v2
	v_readfirstlane_b32 s16, v12
	v_readfirstlane_b32 s17, v13
	s_mov_b32 s13, s12
	v_add_co_u32_e32 v8, vcc, v12, v36
	s_mov_b32 s14, s12
	s_mov_b32 s15, s12
	s_nop 0
	global_store_dwordx4 v36, v[0:3], s[16:17]
	v_addc_co_u32_e32 v9, vcc, 0, v13, vcc
	v_pk_mov_b32 v[0:1], s[12:13], s[12:13] op_sel:[0,1]
	v_pk_mov_b32 v[2:3], s[14:15], s[14:15] op_sel:[0,1]
	global_store_dwordx4 v36, v[0:3], s[16:17] offset:16
	global_store_dwordx4 v36, v[0:3], s[16:17] offset:32
	;; [unrolled: 1-line block ×3, first 2 shown]
	s_and_saveexec_b64 s[12:13], s[4:5]
	s_cbranch_execz .LBB36_242
; %bb.235:
	v_mov_b32_e32 v12, 0
	global_load_dwordx2 v[16:17], v12, s[10:11] offset:32 glc
	global_load_dwordx2 v[0:1], v12, s[10:11] offset:40
	v_mov_b32_e32 v14, s6
	v_mov_b32_e32 v15, s7
	s_waitcnt vmcnt(0)
	v_readfirstlane_b32 s14, v0
	v_readfirstlane_b32 s15, v1
	s_and_b64 s[14:15], s[14:15], s[6:7]
	s_mul_i32 s15, s15, 24
	s_mul_hi_u32 s16, s14, 24
	s_mul_i32 s14, s14, 24
	s_add_i32 s15, s16, s15
	v_mov_b32_e32 v0, s15
	v_add_co_u32_e32 v6, vcc, s14, v6
	v_addc_co_u32_e32 v7, vcc, v7, v0, vcc
	global_store_dwordx2 v[6:7], v[16:17], off
	buffer_wbl2
	s_waitcnt vmcnt(0)
	global_atomic_cmpswap_x2 v[2:3], v12, v[14:17], s[10:11] offset:32 glc
	s_waitcnt vmcnt(0)
	v_cmp_ne_u64_e32 vcc, v[2:3], v[16:17]
	s_and_saveexec_b64 s[14:15], vcc
	s_cbranch_execz .LBB36_238
; %bb.236:
	s_mov_b64 s[16:17], 0
.LBB36_237:                             ; =>This Inner Loop Header: Depth=1
	s_sleep 1
	global_store_dwordx2 v[6:7], v[2:3], off
	v_mov_b32_e32 v0, s6
	v_mov_b32_e32 v1, s7
	buffer_wbl2
	s_waitcnt vmcnt(0)
	global_atomic_cmpswap_x2 v[0:1], v12, v[0:3], s[10:11] offset:32 glc
	s_waitcnt vmcnt(0)
	v_cmp_eq_u64_e32 vcc, v[0:1], v[2:3]
	s_or_b64 s[16:17], vcc, s[16:17]
	v_pk_mov_b32 v[2:3], v[0:1], v[0:1] op_sel:[0,1]
	s_andn2_b64 exec, exec, s[16:17]
	s_cbranch_execnz .LBB36_237
.LBB36_238:
	s_or_b64 exec, exec, s[14:15]
	v_mov_b32_e32 v3, 0
	global_load_dwordx2 v[0:1], v3, s[10:11] offset:16
	s_mov_b64 s[14:15], exec
	v_mbcnt_lo_u32_b32 v2, s14, 0
	v_mbcnt_hi_u32_b32 v2, s15, v2
	v_cmp_eq_u32_e32 vcc, 0, v2
	s_and_saveexec_b64 s[16:17], vcc
	s_cbranch_execz .LBB36_240
; %bb.239:
	s_bcnt1_i32_b64 s14, s[14:15]
	v_mov_b32_e32 v2, s14
	buffer_wbl2
	s_waitcnt vmcnt(0)
	global_atomic_add_x2 v[0:1], v[2:3], off offset:8
.LBB36_240:
	s_or_b64 exec, exec, s[16:17]
	s_waitcnt vmcnt(0)
	global_load_dwordx2 v[2:3], v[0:1], off offset:16
	s_waitcnt vmcnt(0)
	v_cmp_eq_u64_e32 vcc, 0, v[2:3]
	s_cbranch_vccnz .LBB36_242
; %bb.241:
	global_load_dword v0, v[0:1], off offset:24
	v_mov_b32_e32 v1, 0
	buffer_wbl2
	s_waitcnt vmcnt(0)
	global_store_dwordx2 v[2:3], v[0:1], off
	v_and_b32_e32 v0, 0xffffff, v0
	v_readfirstlane_b32 m0, v0
	s_sendmsg sendmsg(MSG_INTERRUPT)
.LBB36_242:
	s_or_b64 exec, exec, s[12:13]
	s_branch .LBB36_246
.LBB36_243:                             ;   in Loop: Header=BB36_246 Depth=1
	s_or_b64 exec, exec, s[12:13]
	v_readfirstlane_b32 s12, v0
	s_cmp_eq_u32 s12, 0
	s_cbranch_scc1 .LBB36_245
; %bb.244:                              ;   in Loop: Header=BB36_246 Depth=1
	s_sleep 1
	s_cbranch_execnz .LBB36_246
	s_branch .LBB36_248
.LBB36_245:
	s_branch .LBB36_248
.LBB36_246:                             ; =>This Inner Loop Header: Depth=1
	v_mov_b32_e32 v0, 1
	s_and_saveexec_b64 s[12:13], s[4:5]
	s_cbranch_execz .LBB36_243
; %bb.247:                              ;   in Loop: Header=BB36_246 Depth=1
	global_load_dword v0, v[10:11], off offset:20 glc
	s_waitcnt vmcnt(0)
	buffer_invl2
	buffer_wbinvl1_vol
	v_and_b32_e32 v0, 1, v0
	s_branch .LBB36_243
.LBB36_248:
	global_load_dwordx2 v[6:7], v[8:9], off
	s_and_saveexec_b64 s[12:13], s[4:5]
	s_cbranch_execz .LBB36_251
; %bb.249:
	v_mov_b32_e32 v10, 0
	global_load_dwordx2 v[8:9], v10, s[10:11] offset:40
	global_load_dwordx2 v[12:13], v10, s[10:11] offset:24 glc
	global_load_dwordx2 v[14:15], v10, s[10:11]
	v_mov_b32_e32 v1, s7
	s_mov_b64 s[4:5], 0
	s_waitcnt vmcnt(2)
	v_add_co_u32_e32 v3, vcc, 1, v8
	v_addc_co_u32_e32 v11, vcc, 0, v9, vcc
	v_add_co_u32_e32 v0, vcc, s6, v3
	v_addc_co_u32_e32 v1, vcc, v11, v1, vcc
	v_cmp_eq_u64_e32 vcc, 0, v[0:1]
	v_cndmask_b32_e32 v1, v1, v11, vcc
	v_cndmask_b32_e32 v0, v0, v3, vcc
	v_and_b32_e32 v3, v1, v9
	v_and_b32_e32 v8, v0, v8
	v_mul_lo_u32 v3, v3, 24
	v_mul_hi_u32 v9, v8, 24
	v_mul_lo_u32 v8, v8, 24
	v_add_u32_e32 v3, v9, v3
	s_waitcnt vmcnt(0)
	v_add_co_u32_e32 v8, vcc, v14, v8
	v_addc_co_u32_e32 v9, vcc, v15, v3, vcc
	v_mov_b32_e32 v2, v12
	global_store_dwordx2 v[8:9], v[12:13], off
	v_mov_b32_e32 v3, v13
	buffer_wbl2
	s_waitcnt vmcnt(0)
	global_atomic_cmpswap_x2 v[2:3], v10, v[0:3], s[10:11] offset:24 glc
	s_waitcnt vmcnt(0)
	v_cmp_ne_u64_e32 vcc, v[2:3], v[12:13]
	s_and_b64 exec, exec, vcc
	s_cbranch_execz .LBB36_251
.LBB36_250:                             ; =>This Inner Loop Header: Depth=1
	s_sleep 1
	global_store_dwordx2 v[8:9], v[2:3], off
	buffer_wbl2
	s_waitcnt vmcnt(0)
	global_atomic_cmpswap_x2 v[12:13], v10, v[0:3], s[10:11] offset:24 glc
	s_waitcnt vmcnt(0)
	v_cmp_eq_u64_e32 vcc, v[12:13], v[2:3]
	s_or_b64 s[4:5], vcc, s[4:5]
	v_pk_mov_b32 v[2:3], v[12:13], v[12:13] op_sel:[0,1]
	s_andn2_b64 exec, exec, s[4:5]
	s_cbranch_execnz .LBB36_250
.LBB36_251:
	s_or_b64 exec, exec, s[12:13]
.LBB36_252:
	v_readfirstlane_b32 s4, v37
	v_cmp_eq_u32_e64 s[4:5], s4, v37
	v_pk_mov_b32 v[10:11], 0, 0
	s_and_saveexec_b64 s[6:7], s[4:5]
	s_cbranch_execz .LBB36_258
; %bb.253:
	s_waitcnt vmcnt(0)
	v_mov_b32_e32 v0, 0
	global_load_dwordx2 v[12:13], v0, s[10:11] offset:24 glc
	s_waitcnt vmcnt(0)
	buffer_invl2
	buffer_wbinvl1_vol
	global_load_dwordx2 v[2:3], v0, s[10:11] offset:40
	global_load_dwordx2 v[8:9], v0, s[10:11]
	s_waitcnt vmcnt(1)
	v_and_b32_e32 v1, v2, v12
	v_and_b32_e32 v2, v3, v13
	v_mul_lo_u32 v2, v2, 24
	v_mul_hi_u32 v3, v1, 24
	v_mul_lo_u32 v1, v1, 24
	v_add_u32_e32 v3, v3, v2
	s_waitcnt vmcnt(0)
	v_add_co_u32_e32 v2, vcc, v8, v1
	v_addc_co_u32_e32 v3, vcc, v9, v3, vcc
	global_load_dwordx2 v[10:11], v[2:3], off glc
	s_waitcnt vmcnt(0)
	global_atomic_cmpswap_x2 v[10:11], v0, v[10:13], s[10:11] offset:24 glc
	s_waitcnt vmcnt(0)
	buffer_invl2
	buffer_wbinvl1_vol
	v_cmp_ne_u64_e32 vcc, v[10:11], v[12:13]
	s_and_saveexec_b64 s[12:13], vcc
	s_cbranch_execz .LBB36_257
; %bb.254:
	s_mov_b64 s[14:15], 0
.LBB36_255:                             ; =>This Inner Loop Header: Depth=1
	s_sleep 1
	global_load_dwordx2 v[2:3], v0, s[10:11] offset:40
	global_load_dwordx2 v[8:9], v0, s[10:11]
	v_pk_mov_b32 v[12:13], v[10:11], v[10:11] op_sel:[0,1]
	s_waitcnt vmcnt(1)
	v_and_b32_e32 v2, v2, v12
	v_and_b32_e32 v1, v3, v13
	s_waitcnt vmcnt(0)
	v_mad_u64_u32 v[2:3], s[16:17], v2, 24, v[8:9]
	v_mov_b32_e32 v8, v3
	v_mad_u64_u32 v[8:9], s[16:17], v1, 24, v[8:9]
	v_mov_b32_e32 v3, v8
	global_load_dwordx2 v[10:11], v[2:3], off glc
	s_waitcnt vmcnt(0)
	global_atomic_cmpswap_x2 v[10:11], v0, v[10:13], s[10:11] offset:24 glc
	s_waitcnt vmcnt(0)
	buffer_invl2
	buffer_wbinvl1_vol
	v_cmp_eq_u64_e32 vcc, v[10:11], v[12:13]
	s_or_b64 s[14:15], vcc, s[14:15]
	s_andn2_b64 exec, exec, s[14:15]
	s_cbranch_execnz .LBB36_255
; %bb.256:
	s_or_b64 exec, exec, s[14:15]
.LBB36_257:
	s_or_b64 exec, exec, s[12:13]
.LBB36_258:
	s_or_b64 exec, exec, s[6:7]
	s_waitcnt vmcnt(0)
	v_mov_b32_e32 v9, 0
	global_load_dwordx2 v[12:13], v9, s[10:11] offset:40
	global_load_dwordx4 v[0:3], v9, s[10:11]
	v_readfirstlane_b32 s6, v10
	v_readfirstlane_b32 s7, v11
	s_mov_b64 s[12:13], exec
	s_waitcnt vmcnt(1)
	v_readfirstlane_b32 s14, v12
	v_readfirstlane_b32 s15, v13
	s_and_b64 s[14:15], s[6:7], s[14:15]
	s_mul_i32 s16, s15, 24
	s_mul_hi_u32 s17, s14, 24
	s_mul_i32 s18, s14, 24
	s_add_i32 s16, s17, s16
	v_mov_b32_e32 v8, s16
	s_waitcnt vmcnt(0)
	v_add_co_u32_e32 v10, vcc, s18, v0
	v_addc_co_u32_e32 v11, vcc, v1, v8, vcc
	s_and_saveexec_b64 s[16:17], s[4:5]
	s_cbranch_execz .LBB36_260
; %bb.259:
	v_pk_mov_b32 v[12:13], s[12:13], s[12:13] op_sel:[0,1]
	v_mov_b32_e32 v14, 2
	v_mov_b32_e32 v15, 1
	global_store_dwordx4 v[10:11], v[12:15], off offset:8
.LBB36_260:
	s_or_b64 exec, exec, s[16:17]
	s_lshl_b64 s[12:13], s[14:15], 12
	v_mov_b32_e32 v8, s13
	v_add_co_u32_e32 v2, vcc, s12, v2
	s_movk_i32 s12, 0xff1f
	v_addc_co_u32_e32 v3, vcc, v3, v8, vcc
	v_and_or_b32 v6, v6, s12, 32
	s_mov_b32 s12, 0
	v_mov_b32_e32 v8, 0x13e
	v_readfirstlane_b32 s16, v2
	v_readfirstlane_b32 s17, v3
	s_mov_b32 s13, s12
	v_add_co_u32_e32 v12, vcc, v2, v36
	s_mov_b32 s14, s12
	s_mov_b32 s15, s12
	s_nop 0
	global_store_dwordx4 v36, v[6:9], s[16:17]
	v_addc_co_u32_e32 v13, vcc, 0, v3, vcc
	v_pk_mov_b32 v[6:7], s[12:13], s[12:13] op_sel:[0,1]
	v_pk_mov_b32 v[8:9], s[14:15], s[14:15] op_sel:[0,1]
	global_store_dwordx4 v36, v[6:9], s[16:17] offset:16
	global_store_dwordx4 v36, v[6:9], s[16:17] offset:32
	;; [unrolled: 1-line block ×3, first 2 shown]
	s_and_saveexec_b64 s[12:13], s[4:5]
	s_cbranch_execz .LBB36_268
; %bb.261:
	v_mov_b32_e32 v8, 0
	global_load_dwordx2 v[16:17], v8, s[10:11] offset:32 glc
	global_load_dwordx2 v[2:3], v8, s[10:11] offset:40
	v_mov_b32_e32 v14, s6
	v_mov_b32_e32 v15, s7
	s_waitcnt vmcnt(0)
	v_readfirstlane_b32 s14, v2
	v_readfirstlane_b32 s15, v3
	s_and_b64 s[14:15], s[14:15], s[6:7]
	s_mul_i32 s15, s15, 24
	s_mul_hi_u32 s16, s14, 24
	s_mul_i32 s14, s14, 24
	s_add_i32 s15, s16, s15
	v_mov_b32_e32 v2, s15
	v_add_co_u32_e32 v6, vcc, s14, v0
	v_addc_co_u32_e32 v7, vcc, v1, v2, vcc
	global_store_dwordx2 v[6:7], v[16:17], off
	buffer_wbl2
	s_waitcnt vmcnt(0)
	global_atomic_cmpswap_x2 v[2:3], v8, v[14:17], s[10:11] offset:32 glc
	s_waitcnt vmcnt(0)
	v_cmp_ne_u64_e32 vcc, v[2:3], v[16:17]
	s_and_saveexec_b64 s[14:15], vcc
	s_cbranch_execz .LBB36_264
; %bb.262:
	s_mov_b64 s[16:17], 0
.LBB36_263:                             ; =>This Inner Loop Header: Depth=1
	s_sleep 1
	global_store_dwordx2 v[6:7], v[2:3], off
	v_mov_b32_e32 v0, s6
	v_mov_b32_e32 v1, s7
	buffer_wbl2
	s_waitcnt vmcnt(0)
	global_atomic_cmpswap_x2 v[0:1], v8, v[0:3], s[10:11] offset:32 glc
	s_waitcnt vmcnt(0)
	v_cmp_eq_u64_e32 vcc, v[0:1], v[2:3]
	s_or_b64 s[16:17], vcc, s[16:17]
	v_pk_mov_b32 v[2:3], v[0:1], v[0:1] op_sel:[0,1]
	s_andn2_b64 exec, exec, s[16:17]
	s_cbranch_execnz .LBB36_263
.LBB36_264:
	s_or_b64 exec, exec, s[14:15]
	v_mov_b32_e32 v3, 0
	global_load_dwordx2 v[0:1], v3, s[10:11] offset:16
	s_mov_b64 s[14:15], exec
	v_mbcnt_lo_u32_b32 v2, s14, 0
	v_mbcnt_hi_u32_b32 v2, s15, v2
	v_cmp_eq_u32_e32 vcc, 0, v2
	s_and_saveexec_b64 s[16:17], vcc
	s_cbranch_execz .LBB36_266
; %bb.265:
	s_bcnt1_i32_b64 s14, s[14:15]
	v_mov_b32_e32 v2, s14
	buffer_wbl2
	s_waitcnt vmcnt(0)
	global_atomic_add_x2 v[0:1], v[2:3], off offset:8
.LBB36_266:
	s_or_b64 exec, exec, s[16:17]
	s_waitcnt vmcnt(0)
	global_load_dwordx2 v[2:3], v[0:1], off offset:16
	s_waitcnt vmcnt(0)
	v_cmp_eq_u64_e32 vcc, 0, v[2:3]
	s_cbranch_vccnz .LBB36_268
; %bb.267:
	global_load_dword v0, v[0:1], off offset:24
	v_mov_b32_e32 v1, 0
	buffer_wbl2
	s_waitcnt vmcnt(0)
	global_store_dwordx2 v[2:3], v[0:1], off
	v_and_b32_e32 v0, 0xffffff, v0
	v_readfirstlane_b32 m0, v0
	s_sendmsg sendmsg(MSG_INTERRUPT)
.LBB36_268:
	s_or_b64 exec, exec, s[12:13]
	s_branch .LBB36_272
.LBB36_269:                             ;   in Loop: Header=BB36_272 Depth=1
	s_or_b64 exec, exec, s[12:13]
	v_readfirstlane_b32 s12, v0
	s_cmp_eq_u32 s12, 0
	s_cbranch_scc1 .LBB36_271
; %bb.270:                              ;   in Loop: Header=BB36_272 Depth=1
	s_sleep 1
	s_cbranch_execnz .LBB36_272
	s_branch .LBB36_274
.LBB36_271:
	s_branch .LBB36_274
.LBB36_272:                             ; =>This Inner Loop Header: Depth=1
	v_mov_b32_e32 v0, 1
	s_and_saveexec_b64 s[12:13], s[4:5]
	s_cbranch_execz .LBB36_269
; %bb.273:                              ;   in Loop: Header=BB36_272 Depth=1
	global_load_dword v0, v[10:11], off offset:20 glc
	s_waitcnt vmcnt(0)
	buffer_invl2
	buffer_wbinvl1_vol
	v_and_b32_e32 v0, 1, v0
	s_branch .LBB36_269
.LBB36_274:
	global_load_dwordx2 v[0:1], v[12:13], off
	s_and_saveexec_b64 s[12:13], s[4:5]
	s_cbranch_execz .LBB36_277
; %bb.275:
	v_mov_b32_e32 v10, 0
	global_load_dwordx2 v[2:3], v10, s[10:11] offset:40
	global_load_dwordx2 v[12:13], v10, s[10:11] offset:24 glc
	global_load_dwordx2 v[14:15], v10, s[10:11]
	v_mov_b32_e32 v7, s7
	s_mov_b64 s[4:5], 0
	s_waitcnt vmcnt(2)
	v_add_co_u32_e32 v9, vcc, 1, v2
	v_addc_co_u32_e32 v11, vcc, 0, v3, vcc
	v_add_co_u32_e32 v6, vcc, s6, v9
	v_addc_co_u32_e32 v7, vcc, v11, v7, vcc
	v_cmp_eq_u64_e32 vcc, 0, v[6:7]
	v_cndmask_b32_e32 v7, v7, v11, vcc
	v_cndmask_b32_e32 v6, v6, v9, vcc
	v_and_b32_e32 v3, v7, v3
	v_and_b32_e32 v2, v6, v2
	v_mul_lo_u32 v3, v3, 24
	v_mul_hi_u32 v9, v2, 24
	v_mul_lo_u32 v2, v2, 24
	v_add_u32_e32 v3, v9, v3
	s_waitcnt vmcnt(0)
	v_add_co_u32_e32 v2, vcc, v14, v2
	v_addc_co_u32_e32 v3, vcc, v15, v3, vcc
	v_mov_b32_e32 v8, v12
	global_store_dwordx2 v[2:3], v[12:13], off
	v_mov_b32_e32 v9, v13
	buffer_wbl2
	s_waitcnt vmcnt(0)
	global_atomic_cmpswap_x2 v[8:9], v10, v[6:9], s[10:11] offset:24 glc
	s_waitcnt vmcnt(0)
	v_cmp_ne_u64_e32 vcc, v[8:9], v[12:13]
	s_and_b64 exec, exec, vcc
	s_cbranch_execz .LBB36_277
.LBB36_276:                             ; =>This Inner Loop Header: Depth=1
	s_sleep 1
	global_store_dwordx2 v[2:3], v[8:9], off
	buffer_wbl2
	s_waitcnt vmcnt(0)
	global_atomic_cmpswap_x2 v[12:13], v10, v[6:9], s[10:11] offset:24 glc
	s_waitcnt vmcnt(0)
	v_cmp_eq_u64_e32 vcc, v[12:13], v[8:9]
	s_or_b64 s[4:5], vcc, s[4:5]
	v_pk_mov_b32 v[8:9], v[12:13], v[12:13] op_sel:[0,1]
	s_andn2_b64 exec, exec, s[4:5]
	s_cbranch_execnz .LBB36_276
.LBB36_277:
	s_or_b64 exec, exec, s[12:13]
	s_mov_b64 s[4:5], 0
	v_pk_mov_b32 v[6:7], v[4:5], v[4:5] op_sel:[0,1]
.LBB36_278:                             ; =>This Inner Loop Header: Depth=1
	flat_load_ubyte v8, v[6:7]
	v_add_co_u32_e32 v2, vcc, 1, v6
	v_addc_co_u32_e32 v3, vcc, 0, v7, vcc
	v_pk_mov_b32 v[6:7], v[2:3], v[2:3] op_sel:[0,1]
	s_waitcnt vmcnt(0) lgkmcnt(0)
	v_cmp_eq_u16_e32 vcc, 0, v8
	s_or_b64 s[4:5], vcc, s[4:5]
	s_andn2_b64 exec, exec, s[4:5]
	s_cbranch_execnz .LBB36_278
; %bb.279:
	s_or_b64 exec, exec, s[4:5]
	s_mov_b64 s[6:7], 0
	v_cmp_ne_u64_e32 vcc, 0, v[4:5]
	s_and_saveexec_b64 s[4:5], vcc
	s_xor_b64 s[12:13], exec, s[4:5]
	s_cbranch_execz .LBB36_365
; %bb.280:
	v_sub_u32_e32 v26, v2, v4
	v_ashrrev_i32_e32 v27, 31, v26
	v_and_b32_e32 v28, 2, v0
	v_mov_b32_e32 v31, 0
	v_and_b32_e32 v0, -3, v0
	s_mov_b32 s22, 0
	s_movk_i32 s23, 0xff1f
	v_mov_b32_e32 v8, 2
	v_mov_b32_e32 v9, 1
	s_branch .LBB36_282
.LBB36_281:                             ;   in Loop: Header=BB36_282 Depth=1
	s_or_b64 exec, exec, s[16:17]
	v_sub_co_u32_e32 v26, vcc, v26, v32
	v_subb_co_u32_e32 v27, vcc, v27, v33, vcc
	v_cmp_eq_u64_e32 vcc, 0, v[26:27]
	s_or_b64 s[6:7], vcc, s[6:7]
	v_add_co_u32_e32 v4, vcc, v4, v32
	v_addc_co_u32_e32 v5, vcc, v5, v33, vcc
	s_andn2_b64 exec, exec, s[6:7]
	s_cbranch_execz .LBB36_364
.LBB36_282:                             ; =>This Loop Header: Depth=1
                                        ;     Child Loop BB36_285 Depth 2
                                        ;     Child Loop BB36_293 Depth 2
	;; [unrolled: 1-line block ×11, first 2 shown]
	v_cmp_gt_u64_e32 vcc, 56, v[26:27]
	v_cndmask_b32_e32 v33, 0, v27, vcc
	v_cndmask_b32_e32 v32, 56, v26, vcc
	v_cmp_gt_u64_e32 vcc, 8, v[26:27]
                                        ; implicit-def: $vgpr2_vgpr3
                                        ; implicit-def: $sgpr14
	s_and_saveexec_b64 s[4:5], vcc
	s_xor_b64 s[4:5], exec, s[4:5]
	s_cbranch_execz .LBB36_288
; %bb.283:                              ;   in Loop: Header=BB36_282 Depth=1
	s_mov_b64 s[16:17], 0
	v_cmp_ne_u64_e32 vcc, 0, v[26:27]
	s_waitcnt vmcnt(0)
	v_pk_mov_b32 v[2:3], 0, 0
	s_and_saveexec_b64 s[14:15], vcc
	s_cbranch_execz .LBB36_287
; %bb.284:                              ;   in Loop: Header=BB36_282 Depth=1
	v_lshlrev_b64 v[6:7], 3, v[32:33]
	v_pk_mov_b32 v[2:3], 0, 0
	v_pk_mov_b32 v[10:11], v[4:5], v[4:5] op_sel:[0,1]
	s_mov_b64 s[18:19], 0
.LBB36_285:                             ;   Parent Loop BB36_282 Depth=1
                                        ; =>  This Inner Loop Header: Depth=2
	flat_load_ubyte v7, v[10:11]
	v_mov_b32_e32 v13, s22
	v_add_co_u32_e32 v10, vcc, 1, v10
	v_addc_co_u32_e32 v11, vcc, 0, v11, vcc
	s_waitcnt vmcnt(0) lgkmcnt(0)
	v_and_b32_e32 v12, 0xffff, v7
	v_lshlrev_b64 v[12:13], s18, v[12:13]
	s_add_u32 s18, s18, 8
	s_addc_u32 s19, s19, 0
	v_cmp_eq_u32_e32 vcc, s18, v6
	v_or_b32_e32 v3, v13, v3
	s_or_b64 s[16:17], vcc, s[16:17]
	v_or_b32_e32 v2, v12, v2
	s_andn2_b64 exec, exec, s[16:17]
	s_cbranch_execnz .LBB36_285
; %bb.286:                              ;   in Loop: Header=BB36_282 Depth=1
	s_or_b64 exec, exec, s[16:17]
.LBB36_287:                             ;   in Loop: Header=BB36_282 Depth=1
	s_or_b64 exec, exec, s[14:15]
	s_mov_b32 s14, 0
.LBB36_288:                             ;   in Loop: Header=BB36_282 Depth=1
	s_or_saveexec_b64 s[4:5], s[4:5]
	v_mov_b32_e32 v12, s14
	v_pk_mov_b32 v[6:7], v[4:5], v[4:5] op_sel:[0,1]
	s_xor_b64 exec, exec, s[4:5]
	s_cbranch_execz .LBB36_290
; %bb.289:                              ;   in Loop: Header=BB36_282 Depth=1
	s_waitcnt vmcnt(0)
	flat_load_dwordx2 v[2:3], v[4:5]
	v_add_u32_e32 v12, -8, v32
	s_waitcnt vmcnt(0) lgkmcnt(0)
	v_and_b32_e32 v6, 0xff, v3
	v_and_b32_e32 v7, 0xff00, v3
	;; [unrolled: 1-line block ×4, first 2 shown]
	v_or_b32_e32 v6, v6, v7
	v_or3_b32 v3, v6, v10, v3
	v_add_co_u32_e32 v6, vcc, 8, v4
	v_or3_b32 v2, v2, 0, 0
	v_addc_co_u32_e32 v7, vcc, 0, v5, vcc
.LBB36_290:                             ;   in Loop: Header=BB36_282 Depth=1
	s_or_b64 exec, exec, s[4:5]
	v_cmp_gt_u32_e32 vcc, 8, v12
                                        ; implicit-def: $vgpr10_vgpr11
                                        ; implicit-def: $sgpr14
	s_and_saveexec_b64 s[4:5], vcc
	s_xor_b64 s[4:5], exec, s[4:5]
	s_cbranch_execz .LBB36_296
; %bb.291:                              ;   in Loop: Header=BB36_282 Depth=1
	v_cmp_ne_u32_e32 vcc, 0, v12
	v_pk_mov_b32 v[10:11], 0, 0
	s_and_saveexec_b64 s[14:15], vcc
	s_cbranch_execz .LBB36_295
; %bb.292:                              ;   in Loop: Header=BB36_282 Depth=1
	s_mov_b64 s[16:17], 0
	v_pk_mov_b32 v[10:11], 0, 0
	s_mov_b64 s[18:19], 0
	s_mov_b64 s[20:21], 0
.LBB36_293:                             ;   Parent Loop BB36_282 Depth=1
                                        ; =>  This Inner Loop Header: Depth=2
	v_mov_b32_e32 v13, s21
	v_add_co_u32_e32 v14, vcc, s20, v6
	v_addc_co_u32_e32 v15, vcc, v7, v13, vcc
	flat_load_ubyte v13, v[14:15]
	s_add_u32 s20, s20, 1
	v_mov_b32_e32 v15, s22
	s_addc_u32 s21, s21, 0
	v_cmp_eq_u32_e32 vcc, s20, v12
	s_waitcnt vmcnt(0) lgkmcnt(0)
	v_and_b32_e32 v14, 0xffff, v13
	v_lshlrev_b64 v[14:15], s18, v[14:15]
	s_add_u32 s18, s18, 8
	s_addc_u32 s19, s19, 0
	v_or_b32_e32 v11, v15, v11
	s_or_b64 s[16:17], vcc, s[16:17]
	v_or_b32_e32 v10, v14, v10
	s_andn2_b64 exec, exec, s[16:17]
	s_cbranch_execnz .LBB36_293
; %bb.294:                              ;   in Loop: Header=BB36_282 Depth=1
	s_or_b64 exec, exec, s[16:17]
.LBB36_295:                             ;   in Loop: Header=BB36_282 Depth=1
	s_or_b64 exec, exec, s[14:15]
	s_mov_b32 s14, 0
                                        ; implicit-def: $vgpr12
.LBB36_296:                             ;   in Loop: Header=BB36_282 Depth=1
	s_or_saveexec_b64 s[4:5], s[4:5]
	v_mov_b32_e32 v14, s14
	s_xor_b64 exec, exec, s[4:5]
	s_cbranch_execz .LBB36_298
; %bb.297:                              ;   in Loop: Header=BB36_282 Depth=1
	flat_load_dwordx2 v[10:11], v[6:7]
	v_add_u32_e32 v14, -8, v12
	v_add_co_u32_e32 v6, vcc, 8, v6
	v_addc_co_u32_e32 v7, vcc, 0, v7, vcc
	s_waitcnt vmcnt(0) lgkmcnt(0)
	v_and_b32_e32 v12, 0xff, v11
	v_and_b32_e32 v13, 0xff00, v11
	;; [unrolled: 1-line block ×4, first 2 shown]
	v_or_b32_e32 v12, v12, v13
	v_or3_b32 v10, v10, 0, 0
	v_or3_b32 v11, v12, v15, v11
.LBB36_298:                             ;   in Loop: Header=BB36_282 Depth=1
	s_or_b64 exec, exec, s[4:5]
	v_cmp_gt_u32_e32 vcc, 8, v14
                                        ; implicit-def: $sgpr14
	s_and_saveexec_b64 s[4:5], vcc
	s_xor_b64 s[4:5], exec, s[4:5]
	s_cbranch_execz .LBB36_304
; %bb.299:                              ;   in Loop: Header=BB36_282 Depth=1
	v_cmp_ne_u32_e32 vcc, 0, v14
	v_pk_mov_b32 v[12:13], 0, 0
	s_and_saveexec_b64 s[14:15], vcc
	s_cbranch_execz .LBB36_303
; %bb.300:                              ;   in Loop: Header=BB36_282 Depth=1
	s_mov_b64 s[16:17], 0
	v_pk_mov_b32 v[12:13], 0, 0
	s_mov_b64 s[18:19], 0
	s_mov_b64 s[20:21], 0
.LBB36_301:                             ;   Parent Loop BB36_282 Depth=1
                                        ; =>  This Inner Loop Header: Depth=2
	v_mov_b32_e32 v15, s21
	v_add_co_u32_e32 v16, vcc, s20, v6
	v_addc_co_u32_e32 v17, vcc, v7, v15, vcc
	flat_load_ubyte v15, v[16:17]
	s_add_u32 s20, s20, 1
	v_mov_b32_e32 v17, s22
	s_addc_u32 s21, s21, 0
	v_cmp_eq_u32_e32 vcc, s20, v14
	s_waitcnt vmcnt(0) lgkmcnt(0)
	v_and_b32_e32 v16, 0xffff, v15
	v_lshlrev_b64 v[16:17], s18, v[16:17]
	s_add_u32 s18, s18, 8
	s_addc_u32 s19, s19, 0
	v_or_b32_e32 v13, v17, v13
	s_or_b64 s[16:17], vcc, s[16:17]
	v_or_b32_e32 v12, v16, v12
	s_andn2_b64 exec, exec, s[16:17]
	s_cbranch_execnz .LBB36_301
; %bb.302:                              ;   in Loop: Header=BB36_282 Depth=1
	s_or_b64 exec, exec, s[16:17]
.LBB36_303:                             ;   in Loop: Header=BB36_282 Depth=1
	s_or_b64 exec, exec, s[14:15]
	s_mov_b32 s14, 0
                                        ; implicit-def: $vgpr14
.LBB36_304:                             ;   in Loop: Header=BB36_282 Depth=1
	s_or_saveexec_b64 s[4:5], s[4:5]
	v_mov_b32_e32 v16, s14
	s_xor_b64 exec, exec, s[4:5]
	s_cbranch_execz .LBB36_306
; %bb.305:                              ;   in Loop: Header=BB36_282 Depth=1
	flat_load_dwordx2 v[12:13], v[6:7]
	v_add_u32_e32 v16, -8, v14
	v_add_co_u32_e32 v6, vcc, 8, v6
	v_addc_co_u32_e32 v7, vcc, 0, v7, vcc
	s_waitcnt vmcnt(0) lgkmcnt(0)
	v_and_b32_e32 v14, 0xff, v13
	v_and_b32_e32 v15, 0xff00, v13
	;; [unrolled: 1-line block ×4, first 2 shown]
	v_or_b32_e32 v14, v14, v15
	v_or3_b32 v12, v12, 0, 0
	v_or3_b32 v13, v14, v17, v13
.LBB36_306:                             ;   in Loop: Header=BB36_282 Depth=1
	s_or_b64 exec, exec, s[4:5]
	v_cmp_gt_u32_e32 vcc, 8, v16
                                        ; implicit-def: $vgpr14_vgpr15
                                        ; implicit-def: $sgpr14
	s_and_saveexec_b64 s[4:5], vcc
	s_xor_b64 s[4:5], exec, s[4:5]
	s_cbranch_execz .LBB36_312
; %bb.307:                              ;   in Loop: Header=BB36_282 Depth=1
	v_cmp_ne_u32_e32 vcc, 0, v16
	v_pk_mov_b32 v[14:15], 0, 0
	s_and_saveexec_b64 s[14:15], vcc
	s_cbranch_execz .LBB36_311
; %bb.308:                              ;   in Loop: Header=BB36_282 Depth=1
	s_mov_b64 s[16:17], 0
	v_pk_mov_b32 v[14:15], 0, 0
	s_mov_b64 s[18:19], 0
	s_mov_b64 s[20:21], 0
.LBB36_309:                             ;   Parent Loop BB36_282 Depth=1
                                        ; =>  This Inner Loop Header: Depth=2
	v_mov_b32_e32 v17, s21
	v_add_co_u32_e32 v18, vcc, s20, v6
	v_addc_co_u32_e32 v19, vcc, v7, v17, vcc
	flat_load_ubyte v17, v[18:19]
	s_add_u32 s20, s20, 1
	v_mov_b32_e32 v19, s22
	s_addc_u32 s21, s21, 0
	v_cmp_eq_u32_e32 vcc, s20, v16
	s_waitcnt vmcnt(0) lgkmcnt(0)
	v_and_b32_e32 v18, 0xffff, v17
	v_lshlrev_b64 v[18:19], s18, v[18:19]
	s_add_u32 s18, s18, 8
	s_addc_u32 s19, s19, 0
	v_or_b32_e32 v15, v19, v15
	s_or_b64 s[16:17], vcc, s[16:17]
	v_or_b32_e32 v14, v18, v14
	s_andn2_b64 exec, exec, s[16:17]
	s_cbranch_execnz .LBB36_309
; %bb.310:                              ;   in Loop: Header=BB36_282 Depth=1
	s_or_b64 exec, exec, s[16:17]
.LBB36_311:                             ;   in Loop: Header=BB36_282 Depth=1
	s_or_b64 exec, exec, s[14:15]
	s_mov_b32 s14, 0
                                        ; implicit-def: $vgpr16
.LBB36_312:                             ;   in Loop: Header=BB36_282 Depth=1
	s_or_saveexec_b64 s[4:5], s[4:5]
	v_mov_b32_e32 v18, s14
	s_xor_b64 exec, exec, s[4:5]
	s_cbranch_execz .LBB36_314
; %bb.313:                              ;   in Loop: Header=BB36_282 Depth=1
	flat_load_dwordx2 v[14:15], v[6:7]
	v_add_u32_e32 v18, -8, v16
	v_add_co_u32_e32 v6, vcc, 8, v6
	v_addc_co_u32_e32 v7, vcc, 0, v7, vcc
	s_waitcnt vmcnt(0) lgkmcnt(0)
	v_and_b32_e32 v16, 0xff, v15
	v_and_b32_e32 v17, 0xff00, v15
	;; [unrolled: 1-line block ×4, first 2 shown]
	v_or_b32_e32 v16, v16, v17
	v_or3_b32 v14, v14, 0, 0
	v_or3_b32 v15, v16, v19, v15
.LBB36_314:                             ;   in Loop: Header=BB36_282 Depth=1
	s_or_b64 exec, exec, s[4:5]
	v_cmp_gt_u32_e32 vcc, 8, v18
                                        ; implicit-def: $sgpr14
	s_and_saveexec_b64 s[4:5], vcc
	s_xor_b64 s[4:5], exec, s[4:5]
	s_cbranch_execz .LBB36_320
; %bb.315:                              ;   in Loop: Header=BB36_282 Depth=1
	v_cmp_ne_u32_e32 vcc, 0, v18
	v_pk_mov_b32 v[16:17], 0, 0
	s_and_saveexec_b64 s[14:15], vcc
	s_cbranch_execz .LBB36_319
; %bb.316:                              ;   in Loop: Header=BB36_282 Depth=1
	s_mov_b64 s[16:17], 0
	v_pk_mov_b32 v[16:17], 0, 0
	s_mov_b64 s[18:19], 0
	s_mov_b64 s[20:21], 0
.LBB36_317:                             ;   Parent Loop BB36_282 Depth=1
                                        ; =>  This Inner Loop Header: Depth=2
	v_mov_b32_e32 v19, s21
	v_add_co_u32_e32 v20, vcc, s20, v6
	v_addc_co_u32_e32 v21, vcc, v7, v19, vcc
	flat_load_ubyte v19, v[20:21]
	s_add_u32 s20, s20, 1
	v_mov_b32_e32 v21, s22
	s_addc_u32 s21, s21, 0
	v_cmp_eq_u32_e32 vcc, s20, v18
	s_waitcnt vmcnt(0) lgkmcnt(0)
	v_and_b32_e32 v20, 0xffff, v19
	v_lshlrev_b64 v[20:21], s18, v[20:21]
	s_add_u32 s18, s18, 8
	s_addc_u32 s19, s19, 0
	v_or_b32_e32 v17, v21, v17
	s_or_b64 s[16:17], vcc, s[16:17]
	v_or_b32_e32 v16, v20, v16
	s_andn2_b64 exec, exec, s[16:17]
	s_cbranch_execnz .LBB36_317
; %bb.318:                              ;   in Loop: Header=BB36_282 Depth=1
	s_or_b64 exec, exec, s[16:17]
.LBB36_319:                             ;   in Loop: Header=BB36_282 Depth=1
	s_or_b64 exec, exec, s[14:15]
	s_mov_b32 s14, 0
                                        ; implicit-def: $vgpr18
.LBB36_320:                             ;   in Loop: Header=BB36_282 Depth=1
	s_or_saveexec_b64 s[4:5], s[4:5]
	v_mov_b32_e32 v20, s14
	s_xor_b64 exec, exec, s[4:5]
	s_cbranch_execz .LBB36_322
; %bb.321:                              ;   in Loop: Header=BB36_282 Depth=1
	flat_load_dwordx2 v[16:17], v[6:7]
	v_add_u32_e32 v20, -8, v18
	v_add_co_u32_e32 v6, vcc, 8, v6
	v_addc_co_u32_e32 v7, vcc, 0, v7, vcc
	s_waitcnt vmcnt(0) lgkmcnt(0)
	v_and_b32_e32 v18, 0xff, v17
	v_and_b32_e32 v19, 0xff00, v17
	;; [unrolled: 1-line block ×4, first 2 shown]
	v_or_b32_e32 v18, v18, v19
	v_or3_b32 v16, v16, 0, 0
	v_or3_b32 v17, v18, v21, v17
.LBB36_322:                             ;   in Loop: Header=BB36_282 Depth=1
	s_or_b64 exec, exec, s[4:5]
	v_cmp_gt_u32_e32 vcc, 8, v20
                                        ; implicit-def: $vgpr18_vgpr19
                                        ; implicit-def: $sgpr14
	s_and_saveexec_b64 s[4:5], vcc
	s_xor_b64 s[4:5], exec, s[4:5]
	s_cbranch_execz .LBB36_328
; %bb.323:                              ;   in Loop: Header=BB36_282 Depth=1
	v_cmp_ne_u32_e32 vcc, 0, v20
	v_pk_mov_b32 v[18:19], 0, 0
	s_and_saveexec_b64 s[14:15], vcc
	s_cbranch_execz .LBB36_327
; %bb.324:                              ;   in Loop: Header=BB36_282 Depth=1
	s_mov_b64 s[16:17], 0
	v_pk_mov_b32 v[18:19], 0, 0
	s_mov_b64 s[18:19], 0
	s_mov_b64 s[20:21], 0
.LBB36_325:                             ;   Parent Loop BB36_282 Depth=1
                                        ; =>  This Inner Loop Header: Depth=2
	v_mov_b32_e32 v21, s21
	v_add_co_u32_e32 v22, vcc, s20, v6
	v_addc_co_u32_e32 v23, vcc, v7, v21, vcc
	flat_load_ubyte v21, v[22:23]
	s_add_u32 s20, s20, 1
	v_mov_b32_e32 v23, s22
	s_addc_u32 s21, s21, 0
	v_cmp_eq_u32_e32 vcc, s20, v20
	s_waitcnt vmcnt(0) lgkmcnt(0)
	v_and_b32_e32 v22, 0xffff, v21
	v_lshlrev_b64 v[22:23], s18, v[22:23]
	s_add_u32 s18, s18, 8
	s_addc_u32 s19, s19, 0
	v_or_b32_e32 v19, v23, v19
	s_or_b64 s[16:17], vcc, s[16:17]
	v_or_b32_e32 v18, v22, v18
	s_andn2_b64 exec, exec, s[16:17]
	s_cbranch_execnz .LBB36_325
; %bb.326:                              ;   in Loop: Header=BB36_282 Depth=1
	s_or_b64 exec, exec, s[16:17]
.LBB36_327:                             ;   in Loop: Header=BB36_282 Depth=1
	s_or_b64 exec, exec, s[14:15]
	s_mov_b32 s14, 0
                                        ; implicit-def: $vgpr20
.LBB36_328:                             ;   in Loop: Header=BB36_282 Depth=1
	s_or_saveexec_b64 s[4:5], s[4:5]
	v_mov_b32_e32 v22, s14
	s_xor_b64 exec, exec, s[4:5]
	s_cbranch_execz .LBB36_330
; %bb.329:                              ;   in Loop: Header=BB36_282 Depth=1
	flat_load_dwordx2 v[18:19], v[6:7]
	v_add_u32_e32 v22, -8, v20
	v_add_co_u32_e32 v6, vcc, 8, v6
	v_addc_co_u32_e32 v7, vcc, 0, v7, vcc
	s_waitcnt vmcnt(0) lgkmcnt(0)
	v_and_b32_e32 v20, 0xff, v19
	v_and_b32_e32 v21, 0xff00, v19
	v_and_b32_e32 v23, 0xff0000, v19
	v_and_b32_e32 v19, 0xff000000, v19
	v_or_b32_e32 v20, v20, v21
	v_or3_b32 v18, v18, 0, 0
	v_or3_b32 v19, v20, v23, v19
.LBB36_330:                             ;   in Loop: Header=BB36_282 Depth=1
	s_or_b64 exec, exec, s[4:5]
	v_cmp_gt_u32_e32 vcc, 8, v22
	s_and_saveexec_b64 s[4:5], vcc
	s_xor_b64 s[4:5], exec, s[4:5]
	s_cbranch_execz .LBB36_336
; %bb.331:                              ;   in Loop: Header=BB36_282 Depth=1
	v_cmp_ne_u32_e32 vcc, 0, v22
	v_pk_mov_b32 v[20:21], 0, 0
	s_and_saveexec_b64 s[14:15], vcc
	s_cbranch_execz .LBB36_335
; %bb.332:                              ;   in Loop: Header=BB36_282 Depth=1
	s_mov_b64 s[16:17], 0
	v_pk_mov_b32 v[20:21], 0, 0
	s_mov_b64 s[18:19], 0
.LBB36_333:                             ;   Parent Loop BB36_282 Depth=1
                                        ; =>  This Inner Loop Header: Depth=2
	flat_load_ubyte v23, v[6:7]
	v_mov_b32_e32 v25, s22
	v_add_co_u32_e32 v6, vcc, 1, v6
	v_add_u32_e32 v22, -1, v22
	v_addc_co_u32_e32 v7, vcc, 0, v7, vcc
	v_cmp_eq_u32_e32 vcc, 0, v22
	s_waitcnt vmcnt(0) lgkmcnt(0)
	v_and_b32_e32 v24, 0xffff, v23
	v_lshlrev_b64 v[24:25], s18, v[24:25]
	s_add_u32 s18, s18, 8
	s_addc_u32 s19, s19, 0
	v_or_b32_e32 v21, v25, v21
	s_or_b64 s[16:17], vcc, s[16:17]
	v_or_b32_e32 v20, v24, v20
	s_andn2_b64 exec, exec, s[16:17]
	s_cbranch_execnz .LBB36_333
; %bb.334:                              ;   in Loop: Header=BB36_282 Depth=1
	s_or_b64 exec, exec, s[16:17]
.LBB36_335:                             ;   in Loop: Header=BB36_282 Depth=1
	s_or_b64 exec, exec, s[14:15]
                                        ; implicit-def: $vgpr6_vgpr7
.LBB36_336:                             ;   in Loop: Header=BB36_282 Depth=1
	s_andn2_saveexec_b64 s[4:5], s[4:5]
	s_cbranch_execz .LBB36_338
; %bb.337:                              ;   in Loop: Header=BB36_282 Depth=1
	flat_load_dwordx2 v[6:7], v[6:7]
	s_waitcnt vmcnt(0) lgkmcnt(0)
	v_and_b32_e32 v20, 0xff, v7
	v_and_b32_e32 v21, 0xff00, v7
	;; [unrolled: 1-line block ×4, first 2 shown]
	v_or_b32_e32 v20, v20, v21
	v_or3_b32 v21, v20, v22, v7
	v_or3_b32 v20, v6, 0, 0
.LBB36_338:                             ;   in Loop: Header=BB36_282 Depth=1
	s_or_b64 exec, exec, s[4:5]
	v_readfirstlane_b32 s4, v37
	v_cmp_eq_u32_e64 s[4:5], s4, v37
	v_pk_mov_b32 v[6:7], 0, 0
	s_and_saveexec_b64 s[14:15], s[4:5]
	s_cbranch_execz .LBB36_344
; %bb.339:                              ;   in Loop: Header=BB36_282 Depth=1
	global_load_dwordx2 v[24:25], v31, s[10:11] offset:24 glc
	s_waitcnt vmcnt(0)
	buffer_invl2
	buffer_wbinvl1_vol
	global_load_dwordx2 v[6:7], v31, s[10:11] offset:40
	global_load_dwordx2 v[22:23], v31, s[10:11]
	s_waitcnt vmcnt(1)
	v_and_b32_e32 v6, v6, v24
	v_and_b32_e32 v7, v7, v25
	v_mul_lo_u32 v7, v7, 24
	v_mul_hi_u32 v29, v6, 24
	v_mul_lo_u32 v6, v6, 24
	v_add_u32_e32 v7, v29, v7
	s_waitcnt vmcnt(0)
	v_add_co_u32_e32 v6, vcc, v22, v6
	v_addc_co_u32_e32 v7, vcc, v23, v7, vcc
	global_load_dwordx2 v[22:23], v[6:7], off glc
	s_waitcnt vmcnt(0)
	global_atomic_cmpswap_x2 v[6:7], v31, v[22:25], s[10:11] offset:24 glc
	s_waitcnt vmcnt(0)
	buffer_invl2
	buffer_wbinvl1_vol
	v_cmp_ne_u64_e32 vcc, v[6:7], v[24:25]
	s_and_saveexec_b64 s[16:17], vcc
	s_cbranch_execz .LBB36_343
; %bb.340:                              ;   in Loop: Header=BB36_282 Depth=1
	s_mov_b64 s[18:19], 0
.LBB36_341:                             ;   Parent Loop BB36_282 Depth=1
                                        ; =>  This Inner Loop Header: Depth=2
	s_sleep 1
	global_load_dwordx2 v[22:23], v31, s[10:11] offset:40
	global_load_dwordx2 v[34:35], v31, s[10:11]
	v_pk_mov_b32 v[24:25], v[6:7], v[6:7] op_sel:[0,1]
	s_waitcnt vmcnt(1)
	v_and_b32_e32 v6, v22, v24
	s_waitcnt vmcnt(0)
	v_mad_u64_u32 v[6:7], s[20:21], v6, 24, v[34:35]
	v_and_b32_e32 v23, v23, v25
	v_mov_b32_e32 v22, v7
	v_mad_u64_u32 v[22:23], s[20:21], v23, 24, v[22:23]
	v_mov_b32_e32 v7, v22
	global_load_dwordx2 v[22:23], v[6:7], off glc
	s_waitcnt vmcnt(0)
	global_atomic_cmpswap_x2 v[6:7], v31, v[22:25], s[10:11] offset:24 glc
	s_waitcnt vmcnt(0)
	buffer_invl2
	buffer_wbinvl1_vol
	v_cmp_eq_u64_e32 vcc, v[6:7], v[24:25]
	s_or_b64 s[18:19], vcc, s[18:19]
	s_andn2_b64 exec, exec, s[18:19]
	s_cbranch_execnz .LBB36_341
; %bb.342:                              ;   in Loop: Header=BB36_282 Depth=1
	s_or_b64 exec, exec, s[18:19]
.LBB36_343:                             ;   in Loop: Header=BB36_282 Depth=1
	s_or_b64 exec, exec, s[16:17]
.LBB36_344:                             ;   in Loop: Header=BB36_282 Depth=1
	s_or_b64 exec, exec, s[14:15]
	global_load_dwordx2 v[34:35], v31, s[10:11] offset:40
	global_load_dwordx4 v[22:25], v31, s[10:11]
	v_readfirstlane_b32 s14, v6
	v_readfirstlane_b32 s15, v7
	s_mov_b64 s[16:17], exec
	s_waitcnt vmcnt(1)
	v_readfirstlane_b32 s18, v34
	v_readfirstlane_b32 s19, v35
	s_and_b64 s[18:19], s[14:15], s[18:19]
	s_mul_i32 s20, s19, 24
	s_mul_hi_u32 s21, s18, 24
	s_mul_i32 s24, s18, 24
	s_add_i32 s20, s21, s20
	v_mov_b32_e32 v6, s20
	s_waitcnt vmcnt(0)
	v_add_co_u32_e32 v34, vcc, s24, v22
	v_addc_co_u32_e32 v35, vcc, v23, v6, vcc
	s_and_saveexec_b64 s[20:21], s[4:5]
	s_cbranch_execz .LBB36_346
; %bb.345:                              ;   in Loop: Header=BB36_282 Depth=1
	v_pk_mov_b32 v[6:7], s[16:17], s[16:17] op_sel:[0,1]
	global_store_dwordx4 v[34:35], v[6:9], off offset:8
.LBB36_346:                             ;   in Loop: Header=BB36_282 Depth=1
	s_or_b64 exec, exec, s[20:21]
	s_lshl_b64 s[16:17], s[18:19], 12
	v_mov_b32_e32 v7, s17
	v_add_co_u32_e32 v6, vcc, s16, v24
	v_addc_co_u32_e32 v7, vcc, v25, v7, vcc
	v_or_b32_e32 v24, 0, v1
	v_cmp_lt_u64_e32 vcc, 56, v[26:27]
	v_or_b32_e32 v25, v0, v28
	v_cndmask_b32_e32 v1, v24, v1, vcc
	v_lshl_add_u32 v24, v32, 2, 28
	v_cndmask_b32_e32 v0, v25, v0, vcc
	v_and_b32_e32 v24, 0x1e0, v24
	v_and_or_b32 v0, v0, s23, v24
	v_readfirstlane_b32 s16, v6
	v_readfirstlane_b32 s17, v7
	s_nop 4
	global_store_dwordx4 v36, v[0:3], s[16:17]
	global_store_dwordx4 v36, v[10:13], s[16:17] offset:16
	global_store_dwordx4 v36, v[14:17], s[16:17] offset:32
	;; [unrolled: 1-line block ×3, first 2 shown]
	s_and_saveexec_b64 s[16:17], s[4:5]
	s_cbranch_execz .LBB36_354
; %bb.347:                              ;   in Loop: Header=BB36_282 Depth=1
	global_load_dwordx2 v[14:15], v31, s[10:11] offset:32 glc
	global_load_dwordx2 v[0:1], v31, s[10:11] offset:40
	v_mov_b32_e32 v12, s14
	v_mov_b32_e32 v13, s15
	s_waitcnt vmcnt(0)
	v_readfirstlane_b32 s18, v0
	v_readfirstlane_b32 s19, v1
	s_and_b64 s[18:19], s[18:19], s[14:15]
	s_mul_i32 s19, s19, 24
	s_mul_hi_u32 s20, s18, 24
	s_mul_i32 s18, s18, 24
	s_add_i32 s19, s20, s19
	v_mov_b32_e32 v0, s19
	v_add_co_u32_e32 v10, vcc, s18, v22
	v_addc_co_u32_e32 v11, vcc, v23, v0, vcc
	global_store_dwordx2 v[10:11], v[14:15], off
	buffer_wbl2
	s_waitcnt vmcnt(0)
	global_atomic_cmpswap_x2 v[2:3], v31, v[12:15], s[10:11] offset:32 glc
	s_waitcnt vmcnt(0)
	v_cmp_ne_u64_e32 vcc, v[2:3], v[14:15]
	s_and_saveexec_b64 s[18:19], vcc
	s_cbranch_execz .LBB36_350
; %bb.348:                              ;   in Loop: Header=BB36_282 Depth=1
	s_mov_b64 s[20:21], 0
.LBB36_349:                             ;   Parent Loop BB36_282 Depth=1
                                        ; =>  This Inner Loop Header: Depth=2
	s_sleep 1
	global_store_dwordx2 v[10:11], v[2:3], off
	v_mov_b32_e32 v0, s14
	v_mov_b32_e32 v1, s15
	buffer_wbl2
	s_waitcnt vmcnt(0)
	global_atomic_cmpswap_x2 v[0:1], v31, v[0:3], s[10:11] offset:32 glc
	s_waitcnt vmcnt(0)
	v_cmp_eq_u64_e32 vcc, v[0:1], v[2:3]
	s_or_b64 s[20:21], vcc, s[20:21]
	v_pk_mov_b32 v[2:3], v[0:1], v[0:1] op_sel:[0,1]
	s_andn2_b64 exec, exec, s[20:21]
	s_cbranch_execnz .LBB36_349
.LBB36_350:                             ;   in Loop: Header=BB36_282 Depth=1
	s_or_b64 exec, exec, s[18:19]
	global_load_dwordx2 v[0:1], v31, s[10:11] offset:16
	s_mov_b64 s[20:21], exec
	v_mbcnt_lo_u32_b32 v2, s20, 0
	v_mbcnt_hi_u32_b32 v2, s21, v2
	v_cmp_eq_u32_e32 vcc, 0, v2
	s_and_saveexec_b64 s[18:19], vcc
	s_cbranch_execz .LBB36_352
; %bb.351:                              ;   in Loop: Header=BB36_282 Depth=1
	s_bcnt1_i32_b64 s20, s[20:21]
	v_mov_b32_e32 v30, s20
	buffer_wbl2
	s_waitcnt vmcnt(0)
	global_atomic_add_x2 v[0:1], v[30:31], off offset:8
.LBB36_352:                             ;   in Loop: Header=BB36_282 Depth=1
	s_or_b64 exec, exec, s[18:19]
	s_waitcnt vmcnt(0)
	global_load_dwordx2 v[2:3], v[0:1], off offset:16
	s_waitcnt vmcnt(0)
	v_cmp_eq_u64_e32 vcc, 0, v[2:3]
	s_cbranch_vccnz .LBB36_354
; %bb.353:                              ;   in Loop: Header=BB36_282 Depth=1
	global_load_dword v30, v[0:1], off offset:24
	s_waitcnt vmcnt(0)
	v_and_b32_e32 v0, 0xffffff, v30
	v_readfirstlane_b32 m0, v0
	buffer_wbl2
	global_store_dwordx2 v[2:3], v[30:31], off
	s_sendmsg sendmsg(MSG_INTERRUPT)
.LBB36_354:                             ;   in Loop: Header=BB36_282 Depth=1
	s_or_b64 exec, exec, s[16:17]
	v_add_co_u32_e32 v0, vcc, v6, v36
	v_addc_co_u32_e32 v1, vcc, 0, v7, vcc
	s_branch .LBB36_358
.LBB36_355:                             ;   in Loop: Header=BB36_358 Depth=2
	s_or_b64 exec, exec, s[16:17]
	v_readfirstlane_b32 s16, v2
	s_cmp_eq_u32 s16, 0
	s_cbranch_scc1 .LBB36_357
; %bb.356:                              ;   in Loop: Header=BB36_358 Depth=2
	s_sleep 1
	s_cbranch_execnz .LBB36_358
	s_branch .LBB36_360
.LBB36_357:                             ;   in Loop: Header=BB36_282 Depth=1
	s_branch .LBB36_360
.LBB36_358:                             ;   Parent Loop BB36_282 Depth=1
                                        ; =>  This Inner Loop Header: Depth=2
	v_mov_b32_e32 v2, 1
	s_and_saveexec_b64 s[16:17], s[4:5]
	s_cbranch_execz .LBB36_355
; %bb.359:                              ;   in Loop: Header=BB36_358 Depth=2
	global_load_dword v2, v[34:35], off offset:20 glc
	s_waitcnt vmcnt(0)
	buffer_invl2
	buffer_wbinvl1_vol
	v_and_b32_e32 v2, 1, v2
	s_branch .LBB36_355
.LBB36_360:                             ;   in Loop: Header=BB36_282 Depth=1
	global_load_dwordx4 v[0:3], v[0:1], off
	s_and_saveexec_b64 s[16:17], s[4:5]
	s_cbranch_execz .LBB36_281
; %bb.361:                              ;   in Loop: Header=BB36_282 Depth=1
	global_load_dwordx2 v[2:3], v31, s[10:11] offset:40
	global_load_dwordx2 v[6:7], v31, s[10:11] offset:24 glc
	global_load_dwordx2 v[14:15], v31, s[10:11]
	v_mov_b32_e32 v11, s15
	s_waitcnt vmcnt(2)
	v_add_co_u32_e32 v13, vcc, 1, v2
	v_addc_co_u32_e32 v16, vcc, 0, v3, vcc
	v_add_co_u32_e32 v10, vcc, s14, v13
	v_addc_co_u32_e32 v11, vcc, v16, v11, vcc
	v_cmp_eq_u64_e32 vcc, 0, v[10:11]
	v_cndmask_b32_e32 v11, v11, v16, vcc
	v_cndmask_b32_e32 v10, v10, v13, vcc
	v_and_b32_e32 v3, v11, v3
	v_and_b32_e32 v2, v10, v2
	v_mul_lo_u32 v3, v3, 24
	v_mul_hi_u32 v13, v2, 24
	v_mul_lo_u32 v2, v2, 24
	v_add_u32_e32 v3, v13, v3
	s_waitcnt vmcnt(0)
	v_add_co_u32_e32 v2, vcc, v14, v2
	v_addc_co_u32_e32 v3, vcc, v15, v3, vcc
	v_mov_b32_e32 v12, v6
	global_store_dwordx2 v[2:3], v[6:7], off
	v_mov_b32_e32 v13, v7
	buffer_wbl2
	s_waitcnt vmcnt(0)
	global_atomic_cmpswap_x2 v[12:13], v31, v[10:13], s[10:11] offset:24 glc
	s_waitcnt vmcnt(0)
	v_cmp_ne_u64_e32 vcc, v[12:13], v[6:7]
	s_and_b64 exec, exec, vcc
	s_cbranch_execz .LBB36_281
; %bb.362:                              ;   in Loop: Header=BB36_282 Depth=1
	s_mov_b64 s[4:5], 0
.LBB36_363:                             ;   Parent Loop BB36_282 Depth=1
                                        ; =>  This Inner Loop Header: Depth=2
	s_sleep 1
	global_store_dwordx2 v[2:3], v[12:13], off
	buffer_wbl2
	s_waitcnt vmcnt(0)
	global_atomic_cmpswap_x2 v[6:7], v31, v[10:13], s[10:11] offset:24 glc
	s_waitcnt vmcnt(0)
	v_cmp_eq_u64_e32 vcc, v[6:7], v[12:13]
	s_or_b64 s[4:5], vcc, s[4:5]
	v_pk_mov_b32 v[12:13], v[6:7], v[6:7] op_sel:[0,1]
	s_andn2_b64 exec, exec, s[4:5]
	s_cbranch_execnz .LBB36_363
	s_branch .LBB36_281
.LBB36_364:
	s_or_b64 exec, exec, s[6:7]
                                        ; implicit-def: $vgpr36
                                        ; implicit-def: $vgpr37
.LBB36_365:
	s_andn2_saveexec_b64 s[6:7], s[12:13]
	s_cbranch_execz .LBB36_392
; %bb.366:
	v_readfirstlane_b32 s4, v37
	v_cmp_eq_u32_e64 s[4:5], s4, v37
	v_pk_mov_b32 v[8:9], 0, 0
	s_and_saveexec_b64 s[12:13], s[4:5]
	s_cbranch_execz .LBB36_372
; %bb.367:
	s_waitcnt vmcnt(0)
	v_mov_b32_e32 v2, 0
	global_load_dwordx2 v[6:7], v2, s[10:11] offset:24 glc
	s_waitcnt vmcnt(0)
	buffer_invl2
	buffer_wbinvl1_vol
	global_load_dwordx2 v[4:5], v2, s[10:11] offset:40
	global_load_dwordx2 v[8:9], v2, s[10:11]
	s_waitcnt vmcnt(1)
	v_and_b32_e32 v3, v4, v6
	v_and_b32_e32 v4, v5, v7
	v_mul_lo_u32 v4, v4, 24
	v_mul_hi_u32 v5, v3, 24
	v_mul_lo_u32 v3, v3, 24
	v_add_u32_e32 v5, v5, v4
	s_waitcnt vmcnt(0)
	v_add_co_u32_e32 v4, vcc, v8, v3
	v_addc_co_u32_e32 v5, vcc, v9, v5, vcc
	global_load_dwordx2 v[4:5], v[4:5], off glc
	s_waitcnt vmcnt(0)
	global_atomic_cmpswap_x2 v[8:9], v2, v[4:7], s[10:11] offset:24 glc
	s_waitcnt vmcnt(0)
	buffer_invl2
	buffer_wbinvl1_vol
	v_cmp_ne_u64_e32 vcc, v[8:9], v[6:7]
	s_and_saveexec_b64 s[14:15], vcc
	s_cbranch_execz .LBB36_371
; %bb.368:
	s_mov_b64 s[16:17], 0
.LBB36_369:                             ; =>This Inner Loop Header: Depth=1
	s_sleep 1
	global_load_dwordx2 v[4:5], v2, s[10:11] offset:40
	global_load_dwordx2 v[10:11], v2, s[10:11]
	v_pk_mov_b32 v[6:7], v[8:9], v[8:9] op_sel:[0,1]
	s_waitcnt vmcnt(1)
	v_and_b32_e32 v4, v4, v6
	v_and_b32_e32 v3, v5, v7
	s_waitcnt vmcnt(0)
	v_mad_u64_u32 v[4:5], s[18:19], v4, 24, v[10:11]
	v_mov_b32_e32 v8, v5
	v_mad_u64_u32 v[8:9], s[18:19], v3, 24, v[8:9]
	v_mov_b32_e32 v5, v8
	global_load_dwordx2 v[4:5], v[4:5], off glc
	s_waitcnt vmcnt(0)
	global_atomic_cmpswap_x2 v[8:9], v2, v[4:7], s[10:11] offset:24 glc
	s_waitcnt vmcnt(0)
	buffer_invl2
	buffer_wbinvl1_vol
	v_cmp_eq_u64_e32 vcc, v[8:9], v[6:7]
	s_or_b64 s[16:17], vcc, s[16:17]
	s_andn2_b64 exec, exec, s[16:17]
	s_cbranch_execnz .LBB36_369
; %bb.370:
	s_or_b64 exec, exec, s[16:17]
.LBB36_371:
	s_or_b64 exec, exec, s[14:15]
.LBB36_372:
	s_or_b64 exec, exec, s[12:13]
	s_waitcnt vmcnt(0)
	v_mov_b32_e32 v2, 0
	global_load_dwordx2 v[10:11], v2, s[10:11] offset:40
	global_load_dwordx4 v[4:7], v2, s[10:11]
	v_readfirstlane_b32 s12, v8
	v_readfirstlane_b32 s13, v9
	s_mov_b64 s[14:15], exec
	s_waitcnt vmcnt(1)
	v_readfirstlane_b32 s16, v10
	v_readfirstlane_b32 s17, v11
	s_and_b64 s[16:17], s[12:13], s[16:17]
	s_mul_i32 s18, s17, 24
	s_mul_hi_u32 s19, s16, 24
	s_mul_i32 s20, s16, 24
	s_add_i32 s18, s19, s18
	v_mov_b32_e32 v3, s18
	s_waitcnt vmcnt(0)
	v_add_co_u32_e32 v8, vcc, s20, v4
	v_addc_co_u32_e32 v9, vcc, v5, v3, vcc
	s_and_saveexec_b64 s[18:19], s[4:5]
	s_cbranch_execz .LBB36_374
; %bb.373:
	v_pk_mov_b32 v[10:11], s[14:15], s[14:15] op_sel:[0,1]
	v_mov_b32_e32 v12, 2
	v_mov_b32_e32 v13, 1
	global_store_dwordx4 v[8:9], v[10:13], off offset:8
.LBB36_374:
	s_or_b64 exec, exec, s[18:19]
	s_lshl_b64 s[14:15], s[16:17], 12
	v_mov_b32_e32 v3, s15
	v_add_co_u32_e32 v10, vcc, s14, v6
	v_addc_co_u32_e32 v11, vcc, v7, v3, vcc
	s_movk_i32 s14, 0xff1f
	s_mov_b32 s16, 0
	v_and_or_b32 v0, v0, s14, 32
	v_mov_b32_e32 v3, v2
	v_readfirstlane_b32 s14, v10
	v_readfirstlane_b32 s15, v11
	s_mov_b32 s17, s16
	v_add_co_u32_e32 v6, vcc, v10, v36
	s_mov_b32 s18, s16
	s_mov_b32 s19, s16
	s_nop 0
	global_store_dwordx4 v36, v[0:3], s[14:15]
	v_addc_co_u32_e32 v7, vcc, 0, v11, vcc
	v_pk_mov_b32 v[0:1], s[16:17], s[16:17] op_sel:[0,1]
	v_pk_mov_b32 v[2:3], s[18:19], s[18:19] op_sel:[0,1]
	global_store_dwordx4 v36, v[0:3], s[14:15] offset:16
	global_store_dwordx4 v36, v[0:3], s[14:15] offset:32
	;; [unrolled: 1-line block ×3, first 2 shown]
	s_and_saveexec_b64 s[14:15], s[4:5]
	s_cbranch_execz .LBB36_382
; %bb.375:
	v_mov_b32_e32 v10, 0
	global_load_dwordx2 v[14:15], v10, s[10:11] offset:32 glc
	global_load_dwordx2 v[0:1], v10, s[10:11] offset:40
	v_mov_b32_e32 v12, s12
	v_mov_b32_e32 v13, s13
	s_waitcnt vmcnt(0)
	v_readfirstlane_b32 s16, v0
	v_readfirstlane_b32 s17, v1
	s_and_b64 s[16:17], s[16:17], s[12:13]
	s_mul_i32 s17, s17, 24
	s_mul_hi_u32 s18, s16, 24
	s_mul_i32 s16, s16, 24
	s_add_i32 s17, s18, s17
	v_mov_b32_e32 v0, s17
	v_add_co_u32_e32 v4, vcc, s16, v4
	v_addc_co_u32_e32 v5, vcc, v5, v0, vcc
	global_store_dwordx2 v[4:5], v[14:15], off
	buffer_wbl2
	s_waitcnt vmcnt(0)
	global_atomic_cmpswap_x2 v[2:3], v10, v[12:15], s[10:11] offset:32 glc
	s_waitcnt vmcnt(0)
	v_cmp_ne_u64_e32 vcc, v[2:3], v[14:15]
	s_and_saveexec_b64 s[16:17], vcc
	s_cbranch_execz .LBB36_378
; %bb.376:
	s_mov_b64 s[18:19], 0
.LBB36_377:                             ; =>This Inner Loop Header: Depth=1
	s_sleep 1
	global_store_dwordx2 v[4:5], v[2:3], off
	v_mov_b32_e32 v0, s12
	v_mov_b32_e32 v1, s13
	buffer_wbl2
	s_waitcnt vmcnt(0)
	global_atomic_cmpswap_x2 v[0:1], v10, v[0:3], s[10:11] offset:32 glc
	s_waitcnt vmcnt(0)
	v_cmp_eq_u64_e32 vcc, v[0:1], v[2:3]
	s_or_b64 s[18:19], vcc, s[18:19]
	v_pk_mov_b32 v[2:3], v[0:1], v[0:1] op_sel:[0,1]
	s_andn2_b64 exec, exec, s[18:19]
	s_cbranch_execnz .LBB36_377
.LBB36_378:
	s_or_b64 exec, exec, s[16:17]
	v_mov_b32_e32 v3, 0
	global_load_dwordx2 v[0:1], v3, s[10:11] offset:16
	s_mov_b64 s[16:17], exec
	v_mbcnt_lo_u32_b32 v2, s16, 0
	v_mbcnt_hi_u32_b32 v2, s17, v2
	v_cmp_eq_u32_e32 vcc, 0, v2
	s_and_saveexec_b64 s[18:19], vcc
	s_cbranch_execz .LBB36_380
; %bb.379:
	s_bcnt1_i32_b64 s16, s[16:17]
	v_mov_b32_e32 v2, s16
	buffer_wbl2
	s_waitcnt vmcnt(0)
	global_atomic_add_x2 v[0:1], v[2:3], off offset:8
.LBB36_380:
	s_or_b64 exec, exec, s[18:19]
	s_waitcnt vmcnt(0)
	global_load_dwordx2 v[2:3], v[0:1], off offset:16
	s_waitcnt vmcnt(0)
	v_cmp_eq_u64_e32 vcc, 0, v[2:3]
	s_cbranch_vccnz .LBB36_382
; %bb.381:
	global_load_dword v0, v[0:1], off offset:24
	v_mov_b32_e32 v1, 0
	buffer_wbl2
	s_waitcnt vmcnt(0)
	global_store_dwordx2 v[2:3], v[0:1], off
	v_and_b32_e32 v0, 0xffffff, v0
	v_readfirstlane_b32 m0, v0
	s_sendmsg sendmsg(MSG_INTERRUPT)
.LBB36_382:
	s_or_b64 exec, exec, s[14:15]
	s_branch .LBB36_386
.LBB36_383:                             ;   in Loop: Header=BB36_386 Depth=1
	s_or_b64 exec, exec, s[14:15]
	v_readfirstlane_b32 s14, v0
	s_cmp_eq_u32 s14, 0
	s_cbranch_scc1 .LBB36_385
; %bb.384:                              ;   in Loop: Header=BB36_386 Depth=1
	s_sleep 1
	s_cbranch_execnz .LBB36_386
	s_branch .LBB36_388
.LBB36_385:
	s_branch .LBB36_388
.LBB36_386:                             ; =>This Inner Loop Header: Depth=1
	v_mov_b32_e32 v0, 1
	s_and_saveexec_b64 s[14:15], s[4:5]
	s_cbranch_execz .LBB36_383
; %bb.387:                              ;   in Loop: Header=BB36_386 Depth=1
	global_load_dword v0, v[8:9], off offset:20 glc
	s_waitcnt vmcnt(0)
	buffer_invl2
	buffer_wbinvl1_vol
	v_and_b32_e32 v0, 1, v0
	s_branch .LBB36_383
.LBB36_388:
	global_load_dwordx2 v[0:1], v[6:7], off
	s_and_saveexec_b64 s[14:15], s[4:5]
	s_cbranch_execz .LBB36_391
; %bb.389:
	v_mov_b32_e32 v8, 0
	global_load_dwordx2 v[6:7], v8, s[10:11] offset:40
	global_load_dwordx2 v[10:11], v8, s[10:11] offset:24 glc
	global_load_dwordx2 v[12:13], v8, s[10:11]
	v_mov_b32_e32 v3, s13
	s_mov_b64 s[4:5], 0
	s_waitcnt vmcnt(2)
	v_add_co_u32_e32 v5, vcc, 1, v6
	v_addc_co_u32_e32 v9, vcc, 0, v7, vcc
	v_add_co_u32_e32 v2, vcc, s12, v5
	v_addc_co_u32_e32 v3, vcc, v9, v3, vcc
	v_cmp_eq_u64_e32 vcc, 0, v[2:3]
	v_cndmask_b32_e32 v3, v3, v9, vcc
	v_cndmask_b32_e32 v2, v2, v5, vcc
	v_and_b32_e32 v5, v3, v7
	v_and_b32_e32 v6, v2, v6
	v_mul_lo_u32 v5, v5, 24
	v_mul_hi_u32 v7, v6, 24
	v_mul_lo_u32 v6, v6, 24
	v_add_u32_e32 v5, v7, v5
	s_waitcnt vmcnt(0)
	v_add_co_u32_e32 v6, vcc, v12, v6
	v_addc_co_u32_e32 v7, vcc, v13, v5, vcc
	v_mov_b32_e32 v4, v10
	global_store_dwordx2 v[6:7], v[10:11], off
	v_mov_b32_e32 v5, v11
	buffer_wbl2
	s_waitcnt vmcnt(0)
	global_atomic_cmpswap_x2 v[4:5], v8, v[2:5], s[10:11] offset:24 glc
	s_waitcnt vmcnt(0)
	v_cmp_ne_u64_e32 vcc, v[4:5], v[10:11]
	s_and_b64 exec, exec, vcc
	s_cbranch_execz .LBB36_391
.LBB36_390:                             ; =>This Inner Loop Header: Depth=1
	s_sleep 1
	global_store_dwordx2 v[6:7], v[4:5], off
	buffer_wbl2
	s_waitcnt vmcnt(0)
	global_atomic_cmpswap_x2 v[10:11], v8, v[2:5], s[10:11] offset:24 glc
	s_waitcnt vmcnt(0)
	v_cmp_eq_u64_e32 vcc, v[10:11], v[4:5]
	s_or_b64 s[4:5], vcc, s[4:5]
	v_pk_mov_b32 v[4:5], v[10:11], v[10:11] op_sel:[0,1]
	s_andn2_b64 exec, exec, s[4:5]
	s_cbranch_execnz .LBB36_390
.LBB36_391:
	s_or_b64 exec, exec, s[14:15]
.LBB36_392:
	s_or_b64 exec, exec, s[6:7]
	s_getpc_b64 s[4:5]
	s_add_u32 s4, s4, .str.3@rel32@lo+4
	s_addc_u32 s5, s5, .str.3@rel32@hi+12
	s_getpc_b64 s[6:7]
	s_add_u32 s6, s6, .str.3@rel32@lo+65
	s_addc_u32 s7, s7, .str.3@rel32@hi+73
	s_sub_i32 s10, s6, s4
	s_ashr_i32 s11, s10, 31
	s_waitcnt vmcnt(0)
	v_mov_b32_e32 v2, s4
	v_mov_b32_e32 v3, s5
	;; [unrolled: 1-line block ×5, first 2 shown]
	s_getpc_b64 s[6:7]
	s_add_u32 s6, s6, __ockl_fprintf_append_string_n@rel32@lo+4
	s_addc_u32 s7, s7, __ockl_fprintf_append_string_n@rel32@hi+12
	s_swappc_b64 s[30:31], s[6:7]
	s_trap 2
.Lfunc_end36:
	.size	__assert_fail, .Lfunc_end36-__assert_fail
                                        ; -- End function
	.section	.AMDGPU.csdata,"",@progbits
; Function info:
; codeLenInByte = 15360
; NumSgprs: 38
; NumVgprs: 41
; NumAgprs: 0
; TotalNumVgprs: 41
; ScratchSize: 64
; MemoryBound: 0
	.section	.text._ZN9rocsolver6v33100L14bdsqr_finalizeIffPKPfS2_S4_EEviiiiPT0_lS6_lT1_iilT2_iilT3_iilPiSA_SA_,"axG",@progbits,_ZN9rocsolver6v33100L14bdsqr_finalizeIffPKPfS2_S4_EEviiiiPT0_lS6_lT1_iilT2_iilT3_iilPiSA_SA_,comdat
	.globl	_ZN9rocsolver6v33100L14bdsqr_finalizeIffPKPfS2_S4_EEviiiiPT0_lS6_lT1_iilT2_iilT3_iilPiSA_SA_ ; -- Begin function _ZN9rocsolver6v33100L14bdsqr_finalizeIffPKPfS2_S4_EEviiiiPT0_lS6_lT1_iilT2_iilT3_iilPiSA_SA_
	.p2align	8
	.type	_ZN9rocsolver6v33100L14bdsqr_finalizeIffPKPfS2_S4_EEviiiiPT0_lS6_lT1_iilT2_iilT3_iilPiSA_SA_,@function
_ZN9rocsolver6v33100L14bdsqr_finalizeIffPKPfS2_S4_EEviiiiPT0_lS6_lT1_iilT2_iilT3_iilPiSA_SA_: ; @_ZN9rocsolver6v33100L14bdsqr_finalizeIffPKPfS2_S4_EEviiiiPT0_lS6_lT1_iilT2_iilT3_iilPiSA_SA_
; %bb.0:
	s_add_u32 flat_scratch_lo, s6, s10
	s_addc_u32 flat_scratch_hi, s7, 0
	s_load_dwordx2 s[6:7], s[4:5], 0x88
	s_add_u32 s0, s0, s10
	s_addc_u32 s1, s1, 0
	s_mov_b32 s12, s9
	s_ashr_i32 s13, s9, 31
	s_lshl_b64 s[26:27], s[12:13], 2
	s_waitcnt lgkmcnt(0)
	s_add_u32 s6, s6, s26
	s_addc_u32 s7, s7, s27
	s_load_dword s6, s[6:7], 0x8
	s_mov_b32 s32, 0
	s_waitcnt lgkmcnt(0)
	s_cmp_gt_i32 s6, 1
	s_cbranch_scc1 .LBB37_264
; %bb.1:
	s_load_dwordx2 s[6:7], s[4:5], 0x9c
	s_load_dwordx4 s[56:59], s[4:5], 0x30
	s_load_dwordx8 s[44:51], s[4:5], 0x10
	s_mov_b64 s[34:35], 0
	s_mov_b64 s[28:29], 0
	s_waitcnt lgkmcnt(0)
	s_and_b32 s7, s7, 0xffff
	s_cmp_eq_u64 s[56:57], 0
	s_cbranch_scc1 .LBB37_3
; %bb.2:
	s_lshl_b64 s[8:9], s[12:13], 3
	s_add_u32 s8, s56, s8
	s_addc_u32 s9, s57, s9
	s_load_dwordx2 s[8:9], s[8:9], 0x0
	s_ashr_i32 s11, s58, 31
	s_mov_b32 s10, s58
	s_lshl_b64 s[10:11], s[10:11], 2
	s_waitcnt lgkmcnt(0)
	s_add_u32 s28, s8, s10
	s_addc_u32 s29, s9, s11
.LBB37_3:
	s_load_dwordx8 s[36:43], s[4:5], 0x48
	s_waitcnt lgkmcnt(0)
	s_cmp_eq_u64 s[36:37], 0
	s_cbranch_scc1 .LBB37_5
; %bb.4:
	s_mul_i32 s10, s12, s41
	s_mul_hi_u32 s11, s12, s40
	s_add_i32 s10, s11, s10
	s_mul_i32 s11, s13, s40
	s_add_i32 s11, s10, s11
	s_mul_i32 s10, s12, s40
	s_ashr_i32 s9, s38, 31
	s_lshl_b64 s[10:11], s[10:11], 2
	s_mov_b32 s8, s38
	s_add_u32 s10, s36, s10
	s_addc_u32 s11, s37, s11
	s_lshl_b64 s[8:9], s[8:9], 2
	s_add_u32 s34, s10, s8
	s_addc_u32 s35, s11, s9
.LBB37_5:
	s_load_dwordx4 s[52:55], s[4:5], 0x78
	s_load_dwordx2 s[56:57], s[4:5], 0x68
	s_cmp_eq_u64 s[42:43], 0
	s_mov_b64 s[36:37], 0
	s_cbranch_scc1 .LBB37_7
; %bb.6:
	s_lshl_b64 s[8:9], s[12:13], 3
	s_add_u32 s8, s42, s8
	s_addc_u32 s9, s43, s9
	s_load_dwordx2 s[8:9], s[8:9], 0x0
	s_waitcnt lgkmcnt(0)
	s_ashr_i32 s11, s56, 31
	s_mov_b32 s10, s56
	s_lshl_b64 s[10:11], s[10:11], 2
	s_add_u32 s36, s8, s10
	s_addc_u32 s37, s9, s11
.LBB37_7:
	s_mul_i32 s8, s12, s47
	s_mul_hi_u32 s9, s12, s46
	s_add_i32 s8, s9, s8
	s_mul_i32 s9, s13, s46
	s_add_i32 s9, s8, s9
	s_mul_i32 s8, s12, s46
	s_lshl_b64 s[60:61], s[8:9], 2
	s_add_u32 s46, s44, s60
	s_load_dwordx4 s[40:43], s[4:5], 0x0
	s_addc_u32 s47, s45, s61
	s_lshr_b32 s8, s6, 16
	s_and_b32 s38, s6, 0xffff
	v_bfe_u32 v43, v0, 10, 10
	v_bfe_u32 v44, v0, 20, 10
	s_mul_i32 s58, s8, s38
	v_and_b32_e32 v42, 0x3ff, v0
	v_mul_u32_u24_e32 v1, s38, v43
	v_mul_lo_u32 v0, s58, v44
	v_add3_u32 v41, v1, v42, v0
	s_and_b32 s6, s7, 0xffff
	s_mul_i32 s58, s58, s6
	s_waitcnt lgkmcnt(0)
	s_cmp_lt_i32 s40, 1
	v_cmp_eq_u32_e64 s[6:7], 0, v41
	s_cbranch_scc1 .LBB37_22
; %bb.8:
	s_mul_i32 s8, s12, s51
	s_mul_hi_u32 s9, s12, s50
	s_add_i32 s8, s9, s8
	s_mul_i32 s9, s13, s50
	s_add_i32 s9, s8, s9
	s_mul_i32 s8, s12, s50
	s_lshl_b64 s[8:9], s[8:9], 2
	s_add_u32 s13, s48, s8
	s_addc_u32 s22, s49, s9
	s_add_i32 s23, s40, -1
	s_cmp_lg_u32 s41, 0
	s_cselect_b64 s[10:11], -1, 0
	s_mov_b32 s15, 0
	v_cndmask_b32_e64 v0, 0, 1, s[10:11]
	v_cmp_gt_u32_e64 s[8:9], s41, v41
	s_ashr_i32 s24, s59, 31
	s_mov_b32 s25, s59
	v_mov_b32_e32 v2, 0
	v_cmp_ne_u32_e64 s[10:11], 1, v0
	v_mov_b32_e32 v3, s29
	s_mov_b32 s14, s15
	s_mov_b32 s56, s15
	s_branch .LBB37_11
.LBB37_9:                               ;   in Loop: Header=BB37_11 Depth=1
	s_or_b64 exec, exec, s[18:19]
.LBB37_10:                              ;   in Loop: Header=BB37_11 Depth=1
	s_add_i32 s14, s14, 1
	s_cmp_eq_u32 s14, s40
	s_cbranch_scc1 .LBB37_23
.LBB37_11:                              ; =>This Loop Header: Depth=1
                                        ;     Child Loop BB37_18 Depth 2
	s_cmp_ge_i32 s14, s23
	s_cbranch_scc1 .LBB37_14
; %bb.12:                               ;   in Loop: Header=BB37_11 Depth=1
	s_lshl_b64 s[16:17], s[14:15], 2
	s_add_u32 s16, s13, s16
	s_addc_u32 s17, s22, s17
	global_load_dword v0, v2, s[16:17]
	s_waitcnt vmcnt(0)
	v_cmp_eq_f32_e32 vcc, 0, v0
	s_cbranch_vccnz .LBB37_14
; %bb.13:                               ;   in Loop: Header=BB37_11 Depth=1
	s_add_i32 s56, s56, 1
.LBB37_14:                              ;   in Loop: Header=BB37_11 Depth=1
	s_lshl_b64 s[16:17], s[14:15], 2
	s_add_u32 s16, s46, s16
	s_addc_u32 s17, s47, s17
	global_load_dword v0, v2, s[16:17]
	s_waitcnt vmcnt(0)
	v_cmp_ngt_f32_e32 vcc, 0, v0
	s_cbranch_vccnz .LBB37_10
; %bb.15:                               ;   in Loop: Header=BB37_11 Depth=1
	s_and_b64 vcc, exec, s[10:11]
	s_cbranch_vccnz .LBB37_20
; %bb.16:                               ;   in Loop: Header=BB37_11 Depth=1
	s_and_saveexec_b64 s[18:19], s[8:9]
	s_cbranch_execz .LBB37_19
; %bb.17:                               ;   in Loop: Header=BB37_11 Depth=1
	s_mov_b64 s[20:21], 0
	v_pk_mov_b32 v[0:1], s[14:15], s[14:15] op_sel:[0,1]
	v_mov_b32_e32 v4, v41
.LBB37_18:                              ;   Parent Loop BB37_11 Depth=1
                                        ; =>  This Inner Loop Header: Depth=2
	v_mad_u64_u32 v[6:7], s[30:31], v4, s25, v[0:1]
	v_mov_b32_e32 v8, v7
	v_mad_u64_u32 v[8:9], s[30:31], v4, s24, v[8:9]
	v_mov_b32_e32 v7, v8
	v_lshlrev_b64 v[6:7], 2, v[6:7]
	v_add_co_u32_e32 v6, vcc, s28, v6
	v_addc_co_u32_e32 v7, vcc, v3, v7, vcc
	flat_load_dword v5, v[6:7]
	v_add_u32_e32 v4, s58, v4
	v_cmp_le_u32_e32 vcc, s41, v4
	s_or_b64 s[20:21], vcc, s[20:21]
	s_waitcnt vmcnt(0) lgkmcnt(0)
	v_xor_b32_e32 v5, 0x80000000, v5
	flat_store_dword v[6:7], v5
	s_andn2_b64 exec, exec, s[20:21]
	s_cbranch_execnz .LBB37_18
.LBB37_19:                              ;   in Loop: Header=BB37_11 Depth=1
	s_or_b64 exec, exec, s[18:19]
	s_waitcnt lgkmcnt(0)
	s_barrier
.LBB37_20:                              ;   in Loop: Header=BB37_11 Depth=1
	s_and_saveexec_b64 s[18:19], s[6:7]
	s_cbranch_execz .LBB37_9
; %bb.21:                               ;   in Loop: Header=BB37_11 Depth=1
	global_load_dword v0, v2, s[16:17]
	s_waitcnt vmcnt(0)
	v_xor_b32_e32 v0, 0x80000000, v0
	global_store_dword v2, v0, s[16:17]
	s_branch .LBB37_9
.LBB37_22:
	s_mov_b32 s56, 0
.LBB37_23:
	s_cmp_lt_i32 s56, 1
	s_mov_b64 s[6:7], -1
	s_cbranch_scc0 .LBB37_261
; %bb.24:
	s_mul_i32 s6, s12, s40
	s_lshl_b32 s6, s6, 1
	s_ashr_i32 s7, s6, 31
	s_lshl_b64 s[6:7], s[6:7], 2
	s_add_u32 s6, s54, s6
	s_addc_u32 s7, s55, s7
	s_cmp_lg_u64 s[54:55], 0
	s_cselect_b32 s51, s7, 0
	s_cselect_b32 s50, s6, 0
	s_mov_b64 s[62:63], 0
	s_cmp_lg_u64 s[50:51], 0
	s_barrier
	s_cbranch_scc0 .LBB37_40
; %bb.25:
	s_or_b32 s6, s42, s41
	s_or_b32 s8, s6, s43
	s_cmp_gt_i32 s40, 0
	s_cselect_b64 s[64:65], -1, 0
	s_cmp_lg_u64 s[44:45], 0
	s_cselect_b64 s[6:7], -1, 0
	s_and_b64 s[48:49], s[64:65], s[6:7]
	s_cmp_eq_u32 s8, 0
	s_cbranch_scc1 .LBB37_41
; %bb.26:
	s_mov_b64 s[66:67], -1
	s_mov_b64 s[54:55], 0
	s_and_b64 vcc, exec, s[48:49]
	s_cbranch_vccz .LBB37_119
; %bb.27:
	v_cmp_gt_u32_e32 vcc, s40, v41
	s_barrier
	s_and_saveexec_b64 s[6:7], vcc
	s_cbranch_execz .LBB37_30
; %bb.28:
	s_mov_b64 s[8:9], 0
	v_mov_b32_e32 v1, 0
	v_mov_b32_e32 v2, s51
	;; [unrolled: 1-line block ×3, first 2 shown]
.LBB37_29:                              ; =>This Inner Loop Header: Depth=1
	v_lshlrev_b64 v[4:5], 2, v[0:1]
	v_add_co_u32_e32 v4, vcc, s50, v4
	v_addc_co_u32_e32 v5, vcc, v2, v5, vcc
	global_store_dword v[4:5], v0, off
	v_add_u32_e32 v0, s58, v0
	v_cmp_le_u32_e32 vcc, s40, v0
	s_or_b64 s[8:9], vcc, s[8:9]
	s_andn2_b64 exec, exec, s[8:9]
	s_cbranch_execnz .LBB37_29
.LBB37_30:
	s_or_b64 exec, exec, s[6:7]
	v_or3_b32 v0, v43, v44, v42
	v_cmp_eq_u32_e32 vcc, 0, v0
	s_barrier
	s_and_saveexec_b64 s[6:7], vcc
	s_cbranch_execz .LBB37_103
; %bb.31:
	s_cmpk_lt_i32 s40, 0x2be
	s_cbranch_scc1 .LBB37_42
; %bb.32:
	s_add_u32 s8, s50, 0xaf4
	s_addc_u32 s9, s51, 0
	s_mov_b64 s[10:11], 0x2bd
	v_mov_b32_e32 v0, 0
	s_mov_b64 s[12:13], s[46:47]
	s_branch .LBB37_34
.LBB37_33:                              ;   in Loop: Header=BB37_34 Depth=1
	s_lshl_b64 s[14:15], s[14:15], 2
	s_add_u32 s16, s46, s14
	s_addc_u32 s17, s47, s15
	s_add_u32 s14, s50, s14
	s_addc_u32 s15, s51, s15
	;; [unrolled: 2-line block ×5, first 2 shown]
	s_cmp_eq_u32 s10, s40
	global_store_dword v0, v2, s[16:17]
	global_store_dword v0, v1, s[14:15]
	s_cbranch_scc1 .LBB37_42
.LBB37_34:                              ; =>This Loop Header: Depth=1
                                        ;     Child Loop BB37_36 Depth 2
	s_lshl_b64 s[14:15], s[10:11], 2
	s_and_b32 s15, s15, 3
	s_add_u32 s16, s46, s14
	s_addc_u32 s17, s47, s15
	s_add_u32 s14, s50, s14
	s_addc_u32 s15, s51, s15
	global_load_dword v2, v0, s[16:17]
	global_load_dword v1, v0, s[14:15]
	s_mov_b64 s[16:17], s[12:13]
	s_mov_b64 s[18:19], s[8:9]
	;; [unrolled: 1-line block ×3, first 2 shown]
	s_branch .LBB37_36
.LBB37_35:                              ;   in Loop: Header=BB37_36 Depth=2
	global_load_dword v4, v0, s[18:19] offset:-2804
	s_add_u32 s30, s18, 0xfffff50c
	s_addc_u32 s31, s19, -1
	s_add_u32 s22, s14, 0xfffffd43
	s_addc_u32 s23, s15, -1
	global_store_dword v0, v3, s[16:17] offset:2804
	s_add_u32 s16, s16, 0xfffff50c
	s_addc_u32 s17, s17, -1
	s_cmpk_lt_i32 s14, 0x57a
	s_mov_b64 s[20:21], 0
	s_mov_b64 s[14:15], s[22:23]
	s_cselect_b64 s[24:25], -1, 0
	s_waitcnt vmcnt(1)
	global_store_dword v0, v4, s[18:19]
	s_mov_b64 s[18:19], s[30:31]
	s_andn2_b64 vcc, exec, s[24:25]
	s_cbranch_vccz .LBB37_38
.LBB37_36:                              ;   Parent Loop BB37_34 Depth=1
                                        ; =>  This Inner Loop Header: Depth=2
	global_load_dword v3, v0, s[16:17]
	s_mov_b64 s[20:21], -1
	s_waitcnt vmcnt(0)
	v_cmp_nlt_f32_e32 vcc, v3, v2
	s_cbranch_vccz .LBB37_35
; %bb.37:                               ;   in Loop: Header=BB37_34 Depth=1
                                        ; implicit-def: $sgpr18_sgpr19
                                        ; implicit-def: $sgpr16_sgpr17
                                        ; implicit-def: $sgpr22_sgpr23
.LBB37_38:                              ;   in Loop: Header=BB37_34 Depth=1
	s_andn2_b64 vcc, exec, s[20:21]
	s_cbranch_vccz .LBB37_33
; %bb.39:                               ;   in Loop: Header=BB37_34 Depth=1
	s_bfe_i64 s[14:15], s[22:23], 0x200000
	s_branch .LBB37_33
.LBB37_40:
	s_branch .LBB37_237
.LBB37_41:
	s_mov_b64 s[54:55], 0
	s_cbranch_execnz .LBB37_144
	s_branch .LBB37_232
.LBB37_42:
	s_cmpk_lt_i32 s40, 0x12e
	s_cbranch_scc1 .LBB37_51
; %bb.43:
	s_add_u32 s8, s50, 0x4b4
	s_addc_u32 s9, s51, 0
	s_mov_b64 s[10:11], 0x12d
	v_mov_b32_e32 v0, 0
	s_mov_b64 s[12:13], s[46:47]
	s_branch .LBB37_45
.LBB37_44:                              ;   in Loop: Header=BB37_45 Depth=1
	s_lshl_b64 s[14:15], s[14:15], 2
	s_add_u32 s16, s46, s14
	s_addc_u32 s17, s47, s15
	s_add_u32 s14, s50, s14
	s_addc_u32 s15, s51, s15
	;; [unrolled: 2-line block ×5, first 2 shown]
	s_cmp_lg_u32 s10, s40
	global_store_dword v0, v2, s[16:17]
	global_store_dword v0, v1, s[14:15]
	s_cbranch_scc0 .LBB37_51
.LBB37_45:                              ; =>This Loop Header: Depth=1
                                        ;     Child Loop BB37_47 Depth 2
	s_lshl_b64 s[14:15], s[10:11], 2
	s_and_b32 s15, s15, 3
	s_add_u32 s16, s46, s14
	s_addc_u32 s17, s47, s15
	s_add_u32 s14, s50, s14
	s_addc_u32 s15, s51, s15
	global_load_dword v2, v0, s[16:17]
	global_load_dword v1, v0, s[14:15]
	s_mov_b64 s[16:17], s[12:13]
	s_mov_b64 s[18:19], s[8:9]
	;; [unrolled: 1-line block ×3, first 2 shown]
	s_branch .LBB37_47
.LBB37_46:                              ;   in Loop: Header=BB37_47 Depth=2
	global_load_dword v4, v0, s[18:19] offset:-1204
	s_add_u32 s30, s18, 0xfffffb4c
	s_addc_u32 s31, s19, -1
	s_add_u32 s22, s14, 0xfffffed3
	s_addc_u32 s23, s15, -1
	global_store_dword v0, v3, s[16:17] offset:1204
	s_add_u32 s16, s16, 0xfffffb4c
	s_addc_u32 s17, s17, -1
	s_cmpk_lt_i32 s14, 0x25a
	s_mov_b64 s[20:21], 0
	s_mov_b64 s[14:15], s[22:23]
	s_cselect_b64 s[24:25], -1, 0
	s_waitcnt vmcnt(1)
	global_store_dword v0, v4, s[18:19]
	s_mov_b64 s[18:19], s[30:31]
	s_andn2_b64 vcc, exec, s[24:25]
	s_cbranch_vccz .LBB37_49
.LBB37_47:                              ;   Parent Loop BB37_45 Depth=1
                                        ; =>  This Inner Loop Header: Depth=2
	global_load_dword v3, v0, s[16:17]
	s_mov_b64 s[20:21], -1
	s_waitcnt vmcnt(0)
	v_cmp_nlt_f32_e32 vcc, v3, v2
	s_cbranch_vccz .LBB37_46
; %bb.48:                               ;   in Loop: Header=BB37_45 Depth=1
                                        ; implicit-def: $sgpr18_sgpr19
                                        ; implicit-def: $sgpr16_sgpr17
                                        ; implicit-def: $sgpr22_sgpr23
.LBB37_49:                              ;   in Loop: Header=BB37_45 Depth=1
	s_andn2_b64 vcc, exec, s[20:21]
	s_cbranch_vccz .LBB37_44
; %bb.50:                               ;   in Loop: Header=BB37_45 Depth=1
	s_bfe_i64 s[14:15], s[22:23], 0x200000
	s_branch .LBB37_44
.LBB37_51:
	s_cmpk_lt_i32 s40, 0x85
	s_cbranch_scc1 .LBB37_60
; %bb.52:
	s_add_u32 s8, s50, 0x210
	s_addc_u32 s9, s51, 0
	s_mov_b64 s[10:11], 0x84
	v_mov_b32_e32 v0, 0
	s_mov_b64 s[12:13], s[46:47]
	s_branch .LBB37_54
.LBB37_53:                              ;   in Loop: Header=BB37_54 Depth=1
	s_lshl_b64 s[14:15], s[14:15], 2
	s_add_u32 s16, s46, s14
	s_addc_u32 s17, s47, s15
	s_add_u32 s14, s50, s14
	s_addc_u32 s15, s51, s15
	;; [unrolled: 2-line block ×5, first 2 shown]
	s_cmp_lg_u32 s10, s40
	global_store_dword v0, v2, s[16:17]
	global_store_dword v0, v1, s[14:15]
	s_cbranch_scc0 .LBB37_60
.LBB37_54:                              ; =>This Loop Header: Depth=1
                                        ;     Child Loop BB37_56 Depth 2
	s_lshl_b64 s[14:15], s[10:11], 2
	s_and_b32 s15, s15, 3
	s_add_u32 s16, s46, s14
	s_addc_u32 s17, s47, s15
	s_add_u32 s14, s50, s14
	s_addc_u32 s15, s51, s15
	global_load_dword v2, v0, s[16:17]
	global_load_dword v1, v0, s[14:15]
	s_mov_b64 s[16:17], s[12:13]
	s_mov_b64 s[18:19], s[8:9]
	;; [unrolled: 1-line block ×3, first 2 shown]
	s_branch .LBB37_56
.LBB37_55:                              ;   in Loop: Header=BB37_56 Depth=2
	global_load_dword v4, v0, s[18:19] offset:-528
	s_add_u32 s30, s18, 0xfffffdf0
	s_addc_u32 s31, s19, -1
	s_add_u32 s22, s14, 0xffffff7c
	s_addc_u32 s23, s15, -1
	global_store_dword v0, v3, s[16:17] offset:528
	s_add_u32 s16, s16, 0xfffffdf0
	s_addc_u32 s17, s17, -1
	s_cmpk_lt_i32 s14, 0x108
	s_mov_b64 s[20:21], 0
	s_mov_b64 s[14:15], s[22:23]
	s_cselect_b64 s[24:25], -1, 0
	s_waitcnt vmcnt(1)
	global_store_dword v0, v4, s[18:19]
	s_mov_b64 s[18:19], s[30:31]
	s_andn2_b64 vcc, exec, s[24:25]
	s_cbranch_vccz .LBB37_58
.LBB37_56:                              ;   Parent Loop BB37_54 Depth=1
                                        ; =>  This Inner Loop Header: Depth=2
	global_load_dword v3, v0, s[16:17]
	s_mov_b64 s[20:21], -1
	s_waitcnt vmcnt(0)
	v_cmp_nlt_f32_e32 vcc, v3, v2
	s_cbranch_vccz .LBB37_55
; %bb.57:                               ;   in Loop: Header=BB37_54 Depth=1
                                        ; implicit-def: $sgpr18_sgpr19
                                        ; implicit-def: $sgpr16_sgpr17
                                        ; implicit-def: $sgpr22_sgpr23
.LBB37_58:                              ;   in Loop: Header=BB37_54 Depth=1
	s_andn2_b64 vcc, exec, s[20:21]
	s_cbranch_vccz .LBB37_53
; %bb.59:                               ;   in Loop: Header=BB37_54 Depth=1
	s_bfe_i64 s[14:15], s[22:23], 0x200000
	s_branch .LBB37_53
.LBB37_60:
	s_cmp_lt_i32 s40, 58
	s_cbranch_scc1 .LBB37_69
; %bb.61:
	s_add_u32 s8, s50, 0xe4
	s_addc_u32 s9, s51, 0
	s_mov_b64 s[10:11], 57
	v_mov_b32_e32 v0, 0
	s_mov_b64 s[12:13], s[46:47]
	s_branch .LBB37_63
.LBB37_62:                              ;   in Loop: Header=BB37_63 Depth=1
	s_lshl_b64 s[14:15], s[14:15], 2
	s_add_u32 s16, s46, s14
	s_addc_u32 s17, s47, s15
	s_add_u32 s14, s50, s14
	s_addc_u32 s15, s51, s15
	;; [unrolled: 2-line block ×5, first 2 shown]
	s_cmp_lg_u32 s10, s40
	global_store_dword v0, v2, s[16:17]
	global_store_dword v0, v1, s[14:15]
	s_cbranch_scc0 .LBB37_69
.LBB37_63:                              ; =>This Loop Header: Depth=1
                                        ;     Child Loop BB37_65 Depth 2
	s_lshl_b64 s[14:15], s[10:11], 2
	s_and_b32 s15, s15, 3
	s_add_u32 s16, s46, s14
	s_addc_u32 s17, s47, s15
	s_add_u32 s14, s50, s14
	s_addc_u32 s15, s51, s15
	global_load_dword v2, v0, s[16:17]
	global_load_dword v1, v0, s[14:15]
	s_mov_b64 s[16:17], s[12:13]
	s_mov_b64 s[18:19], s[8:9]
	;; [unrolled: 1-line block ×3, first 2 shown]
	s_branch .LBB37_65
.LBB37_64:                              ;   in Loop: Header=BB37_65 Depth=2
	global_load_dword v4, v0, s[18:19] offset:-228
	s_add_u32 s30, s18, 0xffffff1c
	s_addc_u32 s31, s19, -1
	s_add_u32 s22, s14, 0xffffffc7
	s_addc_u32 s23, s15, -1
	global_store_dword v0, v3, s[16:17] offset:228
	s_add_u32 s16, s16, 0xffffff1c
	s_addc_u32 s17, s17, -1
	s_cmpk_lt_i32 s14, 0x72
	s_mov_b64 s[20:21], 0
	s_mov_b64 s[14:15], s[22:23]
	s_cselect_b64 s[24:25], -1, 0
	s_waitcnt vmcnt(1)
	global_store_dword v0, v4, s[18:19]
	s_mov_b64 s[18:19], s[30:31]
	s_andn2_b64 vcc, exec, s[24:25]
	s_cbranch_vccz .LBB37_67
.LBB37_65:                              ;   Parent Loop BB37_63 Depth=1
                                        ; =>  This Inner Loop Header: Depth=2
	global_load_dword v3, v0, s[16:17]
	s_mov_b64 s[20:21], -1
	s_waitcnt vmcnt(0)
	v_cmp_nlt_f32_e32 vcc, v3, v2
	s_cbranch_vccz .LBB37_64
; %bb.66:                               ;   in Loop: Header=BB37_63 Depth=1
                                        ; implicit-def: $sgpr18_sgpr19
                                        ; implicit-def: $sgpr16_sgpr17
                                        ; implicit-def: $sgpr22_sgpr23
.LBB37_67:                              ;   in Loop: Header=BB37_63 Depth=1
	s_andn2_b64 vcc, exec, s[20:21]
	s_cbranch_vccz .LBB37_62
; %bb.68:                               ;   in Loop: Header=BB37_63 Depth=1
	s_bfe_i64 s[14:15], s[22:23], 0x200000
	s_branch .LBB37_62
.LBB37_69:
	s_cmp_lt_i32 s40, 24
	s_cbranch_scc1 .LBB37_78
; %bb.70:
	s_add_u32 s8, s50, 0x5c
	s_addc_u32 s9, s51, 0
	s_mov_b64 s[10:11], 23
	v_mov_b32_e32 v0, 0
	s_mov_b64 s[12:13], s[46:47]
	s_branch .LBB37_72
.LBB37_71:                              ;   in Loop: Header=BB37_72 Depth=1
	s_lshl_b64 s[14:15], s[14:15], 2
	s_add_u32 s16, s46, s14
	s_addc_u32 s17, s47, s15
	s_add_u32 s14, s50, s14
	s_addc_u32 s15, s51, s15
	;; [unrolled: 2-line block ×5, first 2 shown]
	s_cmp_lg_u32 s10, s40
	global_store_dword v0, v2, s[16:17]
	global_store_dword v0, v1, s[14:15]
	s_cbranch_scc0 .LBB37_78
.LBB37_72:                              ; =>This Loop Header: Depth=1
                                        ;     Child Loop BB37_74 Depth 2
	s_lshl_b64 s[14:15], s[10:11], 2
	s_and_b32 s15, s15, 3
	s_add_u32 s16, s46, s14
	s_addc_u32 s17, s47, s15
	s_add_u32 s14, s50, s14
	s_addc_u32 s15, s51, s15
	global_load_dword v2, v0, s[16:17]
	global_load_dword v1, v0, s[14:15]
	s_mov_b64 s[16:17], s[12:13]
	s_mov_b64 s[18:19], s[8:9]
	;; [unrolled: 1-line block ×3, first 2 shown]
	s_branch .LBB37_74
.LBB37_73:                              ;   in Loop: Header=BB37_74 Depth=2
	global_load_dword v4, v0, s[18:19] offset:-92
	s_add_u32 s30, s18, 0xffffffa4
	s_addc_u32 s31, s19, -1
	s_add_u32 s22, s14, 0xffffffe9
	s_addc_u32 s23, s15, -1
	global_store_dword v0, v3, s[16:17] offset:92
	s_add_u32 s16, s16, 0xffffffa4
	s_addc_u32 s17, s17, -1
	s_cmp_lt_i32 s14, 46
	s_mov_b64 s[20:21], 0
	s_mov_b64 s[14:15], s[22:23]
	s_cselect_b64 s[24:25], -1, 0
	s_waitcnt vmcnt(1)
	global_store_dword v0, v4, s[18:19]
	s_mov_b64 s[18:19], s[30:31]
	s_andn2_b64 vcc, exec, s[24:25]
	s_cbranch_vccz .LBB37_76
.LBB37_74:                              ;   Parent Loop BB37_72 Depth=1
                                        ; =>  This Inner Loop Header: Depth=2
	global_load_dword v3, v0, s[16:17]
	s_mov_b64 s[20:21], -1
	s_waitcnt vmcnt(0)
	v_cmp_nlt_f32_e32 vcc, v3, v2
	s_cbranch_vccz .LBB37_73
; %bb.75:                               ;   in Loop: Header=BB37_72 Depth=1
                                        ; implicit-def: $sgpr18_sgpr19
                                        ; implicit-def: $sgpr16_sgpr17
                                        ; implicit-def: $sgpr22_sgpr23
.LBB37_76:                              ;   in Loop: Header=BB37_72 Depth=1
	s_andn2_b64 vcc, exec, s[20:21]
	s_cbranch_vccz .LBB37_71
; %bb.77:                               ;   in Loop: Header=BB37_72 Depth=1
	s_bfe_i64 s[14:15], s[22:23], 0x200000
	s_branch .LBB37_71
.LBB37_78:
	s_cmp_lt_i32 s40, 11
	s_cbranch_scc1 .LBB37_87
; %bb.79:
	s_add_u32 s8, s50, 40
	s_addc_u32 s9, s51, 0
	s_mov_b64 s[10:11], 10
	v_mov_b32_e32 v0, 0
	s_mov_b64 s[12:13], s[46:47]
	s_branch .LBB37_81
.LBB37_80:                              ;   in Loop: Header=BB37_81 Depth=1
	s_lshl_b64 s[14:15], s[14:15], 2
	s_add_u32 s16, s46, s14
	s_addc_u32 s17, s47, s15
	s_add_u32 s14, s50, s14
	s_addc_u32 s15, s51, s15
	;; [unrolled: 2-line block ×5, first 2 shown]
	s_cmp_lg_u32 s10, s40
	global_store_dword v0, v2, s[16:17]
	global_store_dword v0, v1, s[14:15]
	s_cbranch_scc0 .LBB37_87
.LBB37_81:                              ; =>This Loop Header: Depth=1
                                        ;     Child Loop BB37_83 Depth 2
	s_lshl_b64 s[14:15], s[10:11], 2
	s_and_b32 s15, s15, 3
	s_add_u32 s16, s46, s14
	s_addc_u32 s17, s47, s15
	s_add_u32 s14, s50, s14
	s_addc_u32 s15, s51, s15
	global_load_dword v2, v0, s[16:17]
	global_load_dword v1, v0, s[14:15]
	s_mov_b64 s[16:17], s[12:13]
	s_mov_b64 s[18:19], s[8:9]
	;; [unrolled: 1-line block ×3, first 2 shown]
	s_branch .LBB37_83
.LBB37_82:                              ;   in Loop: Header=BB37_83 Depth=2
	global_load_dword v4, v0, s[18:19] offset:-40
	s_add_u32 s30, s18, 0xffffffd8
	s_addc_u32 s31, s19, -1
	s_add_u32 s22, s14, -10
	s_addc_u32 s23, s15, -1
	global_store_dword v0, v3, s[16:17] offset:40
	s_add_u32 s16, s16, 0xffffffd8
	s_addc_u32 s17, s17, -1
	s_cmp_lt_i32 s14, 20
	s_mov_b64 s[20:21], 0
	s_mov_b64 s[14:15], s[22:23]
	s_cselect_b64 s[24:25], -1, 0
	s_waitcnt vmcnt(1)
	global_store_dword v0, v4, s[18:19]
	s_mov_b64 s[18:19], s[30:31]
	s_andn2_b64 vcc, exec, s[24:25]
	s_cbranch_vccz .LBB37_85
.LBB37_83:                              ;   Parent Loop BB37_81 Depth=1
                                        ; =>  This Inner Loop Header: Depth=2
	global_load_dword v3, v0, s[16:17]
	s_mov_b64 s[20:21], -1
	s_waitcnt vmcnt(0)
	v_cmp_nlt_f32_e32 vcc, v3, v2
	s_cbranch_vccz .LBB37_82
; %bb.84:                               ;   in Loop: Header=BB37_81 Depth=1
                                        ; implicit-def: $sgpr18_sgpr19
                                        ; implicit-def: $sgpr16_sgpr17
                                        ; implicit-def: $sgpr22_sgpr23
.LBB37_85:                              ;   in Loop: Header=BB37_81 Depth=1
	s_andn2_b64 vcc, exec, s[20:21]
	s_cbranch_vccz .LBB37_80
; %bb.86:                               ;   in Loop: Header=BB37_81 Depth=1
	s_bfe_i64 s[14:15], s[22:23], 0x200000
	s_branch .LBB37_80
.LBB37_87:
	s_cmp_lt_i32 s40, 5
	s_cbranch_scc1 .LBB37_96
; %bb.88:
	s_add_u32 s8, s50, 16
	s_addc_u32 s9, s51, 0
	s_add_u32 s10, s60, s44
	s_addc_u32 s11, s61, s45
	;; [unrolled: 2-line block ×3, first 2 shown]
	s_mov_b64 s[12:13], 4
	v_mov_b32_e32 v0, 0
	s_branch .LBB37_90
.LBB37_89:                              ;   in Loop: Header=BB37_90 Depth=1
	s_lshl_b64 s[14:15], s[14:15], 2
	s_add_u32 s16, s46, s14
	s_addc_u32 s17, s47, s15
	s_add_u32 s14, s50, s14
	s_addc_u32 s15, s51, s15
	;; [unrolled: 2-line block ×5, first 2 shown]
	s_cmp_lg_u32 s12, s40
	global_store_dword v0, v2, s[16:17]
	global_store_dword v0, v1, s[14:15]
	s_cbranch_scc0 .LBB37_96
.LBB37_90:                              ; =>This Loop Header: Depth=1
                                        ;     Child Loop BB37_92 Depth 2
	s_lshl_b64 s[14:15], s[12:13], 2
	s_and_b32 s15, s15, 3
	s_add_u32 s16, s46, s14
	s_addc_u32 s17, s47, s15
	s_add_u32 s14, s50, s14
	s_addc_u32 s15, s51, s15
	global_load_dword v2, v0, s[16:17]
	global_load_dword v1, v0, s[14:15]
	s_mov_b64 s[18:19], s[10:11]
	s_mov_b64 s[16:17], s[8:9]
	;; [unrolled: 1-line block ×3, first 2 shown]
	s_branch .LBB37_92
.LBB37_91:                              ;   in Loop: Header=BB37_92 Depth=2
	global_load_dword v4, v0, s[16:17] offset:-16
	s_mov_b64 s[20:21], 0
	global_store_dword v0, v3, s[18:19]
	s_add_u32 s18, s16, -16
	s_addc_u32 s19, s17, -1
	s_add_u32 s22, s14, -4
	s_addc_u32 s23, s15, -1
	s_cmp_lt_i32 s14, 8
	s_mov_b64 s[14:15], s[22:23]
	s_cselect_b64 s[30:31], -1, 0
	s_waitcnt vmcnt(1)
	global_store_dword v0, v4, s[16:17]
	s_mov_b64 s[16:17], s[18:19]
	s_mov_b64 s[18:19], s[24:25]
	s_andn2_b64 vcc, exec, s[30:31]
	s_cbranch_vccz .LBB37_94
.LBB37_92:                              ;   Parent Loop BB37_90 Depth=1
                                        ; =>  This Inner Loop Header: Depth=2
	global_load_dword v3, v0, s[18:19] offset:-16
	s_add_u32 s24, s18, -16
	s_addc_u32 s25, s19, -1
	s_mov_b64 s[20:21], -1
	s_waitcnt vmcnt(0)
	v_cmp_nlt_f32_e32 vcc, v3, v2
	s_cbranch_vccz .LBB37_91
; %bb.93:                               ;   in Loop: Header=BB37_90 Depth=1
                                        ; implicit-def: $sgpr16_sgpr17
                                        ; implicit-def: $sgpr18_sgpr19
                                        ; implicit-def: $sgpr22_sgpr23
.LBB37_94:                              ;   in Loop: Header=BB37_90 Depth=1
	s_andn2_b64 vcc, exec, s[20:21]
	s_cbranch_vccz .LBB37_89
; %bb.95:                               ;   in Loop: Header=BB37_90 Depth=1
	s_bfe_i64 s[14:15], s[22:23], 0x200000
	s_branch .LBB37_89
.LBB37_96:
	s_cmp_lt_i32 s40, 2
	s_cbranch_scc1 .LBB37_103
; %bb.97:
	s_add_u32 s8, s50, 4
	s_addc_u32 s9, s51, 0
	s_add_u32 s10, s60, s44
	s_addc_u32 s11, s61, s45
	s_add_u32 s10, s10, 4
	s_addc_u32 s11, s11, 0
	s_mov_b64 s[12:13], 1
	v_mov_b32_e32 v0, 0
	s_branch .LBB37_99
.LBB37_98:                              ;   in Loop: Header=BB37_99 Depth=1
	s_lshl_b64 s[14:15], s[22:23], 2
	s_add_u32 s16, s46, s14
	s_addc_u32 s17, s47, s15
	s_add_u32 s14, s50, s14
	s_addc_u32 s15, s51, s15
	;; [unrolled: 2-line block ×5, first 2 shown]
	s_cmp_eq_u32 s12, s40
	global_store_dword v0, v2, s[16:17]
	global_store_dword v0, v1, s[14:15]
	s_cbranch_scc1 .LBB37_103
.LBB37_99:                              ; =>This Loop Header: Depth=1
                                        ;     Child Loop BB37_101 Depth 2
	s_lshl_b64 s[14:15], s[12:13], 2
	s_and_b32 s15, s15, 3
	s_add_u32 s16, s46, s14
	s_addc_u32 s17, s47, s15
	s_add_u32 s14, s50, s14
	s_addc_u32 s15, s51, s15
	global_load_dword v2, v0, s[16:17]
	global_load_dword v1, v0, s[14:15]
	s_mov_b64 s[18:19], s[10:11]
	s_mov_b64 s[14:15], s[8:9]
	;; [unrolled: 1-line block ×3, first 2 shown]
	s_branch .LBB37_101
.LBB37_100:                             ;   in Loop: Header=BB37_101 Depth=2
	global_load_dword v4, v0, s[14:15] offset:-4
	s_mov_b64 s[22:23], 0
	global_store_dword v0, v3, s[18:19]
	s_add_u32 s18, s14, -4
	s_addc_u32 s19, s15, -1
	s_add_u32 s24, s16, -1
	s_addc_u32 s25, s17, -1
	s_cmp_lt_i32 s16, 2
	s_mov_b64 s[16:17], s[24:25]
	s_cselect_b64 s[24:25], -1, 0
	s_waitcnt vmcnt(1)
	global_store_dword v0, v4, s[14:15]
	s_mov_b64 s[14:15], s[18:19]
	s_mov_b64 s[18:19], s[20:21]
	s_andn2_b64 vcc, exec, s[24:25]
	s_cbranch_vccz .LBB37_98
.LBB37_101:                             ;   Parent Loop BB37_99 Depth=1
                                        ; =>  This Inner Loop Header: Depth=2
	global_load_dword v3, v0, s[18:19] offset:-4
	s_add_u32 s20, s18, -4
	s_addc_u32 s21, s19, -1
	s_mov_b64 s[24:25], -1
	s_waitcnt vmcnt(0)
	v_cmp_nlt_f32_e32 vcc, v3, v2
	s_cbranch_vccz .LBB37_100
; %bb.102:                              ;   in Loop: Header=BB37_101 Depth=2
                                        ; implicit-def: $sgpr14_sgpr15
                                        ; implicit-def: $sgpr18_sgpr19
	s_mov_b64 s[22:23], s[16:17]
	s_andn2_b64 vcc, exec, s[24:25]
	s_cbranch_vccnz .LBB37_101
	s_branch .LBB37_98
.LBB37_103:
	s_or_b64 exec, exec, s[6:7]
	s_cmp_lt_i32 s40, 2
	s_cselect_b64 s[10:11], -1, 0
	s_mov_b64 s[66:67], 0
	s_and_b64 vcc, exec, s[10:11]
	s_barrier
	s_cbranch_vccnz .LBB37_111
; %bb.104:
	s_add_i32 s20, s40, -1
	v_cmp_gt_u32_e32 vcc, s20, v41
	s_mov_b64 s[10:11], -1
	s_mov_b64 s[6:7], 0
	s_and_saveexec_b64 s[8:9], vcc
	s_cbranch_execz .LBB37_113
; %bb.105:
	s_add_u32 s21, s46, 4
	s_addc_u32 s22, s47, 0
	s_mov_b64 s[10:11], 0
	v_mov_b32_e32 v1, 0
	v_mov_b32_e32 v2, s47
	;; [unrolled: 1-line block ×3, first 2 shown]
                                        ; implicit-def: $sgpr12_sgpr13
	s_branch .LBB37_107
.LBB37_106:                             ;   in Loop: Header=BB37_107 Depth=1
	s_or_b64 exec, exec, s[18:19]
	s_xor_b64 s[14:15], s[14:15], -1
	s_and_b64 s[6:7], exec, s[6:7]
	s_or_b64 s[10:11], s[6:7], s[10:11]
	s_andn2_b64 s[6:7], s[12:13], exec
	s_and_b64 s[12:13], s[14:15], exec
	s_or_b64 s[12:13], s[6:7], s[12:13]
	s_andn2_b64 exec, exec, s[10:11]
	s_cbranch_execz .LBB37_112
.LBB37_107:                             ; =>This Inner Loop Header: Depth=1
	v_lshlrev_b64 v[4:5], 2, v[0:1]
	v_add_co_u32_e32 v4, vcc, s46, v4
	v_addc_co_u32_e32 v5, vcc, v2, v5, vcc
	global_load_dword v3, v[4:5], off
                                        ; implicit-def: $sgpr14_sgpr15
	s_waitcnt vmcnt(0)
	v_cmp_u_f32_e64 s[16:17], v3, v3
	v_cmp_o_f32_e32 vcc, v3, v3
	s_and_saveexec_b64 s[18:19], vcc
	s_cbranch_execz .LBB37_109
; %bb.108:                              ;   in Loop: Header=BB37_107 Depth=1
	v_ashrrev_i32_e32 v5, 31, v0
	v_mov_b32_e32 v4, v0
	v_lshlrev_b64 v[4:5], 2, v[4:5]
	v_mov_b32_e32 v6, s22
	v_add_co_u32_e32 v4, vcc, s21, v4
	v_addc_co_u32_e32 v5, vcc, v6, v5, vcc
	global_load_dword v4, v[4:5], off
	s_andn2_b64 s[16:17], s[16:17], exec
	s_mov_b64 s[14:15], -1
	s_waitcnt vmcnt(0)
	v_cmp_u_f32_e32 vcc, v4, v4
	v_cmp_ge_f32_e64 s[6:7], v3, v4
	s_or_b64 s[6:7], vcc, s[6:7]
	s_and_b64 s[6:7], s[6:7], exec
	s_or_b64 s[16:17], s[16:17], s[6:7]
.LBB37_109:                             ;   in Loop: Header=BB37_107 Depth=1
	s_or_b64 exec, exec, s[18:19]
	s_mov_b64 s[6:7], -1
	s_and_saveexec_b64 s[18:19], s[16:17]
	s_cbranch_execz .LBB37_106
; %bb.110:                              ;   in Loop: Header=BB37_107 Depth=1
	v_add_u32_e32 v0, s58, v0
	v_cmp_le_u32_e32 vcc, s20, v0
	s_andn2_b64 s[14:15], s[14:15], exec
	s_orn2_b64 s[6:7], vcc, exec
	s_branch .LBB37_106
.LBB37_111:
	s_mov_b64 s[6:7], 0
	s_branch .LBB37_114
.LBB37_112:
	s_or_b64 exec, exec, s[10:11]
	s_mov_b64 s[6:7], exec
	s_orn2_b64 s[10:11], s[12:13], exec
.LBB37_113:
	s_or_b64 exec, exec, s[8:9]
.LBB37_114:
	s_and_saveexec_b64 s[8:9], s[10:11]
	s_cbranch_execz .LBB37_116
; %bb.115:
	s_mov_b64 s[66:67], exec
	s_barrier
	s_andn2_b64 s[6:7], s[6:7], exec
.LBB37_116:
	s_or_b64 exec, exec, s[8:9]
	s_mov_b64 s[62:63], 0
	s_and_saveexec_b64 s[68:69], s[6:7]
	s_cbranch_execz .LBB37_118
; %bb.117:
	s_add_u32 s8, s4, 0x90
	s_addc_u32 s9, s5, 0
	s_getpc_b64 s[6:7]
	s_add_u32 s6, s6, __PRETTY_FUNCTION__._ZN9rocsolver6v33100L21shell_sort_descendingIfiEEvT0_PT_PS2_@rel32@lo+4
	s_addc_u32 s7, s7, __PRETTY_FUNCTION__._ZN9rocsolver6v33100L21shell_sort_descendingIfiEEvT0_PT_PS2_@rel32@hi+12
	v_mov_b32_e32 v0, s6
	v_mov_b32_e32 v1, s7
	s_getpc_b64 s[10:11]
	s_add_u32 s10, s10, __assert_fail@rel32@lo+4
	s_addc_u32 s11, s11, __assert_fail@rel32@hi+12
	s_mov_b64 s[62:63], s[4:5]
	s_swappc_b64 s[30:31], s[10:11]
	s_mov_b64 s[4:5], s[62:63]
	s_mov_b64 s[62:63], exec
.LBB37_118:
	s_or_b64 exec, exec, s[68:69]
.LBB37_119:
	s_and_saveexec_b64 s[20:21], s[66:67]
	s_cbranch_execz .LBB37_143
; %bb.120:
	s_andn2_b64 vcc, exec, s[64:65]
	s_barrier
	s_cbranch_vccnz .LBB37_142
; %bb.121:
	s_cmp_gt_i32 s41, 0
	s_cselect_b64 s[14:15], -1, 0
	s_ashr_i32 s33, s59, 31
	s_cmp_gt_i32 s42, 0
	s_cselect_b64 s[16:17], -1, 0
	s_cmp_gt_i32 s43, 0
	v_cndmask_b32_e64 v0, 0, 1, s[14:15]
	s_cselect_b64 s[18:19], -1, 0
	v_cmp_ne_u32_e64 s[14:15], 1, v0
	v_cndmask_b32_e64 v0, 0, 1, s[16:17]
	s_mov_b32 s23, 0
	v_cmp_ne_u32_e64 s[16:17], 1, v0
	v_cndmask_b32_e64 v0, 0, 1, s[18:19]
	v_cmp_eq_u32_e64 s[6:7], 0, v41
	v_cmp_gt_u32_e64 s[8:9], s41, v41
	s_mov_b32 s72, s59
	v_cmp_gt_u32_e64 s[10:11], s42, v41
	s_mov_b32 s73, s39
	v_cmp_gt_u32_e64 s[12:13], s43, v41
	s_ashr_i32 s74, s57, 31
	s_mov_b32 s75, s57
	v_mov_b32_e32 v1, 0
	v_cmp_ne_u32_e64 s[18:19], 1, v0
	s_mov_b32 s22, s23
	s_branch .LBB37_123
.LBB37_122:                             ;   in Loop: Header=BB37_123 Depth=1
	s_add_i32 s22, s22, 1
	s_cmp_eq_u32 s22, s40
	s_cbranch_scc1 .LBB37_142
.LBB37_123:                             ; =>This Loop Header: Depth=1
                                        ;     Child Loop BB37_126 Depth 2
                                        ;       Child Loop BB37_131 Depth 3
                                        ;       Child Loop BB37_136 Depth 3
	;; [unrolled: 1-line block ×3, first 2 shown]
	s_lshl_b64 s[24:25], s[22:23], 2
	s_add_u32 s24, s50, s24
	s_addc_u32 s25, s51, s25
	global_load_dword v0, v1, s[24:25]
	s_waitcnt vmcnt(0)
	v_cmp_eq_u32_e32 vcc, s22, v0
	v_readfirstlane_b32 s64, v0
	s_cbranch_vccz .LBB37_126
	s_branch .LBB37_122
.LBB37_124:                             ;   in Loop: Header=BB37_126 Depth=2
	s_or_b64 exec, exec, s[64:65]
	s_waitcnt lgkmcnt(0)
	s_barrier
.LBB37_125:                             ;   in Loop: Header=BB37_126 Depth=2
	global_load_dword v0, v1, s[24:25]
	s_waitcnt vmcnt(0)
	v_cmp_ne_u32_e32 vcc, s22, v0
	v_readfirstlane_b32 s64, v0
	s_cbranch_vccz .LBB37_122
.LBB37_126:                             ;   Parent Loop BB37_123 Depth=1
                                        ; =>  This Loop Header: Depth=2
                                        ;       Child Loop BB37_131 Depth 3
                                        ;       Child Loop BB37_136 Depth 3
	;; [unrolled: 1-line block ×3, first 2 shown]
	s_ashr_i32 s65, s64, 31
	s_lshl_b64 s[30:31], s[64:65], 2
	s_add_u32 s66, s50, s30
	s_addc_u32 s67, s51, s31
	global_load_dword v0, v1, s[66:67]
	s_barrier
	s_waitcnt vmcnt(0)
	v_readfirstlane_b32 s54, v0
	s_and_saveexec_b64 s[68:69], s[6:7]
	s_cbranch_execz .LBB37_128
; %bb.127:                              ;   in Loop: Header=BB37_126 Depth=2
	v_mov_b32_e32 v0, s64
	global_store_dword v1, v0, s[66:67]
	v_mov_b32_e32 v0, s54
	global_store_dword v1, v0, s[24:25]
.LBB37_128:                             ;   in Loop: Header=BB37_126 Depth=2
	s_or_b64 exec, exec, s[68:69]
	s_and_b64 vcc, exec, s[14:15]
	s_barrier
	s_cbranch_vccnz .LBB37_133
; %bb.129:                              ;   in Loop: Header=BB37_126 Depth=2
	s_and_saveexec_b64 s[66:67], s[8:9]
	s_cbranch_execz .LBB37_132
; %bb.130:                              ;   in Loop: Header=BB37_126 Depth=2
	s_ashr_i32 s55, s54, 31
	s_mov_b64 s[68:69], 0
	s_lshl_b64 s[70:71], s[54:55], 2
	v_mov_b32_e32 v0, v41
.LBB37_131:                             ;   Parent Loop BB37_123 Depth=1
                                        ;     Parent Loop BB37_126 Depth=2
                                        ; =>    This Inner Loop Header: Depth=3
	v_mad_u64_u32 v[2:3], s[76:77], v0, s72, 0
	v_mov_b32_e32 v4, v3
	v_mad_u64_u32 v[4:5], s[76:77], v0, s33, v[4:5]
	v_mov_b32_e32 v3, v4
	v_lshlrev_b64 v[2:3], 2, v[2:3]
	v_mov_b32_e32 v6, s29
	v_add_co_u32_e32 v4, vcc, s28, v2
	v_addc_co_u32_e32 v5, vcc, v6, v3, vcc
	v_mov_b32_e32 v7, s31
	v_add_co_u32_e32 v2, vcc, s30, v4
	v_addc_co_u32_e32 v3, vcc, v5, v7, vcc
	;; [unrolled: 3-line block ×3, first 2 shown]
	flat_load_dword v6, v[4:5]
	flat_load_dword v7, v[2:3]
	v_add_u32_e32 v0, s58, v0
	v_cmp_le_u32_e32 vcc, s41, v0
	s_or_b64 s[68:69], vcc, s[68:69]
	s_waitcnt vmcnt(0) lgkmcnt(0)
	flat_store_dword v[2:3], v6
	flat_store_dword v[4:5], v7
	s_andn2_b64 exec, exec, s[68:69]
	s_cbranch_execnz .LBB37_131
.LBB37_132:                             ;   in Loop: Header=BB37_126 Depth=2
	s_or_b64 exec, exec, s[66:67]
	s_waitcnt lgkmcnt(0)
	s_barrier
.LBB37_133:                             ;   in Loop: Header=BB37_126 Depth=2
	s_and_b64 vcc, exec, s[16:17]
	s_cbranch_vccnz .LBB37_138
; %bb.134:                              ;   in Loop: Header=BB37_126 Depth=2
	s_and_saveexec_b64 s[66:67], s[10:11]
	s_cbranch_execz .LBB37_137
; %bb.135:                              ;   in Loop: Header=BB37_126 Depth=2
	s_mul_hi_i32 s65, s64, s73
	s_mul_i32 s64, s64, s73
	s_lshl_b64 s[64:65], s[64:65], 2
	s_add_u32 s55, s34, s64
	s_addc_u32 s69, s35, s65
	s_mul_hi_i32 s65, s54, s73
	s_mul_i32 s64, s54, s73
	s_lshl_b64 s[64:65], s[64:65], 2
	s_add_u32 s68, s34, s64
	s_addc_u32 s70, s35, s65
	s_mov_b64 s[64:65], 0
	v_mov_b32_e32 v2, s69
	v_mov_b32_e32 v3, s70
	v_mov_b32_e32 v0, v41
.LBB37_136:                             ;   Parent Loop BB37_123 Depth=1
                                        ;     Parent Loop BB37_126 Depth=2
                                        ; =>    This Inner Loop Header: Depth=3
	v_lshlrev_b64 v[4:5], 2, v[0:1]
	v_add_co_u32_e32 v6, vcc, s55, v4
	v_addc_co_u32_e32 v7, vcc, v2, v5, vcc
	v_add_co_u32_e32 v4, vcc, s68, v4
	v_addc_co_u32_e32 v5, vcc, v3, v5, vcc
	flat_load_dword v8, v[4:5]
	flat_load_dword v9, v[6:7]
	v_add_u32_e32 v0, s58, v0
	v_cmp_le_u32_e32 vcc, s42, v0
	s_or_b64 s[64:65], vcc, s[64:65]
	s_waitcnt vmcnt(0) lgkmcnt(0)
	flat_store_dword v[6:7], v8
	flat_store_dword v[4:5], v9
	s_andn2_b64 exec, exec, s[64:65]
	s_cbranch_execnz .LBB37_136
.LBB37_137:                             ;   in Loop: Header=BB37_126 Depth=2
	s_or_b64 exec, exec, s[66:67]
	s_waitcnt lgkmcnt(0)
	s_barrier
.LBB37_138:                             ;   in Loop: Header=BB37_126 Depth=2
	s_and_b64 vcc, exec, s[18:19]
	s_cbranch_vccnz .LBB37_125
; %bb.139:                              ;   in Loop: Header=BB37_126 Depth=2
	s_and_saveexec_b64 s[64:65], s[12:13]
	s_cbranch_execz .LBB37_124
; %bb.140:                              ;   in Loop: Header=BB37_126 Depth=2
	s_ashr_i32 s55, s54, 31
	s_mov_b64 s[66:67], 0
	s_lshl_b64 s[54:55], s[54:55], 2
	v_mov_b32_e32 v0, v41
.LBB37_141:                             ;   Parent Loop BB37_123 Depth=1
                                        ;     Parent Loop BB37_126 Depth=2
                                        ; =>    This Inner Loop Header: Depth=3
	v_mad_u64_u32 v[2:3], s[68:69], v0, s75, 0
	v_mov_b32_e32 v4, v3
	v_mad_u64_u32 v[4:5], s[68:69], v0, s74, v[4:5]
	v_mov_b32_e32 v3, v4
	v_lshlrev_b64 v[2:3], 2, v[2:3]
	v_mov_b32_e32 v6, s37
	v_add_co_u32_e32 v4, vcc, s36, v2
	v_addc_co_u32_e32 v5, vcc, v6, v3, vcc
	v_mov_b32_e32 v7, s31
	v_add_co_u32_e32 v2, vcc, s30, v4
	v_addc_co_u32_e32 v3, vcc, v5, v7, vcc
	;; [unrolled: 3-line block ×3, first 2 shown]
	flat_load_dword v6, v[4:5]
	flat_load_dword v7, v[2:3]
	v_add_u32_e32 v0, s58, v0
	v_cmp_le_u32_e32 vcc, s43, v0
	s_or_b64 s[66:67], vcc, s[66:67]
	s_waitcnt vmcnt(0) lgkmcnt(0)
	flat_store_dword v[2:3], v6
	flat_store_dword v[4:5], v7
	s_andn2_b64 exec, exec, s[66:67]
	s_cbranch_execnz .LBB37_141
	s_branch .LBB37_124
.LBB37_142:
	s_mov_b64 s[54:55], exec
.LBB37_143:
	s_or_b64 exec, exec, s[20:21]
	s_branch .LBB37_232
.LBB37_144:
	s_mov_b64 s[54:55], -1
	s_and_b64 vcc, exec, s[48:49]
	s_cbranch_vccz .LBB37_232
; %bb.145:
	v_or3_b32 v0, v43, v44, v42
	v_cmp_eq_u32_e32 vcc, 0, v0
	s_barrier
	s_barrier
	s_and_saveexec_b64 s[6:7], vcc
	s_cbranch_execz .LBB37_216
; %bb.146:
	s_cmpk_lt_u32 s40, 0x2be
	s_cbranch_scc1 .LBB37_155
; %bb.147:
	s_mov_b64 s[8:9], 0x2bd
	s_mov_b32 s11, 0
	v_mov_b32_e32 v0, 0
	s_mov_b64 s[12:13], s[46:47]
	s_branch .LBB37_149
.LBB37_148:                             ;   in Loop: Header=BB37_149 Depth=1
	s_lshl_b64 s[14:15], s[14:15], 2
	s_add_u32 s14, s46, s14
	s_addc_u32 s15, s47, s15
	s_add_u32 s8, s8, 1
	s_addc_u32 s9, s9, 0
	;; [unrolled: 2-line block ×3, first 2 shown]
	s_cmp_eq_u32 s8, s40
	global_store_dword v0, v1, s[14:15]
	s_cbranch_scc1 .LBB37_155
.LBB37_149:                             ; =>This Loop Header: Depth=1
                                        ;     Child Loop BB37_151 Depth 2
	s_mov_b32 s10, s8
	s_lshl_b64 s[14:15], s[10:11], 2
	s_add_u32 s14, s46, s14
	s_addc_u32 s15, s47, s15
	global_load_dword v1, v0, s[14:15]
	s_mov_b64 s[16:17], s[12:13]
	s_mov_b64 s[14:15], s[8:9]
	s_branch .LBB37_151
.LBB37_150:                             ;   in Loop: Header=BB37_151 Depth=2
	s_add_u32 s18, s14, 0xfffffd43
	s_addc_u32 s19, s15, -1
	global_store_dword v0, v2, s[16:17] offset:2804
	s_add_u32 s16, s16, 0xfffff50c
	s_addc_u32 s17, s17, -1
	s_cmpk_lt_i32 s14, 0x57a
	s_mov_b64 s[20:21], 0
	s_cselect_b64 s[22:23], -1, 0
	s_mov_b64 s[14:15], s[18:19]
	s_andn2_b64 vcc, exec, s[22:23]
	s_cbranch_vccz .LBB37_153
.LBB37_151:                             ;   Parent Loop BB37_149 Depth=1
                                        ; =>  This Inner Loop Header: Depth=2
	global_load_dword v2, v0, s[16:17]
	s_mov_b64 s[20:21], -1
	s_waitcnt vmcnt(0)
	v_cmp_nlt_f32_e32 vcc, v2, v1
	s_cbranch_vccz .LBB37_150
; %bb.152:                              ;   in Loop: Header=BB37_149 Depth=1
                                        ; implicit-def: $sgpr16_sgpr17
                                        ; implicit-def: $sgpr18_sgpr19
.LBB37_153:                             ;   in Loop: Header=BB37_149 Depth=1
	s_andn2_b64 vcc, exec, s[20:21]
	s_cbranch_vccz .LBB37_148
; %bb.154:                              ;   in Loop: Header=BB37_149 Depth=1
	s_bfe_i64 s[14:15], s[18:19], 0x200000
	s_branch .LBB37_148
.LBB37_155:
	s_cmpk_lt_i32 s40, 0x12e
	s_cbranch_scc1 .LBB37_164
; %bb.156:
	s_mov_b64 s[8:9], 0x12d
	s_mov_b32 s11, 0
	v_mov_b32_e32 v0, 0
	s_mov_b64 s[12:13], s[46:47]
	s_branch .LBB37_158
.LBB37_157:                             ;   in Loop: Header=BB37_158 Depth=1
	s_lshl_b64 s[14:15], s[14:15], 2
	s_add_u32 s14, s46, s14
	s_addc_u32 s15, s47, s15
	s_add_u32 s8, s8, 1
	s_addc_u32 s9, s9, 0
	;; [unrolled: 2-line block ×3, first 2 shown]
	s_cmp_lg_u32 s8, s40
	global_store_dword v0, v1, s[14:15]
	s_cbranch_scc0 .LBB37_164
.LBB37_158:                             ; =>This Loop Header: Depth=1
                                        ;     Child Loop BB37_160 Depth 2
	s_mov_b32 s10, s8
	s_lshl_b64 s[14:15], s[10:11], 2
	s_add_u32 s14, s46, s14
	s_addc_u32 s15, s47, s15
	global_load_dword v1, v0, s[14:15]
	s_mov_b64 s[16:17], s[12:13]
	s_mov_b64 s[14:15], s[8:9]
	s_branch .LBB37_160
.LBB37_159:                             ;   in Loop: Header=BB37_160 Depth=2
	s_add_u32 s18, s14, 0xfffffed3
	s_addc_u32 s19, s15, -1
	global_store_dword v0, v2, s[16:17] offset:1204
	s_add_u32 s16, s16, 0xfffffb4c
	s_addc_u32 s17, s17, -1
	s_cmpk_lt_i32 s14, 0x25a
	s_mov_b64 s[20:21], 0
	s_cselect_b64 s[22:23], -1, 0
	s_mov_b64 s[14:15], s[18:19]
	s_andn2_b64 vcc, exec, s[22:23]
	s_cbranch_vccz .LBB37_162
.LBB37_160:                             ;   Parent Loop BB37_158 Depth=1
                                        ; =>  This Inner Loop Header: Depth=2
	global_load_dword v2, v0, s[16:17]
	s_mov_b64 s[20:21], -1
	s_waitcnt vmcnt(0)
	v_cmp_nlt_f32_e32 vcc, v2, v1
	s_cbranch_vccz .LBB37_159
; %bb.161:                              ;   in Loop: Header=BB37_158 Depth=1
                                        ; implicit-def: $sgpr16_sgpr17
                                        ; implicit-def: $sgpr18_sgpr19
.LBB37_162:                             ;   in Loop: Header=BB37_158 Depth=1
	s_andn2_b64 vcc, exec, s[20:21]
	s_cbranch_vccz .LBB37_157
; %bb.163:                              ;   in Loop: Header=BB37_158 Depth=1
	s_bfe_i64 s[14:15], s[18:19], 0x200000
	s_branch .LBB37_157
.LBB37_164:
	s_cmpk_lt_i32 s40, 0x85
	s_cbranch_scc1 .LBB37_173
; %bb.165:
	s_mov_b64 s[8:9], 0x84
	s_mov_b32 s11, 0
	v_mov_b32_e32 v0, 0
	s_mov_b64 s[12:13], s[46:47]
	s_branch .LBB37_167
.LBB37_166:                             ;   in Loop: Header=BB37_167 Depth=1
	s_lshl_b64 s[14:15], s[14:15], 2
	s_add_u32 s14, s46, s14
	s_addc_u32 s15, s47, s15
	s_add_u32 s8, s8, 1
	s_addc_u32 s9, s9, 0
	;; [unrolled: 2-line block ×3, first 2 shown]
	s_cmp_lg_u32 s8, s40
	global_store_dword v0, v1, s[14:15]
	s_cbranch_scc0 .LBB37_173
.LBB37_167:                             ; =>This Loop Header: Depth=1
                                        ;     Child Loop BB37_169 Depth 2
	s_mov_b32 s10, s8
	s_lshl_b64 s[14:15], s[10:11], 2
	s_add_u32 s14, s46, s14
	s_addc_u32 s15, s47, s15
	global_load_dword v1, v0, s[14:15]
	s_mov_b64 s[16:17], s[12:13]
	s_mov_b64 s[14:15], s[8:9]
	s_branch .LBB37_169
.LBB37_168:                             ;   in Loop: Header=BB37_169 Depth=2
	s_add_u32 s18, s14, 0xffffff7c
	s_addc_u32 s19, s15, -1
	global_store_dword v0, v2, s[16:17] offset:528
	s_add_u32 s16, s16, 0xfffffdf0
	s_addc_u32 s17, s17, -1
	s_cmpk_lt_i32 s14, 0x108
	s_mov_b64 s[20:21], 0
	s_cselect_b64 s[22:23], -1, 0
	s_mov_b64 s[14:15], s[18:19]
	s_andn2_b64 vcc, exec, s[22:23]
	s_cbranch_vccz .LBB37_171
.LBB37_169:                             ;   Parent Loop BB37_167 Depth=1
                                        ; =>  This Inner Loop Header: Depth=2
	global_load_dword v2, v0, s[16:17]
	s_mov_b64 s[20:21], -1
	s_waitcnt vmcnt(0)
	v_cmp_nlt_f32_e32 vcc, v2, v1
	s_cbranch_vccz .LBB37_168
; %bb.170:                              ;   in Loop: Header=BB37_167 Depth=1
                                        ; implicit-def: $sgpr16_sgpr17
                                        ; implicit-def: $sgpr18_sgpr19
.LBB37_171:                             ;   in Loop: Header=BB37_167 Depth=1
	s_andn2_b64 vcc, exec, s[20:21]
	s_cbranch_vccz .LBB37_166
; %bb.172:                              ;   in Loop: Header=BB37_167 Depth=1
	s_bfe_i64 s[14:15], s[18:19], 0x200000
	s_branch .LBB37_166
.LBB37_173:
	s_cmp_lt_i32 s40, 58
	s_cbranch_scc1 .LBB37_182
; %bb.174:
	s_mov_b64 s[8:9], 57
	s_mov_b32 s11, 0
	v_mov_b32_e32 v0, 0
	s_mov_b64 s[12:13], s[46:47]
	s_branch .LBB37_176
.LBB37_175:                             ;   in Loop: Header=BB37_176 Depth=1
	s_lshl_b64 s[14:15], s[14:15], 2
	s_add_u32 s14, s46, s14
	s_addc_u32 s15, s47, s15
	s_add_u32 s8, s8, 1
	s_addc_u32 s9, s9, 0
	;; [unrolled: 2-line block ×3, first 2 shown]
	s_cmp_lg_u32 s8, s40
	global_store_dword v0, v1, s[14:15]
	s_cbranch_scc0 .LBB37_182
.LBB37_176:                             ; =>This Loop Header: Depth=1
                                        ;     Child Loop BB37_178 Depth 2
	s_mov_b32 s10, s8
	s_lshl_b64 s[14:15], s[10:11], 2
	s_add_u32 s14, s46, s14
	s_addc_u32 s15, s47, s15
	global_load_dword v1, v0, s[14:15]
	s_mov_b64 s[16:17], s[12:13]
	s_mov_b64 s[14:15], s[8:9]
	s_branch .LBB37_178
.LBB37_177:                             ;   in Loop: Header=BB37_178 Depth=2
	s_add_u32 s18, s14, 0xffffffc7
	s_addc_u32 s19, s15, -1
	global_store_dword v0, v2, s[16:17] offset:228
	s_add_u32 s16, s16, 0xffffff1c
	s_addc_u32 s17, s17, -1
	s_cmpk_lt_i32 s14, 0x72
	s_mov_b64 s[20:21], 0
	s_cselect_b64 s[22:23], -1, 0
	s_mov_b64 s[14:15], s[18:19]
	s_andn2_b64 vcc, exec, s[22:23]
	s_cbranch_vccz .LBB37_180
.LBB37_178:                             ;   Parent Loop BB37_176 Depth=1
                                        ; =>  This Inner Loop Header: Depth=2
	global_load_dword v2, v0, s[16:17]
	s_mov_b64 s[20:21], -1
	s_waitcnt vmcnt(0)
	v_cmp_nlt_f32_e32 vcc, v2, v1
	s_cbranch_vccz .LBB37_177
; %bb.179:                              ;   in Loop: Header=BB37_176 Depth=1
                                        ; implicit-def: $sgpr16_sgpr17
                                        ; implicit-def: $sgpr18_sgpr19
.LBB37_180:                             ;   in Loop: Header=BB37_176 Depth=1
	s_andn2_b64 vcc, exec, s[20:21]
	s_cbranch_vccz .LBB37_175
; %bb.181:                              ;   in Loop: Header=BB37_176 Depth=1
	s_bfe_i64 s[14:15], s[18:19], 0x200000
	s_branch .LBB37_175
.LBB37_182:
	s_cmp_lt_i32 s40, 24
	s_cbranch_scc1 .LBB37_191
; %bb.183:
	s_mov_b64 s[8:9], 23
	s_mov_b32 s11, 0
	v_mov_b32_e32 v0, 0
	s_mov_b64 s[12:13], s[46:47]
	s_branch .LBB37_185
.LBB37_184:                             ;   in Loop: Header=BB37_185 Depth=1
	s_lshl_b64 s[14:15], s[14:15], 2
	s_add_u32 s14, s46, s14
	s_addc_u32 s15, s47, s15
	s_add_u32 s8, s8, 1
	s_addc_u32 s9, s9, 0
	;; [unrolled: 2-line block ×3, first 2 shown]
	s_cmp_lg_u32 s8, s40
	global_store_dword v0, v1, s[14:15]
	s_cbranch_scc0 .LBB37_191
.LBB37_185:                             ; =>This Loop Header: Depth=1
                                        ;     Child Loop BB37_187 Depth 2
	s_mov_b32 s10, s8
	s_lshl_b64 s[14:15], s[10:11], 2
	s_add_u32 s14, s46, s14
	s_addc_u32 s15, s47, s15
	global_load_dword v1, v0, s[14:15]
	s_mov_b64 s[16:17], s[12:13]
	s_mov_b64 s[14:15], s[8:9]
	s_branch .LBB37_187
.LBB37_186:                             ;   in Loop: Header=BB37_187 Depth=2
	s_add_u32 s18, s14, 0xffffffe9
	s_addc_u32 s19, s15, -1
	global_store_dword v0, v2, s[16:17] offset:92
	s_add_u32 s16, s16, 0xffffffa4
	s_addc_u32 s17, s17, -1
	s_cmp_lt_i32 s14, 46
	s_mov_b64 s[20:21], 0
	s_cselect_b64 s[22:23], -1, 0
	s_mov_b64 s[14:15], s[18:19]
	s_andn2_b64 vcc, exec, s[22:23]
	s_cbranch_vccz .LBB37_189
.LBB37_187:                             ;   Parent Loop BB37_185 Depth=1
                                        ; =>  This Inner Loop Header: Depth=2
	global_load_dword v2, v0, s[16:17]
	s_mov_b64 s[20:21], -1
	s_waitcnt vmcnt(0)
	v_cmp_nlt_f32_e32 vcc, v2, v1
	s_cbranch_vccz .LBB37_186
; %bb.188:                              ;   in Loop: Header=BB37_185 Depth=1
                                        ; implicit-def: $sgpr16_sgpr17
                                        ; implicit-def: $sgpr18_sgpr19
.LBB37_189:                             ;   in Loop: Header=BB37_185 Depth=1
	s_andn2_b64 vcc, exec, s[20:21]
	s_cbranch_vccz .LBB37_184
; %bb.190:                              ;   in Loop: Header=BB37_185 Depth=1
	s_bfe_i64 s[14:15], s[18:19], 0x200000
	s_branch .LBB37_184
.LBB37_191:
	s_cmp_lt_i32 s40, 11
	s_cbranch_scc1 .LBB37_200
; %bb.192:
	s_mov_b64 s[8:9], 10
	s_mov_b32 s11, 0
	v_mov_b32_e32 v0, 0
	s_mov_b64 s[12:13], s[46:47]
	s_branch .LBB37_194
.LBB37_193:                             ;   in Loop: Header=BB37_194 Depth=1
	s_lshl_b64 s[14:15], s[14:15], 2
	s_add_u32 s14, s46, s14
	s_addc_u32 s15, s47, s15
	s_add_u32 s8, s8, 1
	s_addc_u32 s9, s9, 0
	;; [unrolled: 2-line block ×3, first 2 shown]
	s_cmp_lg_u32 s8, s40
	global_store_dword v0, v1, s[14:15]
	s_cbranch_scc0 .LBB37_200
.LBB37_194:                             ; =>This Loop Header: Depth=1
                                        ;     Child Loop BB37_196 Depth 2
	s_mov_b32 s10, s8
	s_lshl_b64 s[14:15], s[10:11], 2
	s_add_u32 s14, s46, s14
	s_addc_u32 s15, s47, s15
	global_load_dword v1, v0, s[14:15]
	s_mov_b64 s[16:17], s[12:13]
	s_mov_b64 s[14:15], s[8:9]
	s_branch .LBB37_196
.LBB37_195:                             ;   in Loop: Header=BB37_196 Depth=2
	s_add_u32 s18, s14, -10
	s_addc_u32 s19, s15, -1
	global_store_dword v0, v2, s[16:17] offset:40
	s_add_u32 s16, s16, 0xffffffd8
	s_addc_u32 s17, s17, -1
	s_cmp_lt_i32 s14, 20
	s_mov_b64 s[20:21], 0
	s_cselect_b64 s[22:23], -1, 0
	s_mov_b64 s[14:15], s[18:19]
	s_andn2_b64 vcc, exec, s[22:23]
	s_cbranch_vccz .LBB37_198
.LBB37_196:                             ;   Parent Loop BB37_194 Depth=1
                                        ; =>  This Inner Loop Header: Depth=2
	global_load_dword v2, v0, s[16:17]
	s_mov_b64 s[20:21], -1
	s_waitcnt vmcnt(0)
	v_cmp_nlt_f32_e32 vcc, v2, v1
	s_cbranch_vccz .LBB37_195
; %bb.197:                              ;   in Loop: Header=BB37_194 Depth=1
                                        ; implicit-def: $sgpr16_sgpr17
                                        ; implicit-def: $sgpr18_sgpr19
.LBB37_198:                             ;   in Loop: Header=BB37_194 Depth=1
	s_andn2_b64 vcc, exec, s[20:21]
	s_cbranch_vccz .LBB37_193
; %bb.199:                              ;   in Loop: Header=BB37_194 Depth=1
	s_bfe_i64 s[14:15], s[18:19], 0x200000
	s_branch .LBB37_193
.LBB37_200:
	s_cmp_lt_i32 s40, 5
	s_cbranch_scc1 .LBB37_209
; %bb.201:
	s_add_u32 s8, s60, s44
	s_addc_u32 s9, s61, s45
	s_add_u32 s8, s8, 16
	s_addc_u32 s9, s9, 0
	s_mov_b64 s[10:11], 4
	s_mov_b32 s13, 0
	v_mov_b32_e32 v0, 0
	s_branch .LBB37_203
.LBB37_202:                             ;   in Loop: Header=BB37_203 Depth=1
	s_lshl_b64 s[14:15], s[14:15], 2
	s_add_u32 s14, s46, s14
	s_addc_u32 s15, s47, s15
	s_add_u32 s10, s10, 1
	s_addc_u32 s11, s11, 0
	;; [unrolled: 2-line block ×3, first 2 shown]
	s_cmp_lg_u32 s10, s40
	global_store_dword v0, v1, s[14:15]
	s_cbranch_scc0 .LBB37_209
.LBB37_203:                             ; =>This Loop Header: Depth=1
                                        ;     Child Loop BB37_205 Depth 2
	s_mov_b32 s12, s10
	s_lshl_b64 s[14:15], s[12:13], 2
	s_add_u32 s14, s46, s14
	s_addc_u32 s15, s47, s15
	global_load_dword v1, v0, s[14:15]
	s_mov_b64 s[16:17], s[8:9]
	s_mov_b64 s[14:15], s[10:11]
	s_branch .LBB37_205
.LBB37_204:                             ;   in Loop: Header=BB37_205 Depth=2
	s_add_u32 s20, s14, -4
	s_addc_u32 s21, s15, -1
	s_cmp_lt_i32 s14, 8
	global_store_dword v0, v2, s[16:17]
	s_mov_b64 s[18:19], 0
	s_cselect_b64 s[24:25], -1, 0
	s_mov_b64 s[14:15], s[20:21]
	s_mov_b64 s[16:17], s[22:23]
	s_andn2_b64 vcc, exec, s[24:25]
	s_cbranch_vccz .LBB37_207
.LBB37_205:                             ;   Parent Loop BB37_203 Depth=1
                                        ; =>  This Inner Loop Header: Depth=2
	global_load_dword v2, v0, s[16:17] offset:-16
	s_add_u32 s22, s16, -16
	s_addc_u32 s23, s17, -1
	s_mov_b64 s[18:19], -1
	s_waitcnt vmcnt(0)
	v_cmp_nlt_f32_e32 vcc, v2, v1
	s_cbranch_vccz .LBB37_204
; %bb.206:                              ;   in Loop: Header=BB37_203 Depth=1
                                        ; implicit-def: $sgpr16_sgpr17
                                        ; implicit-def: $sgpr20_sgpr21
.LBB37_207:                             ;   in Loop: Header=BB37_203 Depth=1
	s_andn2_b64 vcc, exec, s[18:19]
	s_cbranch_vccz .LBB37_202
; %bb.208:                              ;   in Loop: Header=BB37_203 Depth=1
	s_bfe_i64 s[14:15], s[20:21], 0x200000
	s_branch .LBB37_202
.LBB37_209:
	s_cmp_lt_i32 s40, 2
	s_cbranch_scc1 .LBB37_216
; %bb.210:
	s_add_u32 s8, s60, s44
	s_addc_u32 s9, s61, s45
	s_add_u32 s8, s8, 4
	s_addc_u32 s9, s9, 0
	s_mov_b64 s[10:11], 1
	s_mov_b32 s13, 0
	v_mov_b32_e32 v0, 0
	s_branch .LBB37_212
.LBB37_211:                             ;   in Loop: Header=BB37_212 Depth=1
	s_lshl_b64 s[14:15], s[18:19], 2
	s_add_u32 s14, s46, s14
	s_addc_u32 s15, s47, s15
	s_add_u32 s10, s10, 1
	s_addc_u32 s11, s11, 0
	s_add_u32 s8, s8, 4
	s_addc_u32 s9, s9, 0
	s_cmp_eq_u32 s10, s40
	global_store_dword v0, v1, s[14:15]
	s_cbranch_scc1 .LBB37_216
.LBB37_212:                             ; =>This Loop Header: Depth=1
                                        ;     Child Loop BB37_214 Depth 2
	s_mov_b32 s12, s10
	s_lshl_b64 s[14:15], s[12:13], 2
	s_add_u32 s14, s46, s14
	s_addc_u32 s15, s47, s15
	global_load_dword v1, v0, s[14:15]
	s_mov_b64 s[16:17], s[8:9]
	s_mov_b64 s[14:15], s[10:11]
	s_branch .LBB37_214
.LBB37_213:                             ;   in Loop: Header=BB37_214 Depth=2
	global_store_dword v0, v2, s[16:17]
	s_add_u32 s16, s14, -1
	s_addc_u32 s17, s15, -1
	s_cmp_lt_i32 s14, 2
	s_mov_b64 s[18:19], 0
	s_cselect_b64 s[20:21], -1, 0
	s_mov_b64 s[14:15], s[16:17]
	s_mov_b64 s[16:17], s[22:23]
	s_andn2_b64 vcc, exec, s[20:21]
	s_cbranch_vccz .LBB37_211
.LBB37_214:                             ;   Parent Loop BB37_212 Depth=1
                                        ; =>  This Inner Loop Header: Depth=2
	global_load_dword v2, v0, s[16:17] offset:-4
	s_add_u32 s22, s16, -4
	s_addc_u32 s23, s17, -1
	s_mov_b64 s[20:21], -1
	s_waitcnt vmcnt(0)
	v_cmp_nlt_f32_e32 vcc, v2, v1
	s_cbranch_vccz .LBB37_213
; %bb.215:                              ;   in Loop: Header=BB37_214 Depth=2
                                        ; implicit-def: $sgpr16_sgpr17
	s_mov_b64 s[18:19], s[14:15]
	s_andn2_b64 vcc, exec, s[20:21]
	s_cbranch_vccnz .LBB37_214
	s_branch .LBB37_211
.LBB37_216:
	s_or_b64 exec, exec, s[6:7]
	s_cmp_lt_i32 s40, 2
	s_cselect_b64 s[10:11], -1, 0
	s_mov_b64 s[54:55], 0
	s_and_b64 vcc, exec, s[10:11]
	s_barrier
	s_cbranch_vccnz .LBB37_224
; %bb.217:
	s_add_i32 s20, s40, -1
	v_cmp_gt_u32_e32 vcc, s20, v41
	s_mov_b64 s[10:11], -1
	s_mov_b64 s[6:7], 0
	s_and_saveexec_b64 s[8:9], vcc
	s_cbranch_execz .LBB37_226
; %bb.218:
	s_add_u32 s21, s46, 4
	s_addc_u32 s22, s47, 0
	s_mov_b64 s[10:11], 0
	v_mov_b32_e32 v1, 0
	v_mov_b32_e32 v2, s47
	;; [unrolled: 1-line block ×3, first 2 shown]
                                        ; implicit-def: $sgpr12_sgpr13
	s_branch .LBB37_220
.LBB37_219:                             ;   in Loop: Header=BB37_220 Depth=1
	s_or_b64 exec, exec, s[18:19]
	s_xor_b64 s[14:15], s[14:15], -1
	s_and_b64 s[6:7], exec, s[6:7]
	s_or_b64 s[10:11], s[6:7], s[10:11]
	s_andn2_b64 s[6:7], s[12:13], exec
	s_and_b64 s[12:13], s[14:15], exec
	s_or_b64 s[12:13], s[6:7], s[12:13]
	s_andn2_b64 exec, exec, s[10:11]
	s_cbranch_execz .LBB37_225
.LBB37_220:                             ; =>This Inner Loop Header: Depth=1
	v_lshlrev_b64 v[4:5], 2, v[0:1]
	v_add_co_u32_e32 v4, vcc, s46, v4
	v_addc_co_u32_e32 v5, vcc, v2, v5, vcc
	global_load_dword v3, v[4:5], off
                                        ; implicit-def: $sgpr14_sgpr15
	s_waitcnt vmcnt(0)
	v_cmp_u_f32_e64 s[16:17], v3, v3
	v_cmp_o_f32_e32 vcc, v3, v3
	s_and_saveexec_b64 s[18:19], vcc
	s_cbranch_execz .LBB37_222
; %bb.221:                              ;   in Loop: Header=BB37_220 Depth=1
	v_ashrrev_i32_e32 v5, 31, v0
	v_mov_b32_e32 v4, v0
	v_lshlrev_b64 v[4:5], 2, v[4:5]
	v_mov_b32_e32 v6, s22
	v_add_co_u32_e32 v4, vcc, s21, v4
	v_addc_co_u32_e32 v5, vcc, v6, v5, vcc
	global_load_dword v4, v[4:5], off
	s_andn2_b64 s[16:17], s[16:17], exec
	s_mov_b64 s[14:15], -1
	s_waitcnt vmcnt(0)
	v_cmp_u_f32_e32 vcc, v4, v4
	v_cmp_ge_f32_e64 s[6:7], v3, v4
	s_or_b64 s[6:7], vcc, s[6:7]
	s_and_b64 s[6:7], s[6:7], exec
	s_or_b64 s[16:17], s[16:17], s[6:7]
.LBB37_222:                             ;   in Loop: Header=BB37_220 Depth=1
	s_or_b64 exec, exec, s[18:19]
	s_mov_b64 s[6:7], -1
	s_and_saveexec_b64 s[18:19], s[16:17]
	s_cbranch_execz .LBB37_219
; %bb.223:                              ;   in Loop: Header=BB37_220 Depth=1
	v_add_u32_e32 v0, s58, v0
	v_cmp_le_u32_e32 vcc, s20, v0
	s_andn2_b64 s[14:15], s[14:15], exec
	s_orn2_b64 s[6:7], vcc, exec
	s_branch .LBB37_219
.LBB37_224:
	s_mov_b64 s[6:7], 0
	s_branch .LBB37_227
.LBB37_225:
	s_or_b64 exec, exec, s[10:11]
	s_mov_b64 s[6:7], exec
	s_orn2_b64 s[10:11], s[12:13], exec
.LBB37_226:
	s_or_b64 exec, exec, s[8:9]
.LBB37_227:
	s_and_saveexec_b64 s[8:9], s[10:11]
	s_cbranch_execz .LBB37_229
; %bb.228:
	s_mov_b64 s[54:55], exec
	s_barrier
	s_andn2_b64 s[6:7], s[6:7], exec
.LBB37_229:
	s_or_b64 exec, exec, s[8:9]
	s_and_saveexec_b64 s[48:49], s[6:7]
	s_cbranch_execz .LBB37_231
; %bb.230:
	s_add_u32 s8, s4, 0x90
	s_addc_u32 s9, s5, 0
	s_getpc_b64 s[4:5]
	s_add_u32 s4, s4, __PRETTY_FUNCTION__._ZN9rocsolver6v33100L21shell_sort_descendingIfiEEvT0_PT_PS2_@rel32@lo+4
	s_addc_u32 s5, s5, __PRETTY_FUNCTION__._ZN9rocsolver6v33100L21shell_sort_descendingIfiEEvT0_PT_PS2_@rel32@hi+12
	v_mov_b32_e32 v0, s4
	v_mov_b32_e32 v1, s5
	s_getpc_b64 s[6:7]
	s_add_u32 s6, s6, __assert_fail@rel32@lo+4
	s_addc_u32 s7, s7, __assert_fail@rel32@hi+12
	s_swappc_b64 s[30:31], s[6:7]
	s_or_b64 s[62:63], s[62:63], exec
.LBB37_231:
	s_or_b64 exec, exec, s[48:49]
.LBB37_232:
	s_and_saveexec_b64 s[4:5], s[62:63]
; %bb.233:
	; divergent unreachable
; %bb.234:
	s_or_b64 exec, exec, s[4:5]
	s_and_saveexec_b64 s[4:5], s[54:55]
	s_cbranch_execz .LBB37_236
; %bb.235:
	s_barrier
.LBB37_236:
	s_or_b64 exec, exec, s[4:5]
	s_cbranch_execnz .LBB37_260
.LBB37_237:
	s_cmp_lt_i32 s40, 2
	s_cbranch_scc1 .LBB37_260
; %bb.238:
	s_cmp_lg_u32 s41, 0
	s_cselect_b64 s[12:13], -1, 0
	s_cmp_lg_u32 s42, 0
	s_cselect_b64 s[14:15], -1, 0
	;; [unrolled: 2-line block ×3, first 2 shown]
	s_add_i32 s33, s40, -2
	s_add_u32 s18, s60, s44
	v_cndmask_b32_e64 v3, 0, 1, s[12:13]
	s_addc_u32 s21, s61, s45
	v_cmp_ne_u32_e64 s[12:13], 1, v3
	v_cndmask_b32_e64 v3, 0, 1, s[14:15]
	s_add_u32 s20, s18, 4
	v_cmp_ne_u32_e64 s[14:15], 1, v3
	v_cndmask_b32_e64 v3, 0, 1, s[16:17]
	s_mov_b32 s19, 0
	v_cmp_eq_u32_e64 s[4:5], 0, v41
	v_cmp_gt_i32_e64 s[6:7], s41, v41
	v_cmp_gt_i32_e64 s[8:9], s42, v41
	;; [unrolled: 1-line block ×3, first 2 shown]
	s_addc_u32 s21, s21, 0
	v_mul_lo_u32 v0, s59, v41
	s_mul_i32 s44, s59, s38
	v_mul_lo_u32 v1, s57, v41
	s_mul_i32 s45, s57, s38
	v_mov_b32_e32 v2, 0
	v_cmp_ne_u32_e64 s[16:17], 1, v3
	s_mov_b32 s48, 0
	s_mov_b32 s49, 0
	s_branch .LBB37_241
.LBB37_239:                             ;   in Loop: Header=BB37_241 Depth=1
	s_or_b64 exec, exec, s[24:25]
	s_waitcnt lgkmcnt(0)
	s_barrier
.LBB37_240:                             ;   in Loop: Header=BB37_241 Depth=1
	s_add_u32 s20, s20, 4
	s_addc_u32 s21, s21, 0
	s_add_i32 s48, s48, s39
	s_cmp_eq_u32 s18, s33
	s_cbranch_scc1 .LBB37_260
.LBB37_241:                             ; =>This Loop Header: Depth=1
                                        ;     Child Loop BB37_242 Depth 2
                                        ;     Child Loop BB37_249 Depth 2
	;; [unrolled: 1-line block ×4, first 2 shown]
	s_mov_b32 s18, s49
	s_lshl_b64 s[22:23], s[18:19], 2
	s_add_u32 s24, s46, s22
	s_addc_u32 s25, s47, s23
	global_load_dword v3, v2, s[24:25]
	s_add_i32 s49, s49, 1
	s_mov_b64 s[30:31], s[20:21]
	s_mov_b32 s23, s49
	s_mov_b32 s22, s18
.LBB37_242:                             ;   Parent Loop BB37_241 Depth=1
                                        ; =>  This Inner Loop Header: Depth=2
	global_load_dword v4, v2, s[30:31]
	s_waitcnt vmcnt(0)
	v_cmp_gt_f32_e32 vcc, v4, v3
	s_and_b64 s[50:51], vcc, exec
	s_cselect_b32 s22, s23, s22
	s_add_i32 s23, s23, 1
	s_add_u32 s30, s30, 4
	s_addc_u32 s31, s31, 0
	v_cndmask_b32_e32 v3, v3, v4, vcc
	s_cmp_lt_i32 s23, s40
	s_cbranch_scc1 .LBB37_242
; %bb.243:                              ;   in Loop: Header=BB37_241 Depth=1
	s_cmp_eq_u32 s22, s18
	s_barrier
	s_cbranch_scc1 .LBB37_240
; %bb.244:                              ;   in Loop: Header=BB37_241 Depth=1
	s_and_saveexec_b64 s[30:31], s[4:5]
	s_cbranch_execz .LBB37_246
; %bb.245:                              ;   in Loop: Header=BB37_241 Depth=1
	global_load_dword v4, v2, s[24:25]
	s_ashr_i32 s23, s22, 31
	s_lshl_b64 s[50:51], s[22:23], 2
	s_add_u32 s50, s46, s50
	s_addc_u32 s51, s47, s51
	s_waitcnt vmcnt(0)
	global_store_dword v2, v4, s[50:51]
	global_store_dword v2, v3, s[24:25]
.LBB37_246:                             ;   in Loop: Header=BB37_241 Depth=1
	s_or_b64 exec, exec, s[30:31]
	s_and_b64 vcc, exec, s[12:13]
	s_cbranch_vccnz .LBB37_251
; %bb.247:                              ;   in Loop: Header=BB37_241 Depth=1
	s_and_saveexec_b64 s[24:25], s[6:7]
	s_cbranch_execz .LBB37_250
; %bb.248:                              ;   in Loop: Header=BB37_241 Depth=1
	s_mov_b64 s[30:31], 0
	v_mov_b32_e32 v3, v0
	v_mov_b32_e32 v4, v41
.LBB37_249:                             ;   Parent Loop BB37_241 Depth=1
                                        ; =>  This Inner Loop Header: Depth=2
	v_add_u32_e32 v6, s22, v3
	v_ashrrev_i32_e32 v7, 31, v6
	v_add_u32_e32 v8, s18, v3
	v_lshlrev_b64 v[6:7], 2, v[6:7]
	v_mov_b32_e32 v5, s29
	v_ashrrev_i32_e32 v9, 31, v8
	v_add_co_u32_e32 v6, vcc, s28, v6
	v_lshlrev_b64 v[8:9], 2, v[8:9]
	v_addc_co_u32_e32 v7, vcc, v5, v7, vcc
	v_add_co_u32_e32 v8, vcc, s28, v8
	v_addc_co_u32_e32 v9, vcc, v5, v9, vcc
	flat_load_dword v5, v[8:9]
	flat_load_dword v10, v[6:7]
	v_add_u32_e32 v4, s38, v4
	v_cmp_le_i32_e32 vcc, s41, v4
	v_add_u32_e32 v3, s44, v3
	s_or_b64 s[30:31], vcc, s[30:31]
	s_waitcnt vmcnt(0) lgkmcnt(0)
	flat_store_dword v[6:7], v5
	flat_store_dword v[8:9], v10
	s_andn2_b64 exec, exec, s[30:31]
	s_cbranch_execnz .LBB37_249
.LBB37_250:                             ;   in Loop: Header=BB37_241 Depth=1
	s_or_b64 exec, exec, s[24:25]
	s_waitcnt lgkmcnt(0)
	s_barrier
.LBB37_251:                             ;   in Loop: Header=BB37_241 Depth=1
	s_and_b64 vcc, exec, s[14:15]
	s_cbranch_vccnz .LBB37_256
; %bb.252:                              ;   in Loop: Header=BB37_241 Depth=1
	s_and_saveexec_b64 s[24:25], s[8:9]
	s_cbranch_execz .LBB37_255
; %bb.253:                              ;   in Loop: Header=BB37_241 Depth=1
	s_mul_i32 s23, s22, s39
	s_mov_b64 s[30:31], 0
	v_mov_b32_e32 v3, v41
.LBB37_254:                             ;   Parent Loop BB37_241 Depth=1
                                        ; =>  This Inner Loop Header: Depth=2
	v_add_u32_e32 v4, s23, v3
	v_ashrrev_i32_e32 v5, 31, v4
	v_add_u32_e32 v6, s48, v3
	v_lshlrev_b64 v[4:5], 2, v[4:5]
	v_mov_b32_e32 v8, s35
	v_ashrrev_i32_e32 v7, 31, v6
	v_add_co_u32_e32 v4, vcc, s34, v4
	v_lshlrev_b64 v[6:7], 2, v[6:7]
	v_addc_co_u32_e32 v5, vcc, v8, v5, vcc
	v_add_co_u32_e32 v6, vcc, s34, v6
	v_addc_co_u32_e32 v7, vcc, v8, v7, vcc
	flat_load_dword v8, v[6:7]
	flat_load_dword v9, v[4:5]
	v_add_u32_e32 v3, s38, v3
	v_cmp_le_i32_e32 vcc, s42, v3
	s_or_b64 s[30:31], vcc, s[30:31]
	s_waitcnt vmcnt(0) lgkmcnt(0)
	flat_store_dword v[4:5], v8
	flat_store_dword v[6:7], v9
	s_andn2_b64 exec, exec, s[30:31]
	s_cbranch_execnz .LBB37_254
.LBB37_255:                             ;   in Loop: Header=BB37_241 Depth=1
	s_or_b64 exec, exec, s[24:25]
	s_waitcnt lgkmcnt(0)
	s_barrier
.LBB37_256:                             ;   in Loop: Header=BB37_241 Depth=1
	s_and_b64 vcc, exec, s[16:17]
	s_cbranch_vccnz .LBB37_240
; %bb.257:                              ;   in Loop: Header=BB37_241 Depth=1
	s_and_saveexec_b64 s[24:25], s[10:11]
	s_cbranch_execz .LBB37_239
; %bb.258:                              ;   in Loop: Header=BB37_241 Depth=1
	s_mov_b64 s[30:31], 0
	v_mov_b32_e32 v3, v1
	v_mov_b32_e32 v4, v41
.LBB37_259:                             ;   Parent Loop BB37_241 Depth=1
                                        ; =>  This Inner Loop Header: Depth=2
	v_add_u32_e32 v6, s22, v3
	v_ashrrev_i32_e32 v7, 31, v6
	v_add_u32_e32 v8, s18, v3
	v_lshlrev_b64 v[6:7], 2, v[6:7]
	v_mov_b32_e32 v5, s37
	v_ashrrev_i32_e32 v9, 31, v8
	v_add_co_u32_e32 v6, vcc, s36, v6
	v_lshlrev_b64 v[8:9], 2, v[8:9]
	v_addc_co_u32_e32 v7, vcc, v5, v7, vcc
	v_add_co_u32_e32 v8, vcc, s36, v8
	v_addc_co_u32_e32 v9, vcc, v5, v9, vcc
	flat_load_dword v5, v[8:9]
	flat_load_dword v10, v[6:7]
	v_add_u32_e32 v4, s38, v4
	v_cmp_le_i32_e32 vcc, s43, v4
	v_add_u32_e32 v3, s45, v3
	s_or_b64 s[30:31], vcc, s[30:31]
	s_waitcnt vmcnt(0) lgkmcnt(0)
	flat_store_dword v[6:7], v5
	flat_store_dword v[8:9], v10
	s_andn2_b64 exec, exec, s[30:31]
	s_cbranch_execnz .LBB37_259
	s_branch .LBB37_239
.LBB37_260:
	s_mov_b64 s[6:7], 0
.LBB37_261:
	s_andn2_b64 vcc, exec, s[6:7]
	s_cbranch_vccnz .LBB37_264
; %bb.262:
	v_cmp_eq_u32_e32 vcc, 0, v41
	s_and_saveexec_b64 s[4:5], vcc
	s_cbranch_execz .LBB37_264
; %bb.263:
	s_add_u32 s4, s52, s26
	s_addc_u32 s5, s53, s27
	v_mov_b32_e32 v0, 0
	v_mov_b32_e32 v1, s56
	global_store_dword v0, v1, s[4:5]
.LBB37_264:
	s_endpgm
	.section	.rodata,"a",@progbits
	.p2align	6, 0x0
	.amdhsa_kernel _ZN9rocsolver6v33100L14bdsqr_finalizeIffPKPfS2_S4_EEviiiiPT0_lS6_lT1_iilT2_iilT3_iilPiSA_SA_
		.amdhsa_group_segment_fixed_size 0
		.amdhsa_private_segment_fixed_size 64
		.amdhsa_kernarg_size 400
		.amdhsa_user_sgpr_count 8
		.amdhsa_user_sgpr_private_segment_buffer 1
		.amdhsa_user_sgpr_dispatch_ptr 0
		.amdhsa_user_sgpr_queue_ptr 0
		.amdhsa_user_sgpr_kernarg_segment_ptr 1
		.amdhsa_user_sgpr_dispatch_id 0
		.amdhsa_user_sgpr_flat_scratch_init 1
		.amdhsa_user_sgpr_kernarg_preload_length 0
		.amdhsa_user_sgpr_kernarg_preload_offset 0
		.amdhsa_user_sgpr_private_segment_size 0
		.amdhsa_uses_dynamic_stack 0
		.amdhsa_system_sgpr_private_segment_wavefront_offset 1
		.amdhsa_system_sgpr_workgroup_id_x 1
		.amdhsa_system_sgpr_workgroup_id_y 1
		.amdhsa_system_sgpr_workgroup_id_z 0
		.amdhsa_system_sgpr_workgroup_info 0
		.amdhsa_system_vgpr_workitem_id 2
		.amdhsa_next_free_vgpr 45
		.amdhsa_next_free_sgpr 78
		.amdhsa_accum_offset 48
		.amdhsa_reserve_vcc 1
		.amdhsa_reserve_flat_scratch 1
		.amdhsa_float_round_mode_32 0
		.amdhsa_float_round_mode_16_64 0
		.amdhsa_float_denorm_mode_32 3
		.amdhsa_float_denorm_mode_16_64 3
		.amdhsa_dx10_clamp 1
		.amdhsa_ieee_mode 1
		.amdhsa_fp16_overflow 0
		.amdhsa_tg_split 0
		.amdhsa_exception_fp_ieee_invalid_op 0
		.amdhsa_exception_fp_denorm_src 0
		.amdhsa_exception_fp_ieee_div_zero 0
		.amdhsa_exception_fp_ieee_overflow 0
		.amdhsa_exception_fp_ieee_underflow 0
		.amdhsa_exception_fp_ieee_inexact 0
		.amdhsa_exception_int_div_zero 0
	.end_amdhsa_kernel
	.section	.text._ZN9rocsolver6v33100L14bdsqr_finalizeIffPKPfS2_S4_EEviiiiPT0_lS6_lT1_iilT2_iilT3_iilPiSA_SA_,"axG",@progbits,_ZN9rocsolver6v33100L14bdsqr_finalizeIffPKPfS2_S4_EEviiiiPT0_lS6_lT1_iilT2_iilT3_iilPiSA_SA_,comdat
.Lfunc_end37:
	.size	_ZN9rocsolver6v33100L14bdsqr_finalizeIffPKPfS2_S4_EEviiiiPT0_lS6_lT1_iilT2_iilT3_iilPiSA_SA_, .Lfunc_end37-_ZN9rocsolver6v33100L14bdsqr_finalizeIffPKPfS2_S4_EEviiiiPT0_lS6_lT1_iilT2_iilT3_iilPiSA_SA_
                                        ; -- End function
	.section	.AMDGPU.csdata,"",@progbits
; Kernel info:
; codeLenInByte = 7680
; NumSgprs: 84
; NumVgprs: 45
; NumAgprs: 0
; TotalNumVgprs: 45
; ScratchSize: 64
; MemoryBound: 0
; FloatMode: 240
; IeeeMode: 1
; LDSByteSize: 0 bytes/workgroup (compile time only)
; SGPRBlocks: 10
; VGPRBlocks: 5
; NumSGPRsForWavesPerEU: 84
; NumVGPRsForWavesPerEU: 45
; AccumOffset: 48
; Occupancy: 8
; WaveLimiterHint : 1
; COMPUTE_PGM_RSRC2:SCRATCH_EN: 1
; COMPUTE_PGM_RSRC2:USER_SGPR: 8
; COMPUTE_PGM_RSRC2:TRAP_HANDLER: 0
; COMPUTE_PGM_RSRC2:TGID_X_EN: 1
; COMPUTE_PGM_RSRC2:TGID_Y_EN: 1
; COMPUTE_PGM_RSRC2:TGID_Z_EN: 0
; COMPUTE_PGM_RSRC2:TIDIG_COMP_CNT: 2
; COMPUTE_PGM_RSRC3_GFX90A:ACCUM_OFFSET: 11
; COMPUTE_PGM_RSRC3_GFX90A:TG_SPLIT: 0
	.section	.text._ZN9rocsolver6v33100L17bdsqr_lower2upperIffPKPfS4_EEviiiPT0_lS6_lT1_iilT2_iilPiS6_lS9_,"axG",@progbits,_ZN9rocsolver6v33100L17bdsqr_lower2upperIffPKPfS4_EEviiiPT0_lS6_lT1_iilT2_iilPiS6_lS9_,comdat
	.globl	_ZN9rocsolver6v33100L17bdsqr_lower2upperIffPKPfS4_EEviiiPT0_lS6_lT1_iilT2_iilPiS6_lS9_ ; -- Begin function _ZN9rocsolver6v33100L17bdsqr_lower2upperIffPKPfS4_EEviiiPT0_lS6_lT1_iilT2_iilPiS6_lS9_
	.p2align	8
	.type	_ZN9rocsolver6v33100L17bdsqr_lower2upperIffPKPfS4_EEviiiPT0_lS6_lT1_iilT2_iilPiS6_lS9_,@function
_ZN9rocsolver6v33100L17bdsqr_lower2upperIffPKPfS4_EEviiiPT0_lS6_lT1_iilT2_iilPiS6_lS9_: ; @_ZN9rocsolver6v33100L17bdsqr_lower2upperIffPKPfS4_EEviiiPT0_lS6_lT1_iilT2_iilPiS6_lS9_
; %bb.0:
	s_load_dwordx2 s[0:1], s[4:5], 0x78
	s_mov_b32 s28, s7
	s_ashr_i32 s29, s7, 31
	s_lshl_b64 s[2:3], s[28:29], 2
	s_waitcnt lgkmcnt(0)
	s_add_u32 s0, s0, s2
	s_addc_u32 s1, s1, s3
	s_load_dword s0, s[0:1], 0x8
	s_waitcnt lgkmcnt(0)
	s_cmp_lg_u32 s0, 0
	s_cbranch_scc1 .LBB38_34
; %bb.1:
	s_load_dwordx4 s[20:23], s[4:5], 0x30
	s_load_dwordx4 s[8:11], s[4:5], 0x68
	s_mov_b64 s[6:7], 0
	s_mov_b64 s[24:25], 0
	s_waitcnt lgkmcnt(0)
	s_cmp_eq_u64 s[20:21], 0
	s_cbranch_scc1 .LBB38_3
; %bb.2:
	s_lshl_b64 s[0:1], s[28:29], 3
	s_add_u32 s0, s20, s0
	s_addc_u32 s1, s21, s1
	s_load_dwordx2 s[0:1], s[0:1], 0x0
	s_ashr_i32 s3, s22, 31
	s_mov_b32 s2, s22
	s_lshl_b64 s[2:3], s[2:3], 2
	s_waitcnt lgkmcnt(0)
	s_add_u32 s24, s0, s2
	s_addc_u32 s25, s1, s3
.LBB38_3:
	s_load_dwordx4 s[0:3], s[4:5], 0x48
	s_waitcnt lgkmcnt(0)
	s_cmp_eq_u64 s[0:1], 0
	s_cbranch_scc1 .LBB38_5
; %bb.4:
	s_lshl_b64 s[6:7], s[28:29], 3
	s_add_u32 s0, s0, s6
	s_addc_u32 s1, s1, s7
	s_load_dwordx2 s[0:1], s[0:1], 0x0
	s_ashr_i32 s7, s2, 31
	s_mov_b32 s6, s2
	s_lshl_b64 s[6:7], s[6:7], 2
	s_waitcnt lgkmcnt(0)
	s_add_u32 s6, s0, s6
	s_addc_u32 s7, s1, s7
.LBB38_5:
	s_mul_i32 s0, s28, s11
	s_mul_hi_u32 s1, s28, s10
	s_load_dwordx4 s[16:19], s[4:5], 0x0
	s_add_i32 s0, s1, s0
	s_mul_i32 s1, s29, s10
	s_add_i32 s1, s0, s1
	s_mul_i32 s0, s28, s10
	s_lshl_b64 s[0:1], s[0:1], 2
	s_add_u32 s2, s8, s0
	s_waitcnt lgkmcnt(0)
	s_addc_u32 s19, s9, s1
	v_cmp_eq_u32_e32 vcc, 0, v0
	s_and_saveexec_b64 s[20:21], vcc
	s_cbranch_execz .LBB38_22
; %bb.6:
	s_load_dwordx8 s[8:15], s[4:5], 0x10
	s_waitcnt lgkmcnt(0)
	s_mul_i32 s0, s28, s11
	s_mul_hi_u32 s1, s28, s10
	s_mul_i32 s11, s29, s10
	s_add_i32 s0, s1, s0
	s_add_i32 s1, s0, s11
	s_mul_i32 s0, s28, s10
	s_lshl_b64 s[0:1], s[0:1], 2
	s_add_u32 s10, s8, s0
	s_addc_u32 s11, s9, s1
	s_load_dword s22, s[10:11], 0x0
	s_add_i32 s26, s16, -1
	s_cmp_lt_i32 s16, 2
	s_waitcnt lgkmcnt(0)
	v_mov_b32_e32 v3, s22
	s_cbranch_scc1 .LBB38_21
; %bb.7:
	s_mul_i32 s15, s28, s15
	s_mul_hi_u32 s27, s28, s14
	s_add_i32 s15, s27, s15
	s_mul_i32 s27, s29, s14
	s_add_i32 s15, s15, s27
	s_mul_i32 s14, s28, s14
	s_lshl_b64 s[14:15], s[14:15], 2
	s_add_u32 s30, s14, s12
	s_addc_u32 s31, s15, s13
	s_or_b32 s14, s18, s17
	s_cmp_lg_u32 s14, 0
	s_cselect_b64 s[14:15], -1, 0
	s_add_u32 s28, s2, 16
	s_addc_u32 s29, s19, 0
	s_load_dword s12, s[30:31], 0x0
	s_add_u32 s0, s0, s8
	s_addc_u32 s1, s1, s9
	s_add_u32 s8, s0, 4
	s_addc_u32 s9, s1, 0
	s_add_u32 s30, s30, 4
	s_mov_b32 s13, 0
	s_addc_u32 s31, s31, 0
	v_mov_b32_e32 v3, s22
	s_waitcnt lgkmcnt(0)
	v_mov_b32_e32 v4, s12
	s_mov_b32 s22, 0xf800000
	v_mov_b32_e32 v1, 0x260
	v_mov_b32_e32 v2, 0
	s_mov_b64 s[34:35], s[28:29]
	s_mov_b32 s27, 0
	s_branch .LBB38_9
.LBB38_8:                               ;   in Loop: Header=BB38_9 Depth=1
	s_add_i32 s27, s27, 1
	s_add_u32 s34, s34, 4
	s_addc_u32 s35, s35, 0
	s_add_u32 s8, s8, 4
	s_addc_u32 s9, s9, 0
	;; [unrolled: 2-line block ×3, first 2 shown]
	s_cmp_lg_u32 s26, s27
	s_waitcnt vmcnt(0)
	v_mul_f32_e32 v3, v5, v3
	s_cbranch_scc0 .LBB38_21
.LBB38_9:                               ; =>This Inner Loop Header: Depth=1
	v_cmp_eq_f32_e32 vcc, 0, v4
	s_cbranch_vccnz .LBB38_13
; %bb.10:                               ;   in Loop: Header=BB38_9 Depth=1
	v_cmp_neq_f32_e32 vcc, 0, v3
	s_cbranch_vccz .LBB38_14
; %bb.11:                               ;   in Loop: Header=BB38_9 Depth=1
	v_cmp_ngt_f32_e64 s[0:1], |v4|, |v3|
	s_and_b64 vcc, exec, s[0:1]
	s_cbranch_vccz .LBB38_15
; %bb.12:                               ;   in Loop: Header=BB38_9 Depth=1
	v_div_scale_f32 v5, s[0:1], v3, v3, -v4
	v_rcp_f32_e32 v6, v5
	v_div_scale_f32 v7, vcc, -v4, v3, -v4
	v_fma_f32 v8, -v5, v6, 1.0
	v_fmac_f32_e32 v6, v8, v6
	v_mul_f32_e32 v8, v7, v6
	v_fma_f32 v9, -v5, v8, v7
	v_fmac_f32_e32 v8, v9, v6
	v_fma_f32 v5, -v5, v8, v7
	v_div_fmas_f32 v5, v5, v6, v8
	v_div_fixup_f32 v6, v5, v3, -v4
	v_fma_f32 v5, v6, v6, 1.0
	v_mul_f32_e32 v7, 0x4f800000, v5
	v_cmp_gt_f32_e32 vcc, s22, v5
	v_cndmask_b32_e32 v5, v5, v7, vcc
	v_sqrt_f32_e32 v7, v5
	v_add_u32_e32 v8, -1, v7
	v_fma_f32 v9, -v8, v7, v5
	v_cmp_ge_f32_e64 s[0:1], 0, v9
	v_add_u32_e32 v9, 1, v7
	v_cndmask_b32_e64 v8, v7, v8, s[0:1]
	v_fma_f32 v7, -v9, v7, v5
	v_cmp_lt_f32_e64 s[0:1], 0, v7
	v_cndmask_b32_e64 v7, v8, v9, s[0:1]
	v_mul_f32_e32 v8, 0x37800000, v7
	v_cndmask_b32_e32 v7, v7, v8, vcc
	v_cmp_class_f32_e32 vcc, v5, v1
	v_cndmask_b32_e32 v5, v7, v5, vcc
	v_div_scale_f32 v7, s[0:1], v5, v5, 1.0
	v_rcp_f32_e32 v8, v7
	v_fma_f32 v9, -v7, v8, 1.0
	v_fmac_f32_e32 v8, v9, v8
	v_div_scale_f32 v9, vcc, 1.0, v5, 1.0
	v_mul_f32_e32 v10, v9, v8
	v_fma_f32 v11, -v7, v10, v9
	v_fmac_f32_e32 v10, v11, v8
	v_fma_f32 v7, -v7, v10, v9
	v_div_fmas_f32 v7, v7, v8, v10
	v_div_fixup_f32 v5, v7, v5, 1.0
	v_mul_f32_e32 v6, v6, v5
	s_cbranch_execz .LBB38_16
	s_branch .LBB38_17
.LBB38_13:                              ;   in Loop: Header=BB38_9 Depth=1
	v_mov_b32_e32 v5, 1.0
	v_mov_b32_e32 v6, 0
	s_branch .LBB38_19
.LBB38_14:                              ;   in Loop: Header=BB38_9 Depth=1
                                        ; implicit-def: $vgpr3
                                        ; implicit-def: $vgpr6
                                        ; implicit-def: $vgpr5
	s_cbranch_execnz .LBB38_18
	s_branch .LBB38_19
.LBB38_15:                              ;   in Loop: Header=BB38_9 Depth=1
                                        ; implicit-def: $vgpr6
                                        ; implicit-def: $vgpr5
.LBB38_16:                              ;   in Loop: Header=BB38_9 Depth=1
	v_div_scale_f32 v5, s[0:1], v4, v4, -v3
	v_rcp_f32_e32 v6, v5
	v_div_scale_f32 v7, vcc, -v3, v4, -v3
	v_fma_f32 v8, -v5, v6, 1.0
	v_fmac_f32_e32 v6, v8, v6
	v_mul_f32_e32 v8, v7, v6
	v_fma_f32 v9, -v5, v8, v7
	v_fmac_f32_e32 v8, v9, v6
	v_fma_f32 v5, -v5, v8, v7
	v_div_fmas_f32 v5, v5, v6, v8
	v_div_fixup_f32 v5, v5, v4, -v3
	v_fma_f32 v6, v5, v5, 1.0
	v_mul_f32_e32 v7, 0x4f800000, v6
	v_cmp_gt_f32_e32 vcc, s22, v6
	v_cndmask_b32_e32 v6, v6, v7, vcc
	v_sqrt_f32_e32 v7, v6
	v_add_u32_e32 v8, -1, v7
	v_fma_f32 v9, -v8, v7, v6
	v_cmp_ge_f32_e64 s[0:1], 0, v9
	v_add_u32_e32 v9, 1, v7
	v_cndmask_b32_e64 v8, v7, v8, s[0:1]
	v_fma_f32 v7, -v9, v7, v6
	v_cmp_lt_f32_e64 s[0:1], 0, v7
	v_cndmask_b32_e64 v7, v8, v9, s[0:1]
	v_mul_f32_e32 v8, 0x37800000, v7
	v_cndmask_b32_e32 v7, v7, v8, vcc
	v_cmp_class_f32_e32 vcc, v6, v1
	v_cndmask_b32_e32 v6, v7, v6, vcc
	v_div_scale_f32 v7, s[0:1], v6, v6, 1.0
	v_rcp_f32_e32 v8, v7
	v_fma_f32 v9, -v7, v8, 1.0
	v_fmac_f32_e32 v8, v9, v8
	v_div_scale_f32 v9, vcc, 1.0, v6, 1.0
	v_mul_f32_e32 v10, v9, v8
	v_fma_f32 v11, -v7, v10, v9
	v_fmac_f32_e32 v10, v11, v8
	v_fma_f32 v7, -v7, v10, v9
	v_div_fmas_f32 v7, v7, v8, v10
	v_div_fixup_f32 v6, v7, v6, 1.0
	v_mul_f32_e32 v5, v5, v6
.LBB38_17:                              ;   in Loop: Header=BB38_9 Depth=1
	v_mul_f32_e32 v7, v4, v6
	v_fma_f32 v3, v3, v5, -v7
	s_branch .LBB38_19
.LBB38_18:                              ;   in Loop: Header=BB38_9 Depth=1
	v_xor_b32_e32 v3, 0x80000000, v4
	v_mov_b32_e32 v5, 0
	v_mov_b32_e32 v6, 1.0
.LBB38_19:                              ;   in Loop: Header=BB38_9 Depth=1
	global_load_dword v7, v2, s[8:9]
	s_andn2_b64 vcc, exec, s[14:15]
	global_store_dword v2, v3, s[8:9] offset:-4
	global_load_dword v4, v2, s[30:31]
	s_waitcnt vmcnt(2)
	v_mul_f32_e64 v3, v7, -v6
	global_store_dword v2, v3, s[30:31] offset:-4
	global_load_dword v3, v2, s[8:9]
	s_cbranch_vccnz .LBB38_8
; %bb.20:                               ;   in Loop: Header=BB38_9 Depth=1
	s_add_i32 s12, s16, s27
	s_lshl_b64 s[0:1], s[12:13], 2
	s_add_u32 s0, s28, s0
	s_addc_u32 s1, s29, s1
	global_store_dword v2, v5, s[34:35]
	global_store_dword v2, v6, s[0:1]
	s_branch .LBB38_8
.LBB38_21:
	s_ashr_i32 s27, s26, 31
	s_lshl_b64 s[0:1], s[26:27], 2
	s_add_u32 s0, s10, s0
	s_addc_u32 s1, s11, s1
	v_mov_b32_e32 v1, 0
	global_store_dword v1, v3, s[0:1]
.LBB38_22:
	s_or_b64 exec, exec, s[20:21]
	v_cmp_gt_i32_e32 vcc, s17, v0
	s_barrier
	s_and_saveexec_b64 s[8:9], vcc
	s_cbranch_execz .LBB38_28
; %bb.23:
	s_load_dword s10, s[4:5], 0x8c
	s_add_i32 s28, s16, -1
	s_cmp_gt_i32 s16, 1
	s_cselect_b64 s[0:1], -1, 0
	s_mul_i32 s26, s28, s23
	s_waitcnt lgkmcnt(0)
	s_and_b32 s29, s10, 0xffff
	s_add_u32 s10, s2, 16
	s_addc_u32 s11, s19, 0
	s_ashr_i32 s27, s26, 31
	s_ashr_i32 s13, s23, 31
	s_mov_b32 s12, s23
	s_mov_b32 s15, 0
	;; [unrolled: 1-line block ×3, first 2 shown]
	v_cndmask_b32_e64 v2, 0, 1, s[0:1]
	s_lshl_b64 s[22:23], s[26:27], 2
	s_lshl_b64 s[12:13], s[12:13], 2
	;; [unrolled: 1-line block ×3, first 2 shown]
	s_mov_b64 s[20:21], 0
	v_mov_b32_e32 v1, s25
	v_cmp_ne_u32_e64 s[0:1], 1, v2
	v_mov_b32_e32 v8, 0
	v_mov_b32_e32 v9, s23
	;; [unrolled: 1-line block ×3, first 2 shown]
	s_branch .LBB38_25
.LBB38_24:                              ;   in Loop: Header=BB38_25 Depth=1
	v_add_co_u32_e32 v4, vcc, s22, v4
	v_addc_co_u32_e32 v5, vcc, v5, v9, vcc
	v_add_u32_e32 v2, s29, v2
	v_cmp_le_i32_e32 vcc, s17, v2
	s_or_b64 s[20:21], vcc, s[20:21]
	s_waitcnt vmcnt(0) lgkmcnt(0)
	flat_store_dword v[4:5], v3
	s_andn2_b64 exec, exec, s[20:21]
	s_cbranch_execz .LBB38_28
.LBB38_25:                              ; =>This Loop Header: Depth=1
                                        ;     Child Loop BB38_27 Depth 2
	v_ashrrev_i32_e32 v3, 31, v2
	v_lshlrev_b64 v[4:5], 2, v[2:3]
	v_add_co_u32_e32 v4, vcc, s24, v4
	v_addc_co_u32_e32 v5, vcc, v1, v5, vcc
	flat_load_dword v3, v[4:5]
	s_and_b64 vcc, exec, s[0:1]
	s_cbranch_vccnz .LBB38_24
; %bb.26:                               ;   in Loop: Header=BB38_25 Depth=1
	s_mov_b32 s23, s28
	s_mov_b64 s[26:27], s[10:11]
	v_pk_mov_b32 v[6:7], v[4:5], v[4:5] op_sel:[0,1]
.LBB38_27:                              ;   Parent Loop BB38_25 Depth=1
                                        ; =>  This Inner Loop Header: Depth=2
	v_mov_b32_e32 v11, s13
	v_add_co_u32_e32 v10, vcc, s12, v6
	v_addc_co_u32_e32 v11, vcc, v7, v11, vcc
	s_add_u32 s30, s26, s14
	flat_load_dword v12, v[10:11]
	s_addc_u32 s31, s27, s15
	global_load_dword v13, v8, s[30:31]
	global_load_dword v14, v8, s[26:27]
	s_add_u32 s26, s26, 4
	s_addc_u32 s27, s27, 0
	s_add_i32 s23, s23, -1
	s_cmp_lg_u32 s23, 0
	s_waitcnt vmcnt(0) lgkmcnt(0)
	v_mul_f32_e32 v15, v12, v13
	v_fma_f32 v15, v3, v14, -v15
	v_mul_f32_e32 v3, v3, v13
	flat_store_dword v[6:7], v15
	v_fmac_f32_e32 v3, v12, v14
	v_pk_mov_b32 v[6:7], v[10:11], v[10:11] op_sel:[0,1]
	s_cbranch_scc1 .LBB38_27
	s_branch .LBB38_24
.LBB38_28:
	s_or_b64 exec, exec, s[8:9]
	v_cmp_gt_i32_e32 vcc, s18, v0
	s_and_saveexec_b64 s[0:1], vcc
	s_cbranch_execz .LBB38_34
; %bb.29:
	s_load_dword s5, s[4:5], 0x8c
	s_add_i32 s4, s16, -1
	s_cmp_gt_i32 s16, 1
	s_cselect_b64 s[0:1], -1, 0
	s_mov_b32 s17, 0
	s_waitcnt lgkmcnt(0)
	s_and_b32 s20, s5, 0xffff
	s_add_u32 s8, s2, 16
	s_addc_u32 s9, s19, 0
	s_ashr_i32 s5, s4, 31
	v_cndmask_b32_e64 v3, 0, 1, s[0:1]
	s_lshl_b64 s[14:15], s[4:5], 2
	v_mul_lo_u32 v2, v0, s3
	s_mul_i32 s2, s3, s20
	s_lshl_b64 s[10:11], s[16:17], 2
	s_mov_b64 s[12:13], 0
	v_mov_b32_e32 v1, s7
	v_cmp_ne_u32_e64 s[0:1], 1, v3
	v_mov_b32_e32 v8, 0
	v_mov_b32_e32 v9, s15
	s_branch .LBB38_31
.LBB38_30:                              ;   in Loop: Header=BB38_31 Depth=1
	v_add_co_u32_e32 v4, vcc, s14, v4
	v_addc_co_u32_e32 v5, vcc, v5, v9, vcc
	v_add_u32_e32 v0, s20, v0
	v_cmp_le_i32_e32 vcc, s18, v0
	s_or_b64 s[12:13], vcc, s[12:13]
	v_add_u32_e32 v2, s2, v2
	s_waitcnt vmcnt(0) lgkmcnt(0)
	flat_store_dword v[4:5], v10
	s_andn2_b64 exec, exec, s[12:13]
	s_cbranch_execz .LBB38_34
.LBB38_31:                              ; =>This Loop Header: Depth=1
                                        ;     Child Loop BB38_33 Depth 2
	v_mul_lo_u32 v4, v0, s3
	v_ashrrev_i32_e32 v5, 31, v4
	v_lshlrev_b64 v[4:5], 2, v[4:5]
	v_add_co_u32_e32 v4, vcc, s6, v4
	v_addc_co_u32_e32 v5, vcc, v1, v5, vcc
	flat_load_dword v10, v[4:5]
	s_and_b64 vcc, exec, s[0:1]
	s_cbranch_vccnz .LBB38_30
; %bb.32:                               ;   in Loop: Header=BB38_31 Depth=1
	v_ashrrev_i32_e32 v3, 31, v2
	v_lshlrev_b64 v[6:7], 2, v[2:3]
	v_add_co_u32_e32 v6, vcc, s6, v6
	v_addc_co_u32_e32 v7, vcc, v1, v7, vcc
	s_mov_b32 s5, s4
	s_mov_b64 s[16:17], s[8:9]
.LBB38_33:                              ;   Parent Loop BB38_31 Depth=1
                                        ; =>  This Inner Loop Header: Depth=2
	s_add_u32 s22, s16, s10
	s_addc_u32 s23, s17, s11
	flat_load_dword v3, v[6:7] offset:4
	global_load_dword v11, v8, s[16:17]
	global_load_dword v14, v8, s[22:23]
	v_add_co_u32_e32 v12, vcc, 4, v6
	s_add_u32 s16, s16, 4
	v_addc_co_u32_e32 v13, vcc, 0, v7, vcc
	s_addc_u32 s17, s17, 0
	s_add_i32 s5, s5, -1
	s_cmp_lg_u32 s5, 0
	s_waitcnt vmcnt(0) lgkmcnt(0)
	v_mul_f32_e32 v15, v3, v14
	v_fma_f32 v15, v10, v11, -v15
	v_mul_f32_e32 v10, v10, v14
	flat_store_dword v[6:7], v15
	v_fmac_f32_e32 v10, v3, v11
	v_pk_mov_b32 v[6:7], v[12:13], v[12:13] op_sel:[0,1]
	s_cbranch_scc1 .LBB38_33
	s_branch .LBB38_30
.LBB38_34:
	s_endpgm
	.section	.rodata,"a",@progbits
	.p2align	6, 0x0
	.amdhsa_kernel _ZN9rocsolver6v33100L17bdsqr_lower2upperIffPKPfS4_EEviiiPT0_lS6_lT1_iilT2_iilPiS6_lS9_
		.amdhsa_group_segment_fixed_size 0
		.amdhsa_private_segment_fixed_size 0
		.amdhsa_kernarg_size 384
		.amdhsa_user_sgpr_count 6
		.amdhsa_user_sgpr_private_segment_buffer 1
		.amdhsa_user_sgpr_dispatch_ptr 0
		.amdhsa_user_sgpr_queue_ptr 0
		.amdhsa_user_sgpr_kernarg_segment_ptr 1
		.amdhsa_user_sgpr_dispatch_id 0
		.amdhsa_user_sgpr_flat_scratch_init 0
		.amdhsa_user_sgpr_kernarg_preload_length 0
		.amdhsa_user_sgpr_kernarg_preload_offset 0
		.amdhsa_user_sgpr_private_segment_size 0
		.amdhsa_uses_dynamic_stack 0
		.amdhsa_system_sgpr_private_segment_wavefront_offset 0
		.amdhsa_system_sgpr_workgroup_id_x 1
		.amdhsa_system_sgpr_workgroup_id_y 1
		.amdhsa_system_sgpr_workgroup_id_z 0
		.amdhsa_system_sgpr_workgroup_info 0
		.amdhsa_system_vgpr_workitem_id 0
		.amdhsa_next_free_vgpr 16
		.amdhsa_next_free_sgpr 36
		.amdhsa_accum_offset 16
		.amdhsa_reserve_vcc 1
		.amdhsa_reserve_flat_scratch 0
		.amdhsa_float_round_mode_32 0
		.amdhsa_float_round_mode_16_64 0
		.amdhsa_float_denorm_mode_32 3
		.amdhsa_float_denorm_mode_16_64 3
		.amdhsa_dx10_clamp 1
		.amdhsa_ieee_mode 1
		.amdhsa_fp16_overflow 0
		.amdhsa_tg_split 0
		.amdhsa_exception_fp_ieee_invalid_op 0
		.amdhsa_exception_fp_denorm_src 0
		.amdhsa_exception_fp_ieee_div_zero 0
		.amdhsa_exception_fp_ieee_overflow 0
		.amdhsa_exception_fp_ieee_underflow 0
		.amdhsa_exception_fp_ieee_inexact 0
		.amdhsa_exception_int_div_zero 0
	.end_amdhsa_kernel
	.section	.text._ZN9rocsolver6v33100L17bdsqr_lower2upperIffPKPfS4_EEviiiPT0_lS6_lT1_iilT2_iilPiS6_lS9_,"axG",@progbits,_ZN9rocsolver6v33100L17bdsqr_lower2upperIffPKPfS4_EEviiiPT0_lS6_lT1_iilT2_iilPiS6_lS9_,comdat
.Lfunc_end38:
	.size	_ZN9rocsolver6v33100L17bdsqr_lower2upperIffPKPfS4_EEviiiPT0_lS6_lT1_iilT2_iilPiS6_lS9_, .Lfunc_end38-_ZN9rocsolver6v33100L17bdsqr_lower2upperIffPKPfS4_EEviiiPT0_lS6_lT1_iilT2_iilPiS6_lS9_
                                        ; -- End function
	.section	.AMDGPU.csdata,"",@progbits
; Kernel info:
; codeLenInByte = 1912
; NumSgprs: 40
; NumVgprs: 16
; NumAgprs: 0
; TotalNumVgprs: 16
; ScratchSize: 0
; MemoryBound: 0
; FloatMode: 240
; IeeeMode: 1
; LDSByteSize: 0 bytes/workgroup (compile time only)
; SGPRBlocks: 4
; VGPRBlocks: 1
; NumSGPRsForWavesPerEU: 40
; NumVGPRsForWavesPerEU: 16
; AccumOffset: 16
; Occupancy: 8
; WaveLimiterHint : 0
; COMPUTE_PGM_RSRC2:SCRATCH_EN: 0
; COMPUTE_PGM_RSRC2:USER_SGPR: 6
; COMPUTE_PGM_RSRC2:TRAP_HANDLER: 0
; COMPUTE_PGM_RSRC2:TGID_X_EN: 1
; COMPUTE_PGM_RSRC2:TGID_Y_EN: 1
; COMPUTE_PGM_RSRC2:TGID_Z_EN: 0
; COMPUTE_PGM_RSRC2:TIDIG_COMP_CNT: 0
; COMPUTE_PGM_RSRC3_GFX90A:ACCUM_OFFSET: 3
; COMPUTE_PGM_RSRC3_GFX90A:TG_SPLIT: 0
	.section	.text._ZN9rocsolver6v33100L13bdsqr_computeILi256EffPfPKS2_S4_EEviiiiPT1_lS6_lT2_iilT3_iilT4_iiliS5_S5_S5_S5_PiS6_ilSA_,"axG",@progbits,_ZN9rocsolver6v33100L13bdsqr_computeILi256EffPfPKS2_S4_EEviiiiPT1_lS6_lT2_iilT3_iilT4_iiliS5_S5_S5_S5_PiS6_ilSA_,comdat
	.globl	_ZN9rocsolver6v33100L13bdsqr_computeILi256EffPfPKS2_S4_EEviiiiPT1_lS6_lT2_iilT3_iilT4_iiliS5_S5_S5_S5_PiS6_ilSA_ ; -- Begin function _ZN9rocsolver6v33100L13bdsqr_computeILi256EffPfPKS2_S4_EEviiiiPT1_lS6_lT2_iilT3_iilT4_iiliS5_S5_S5_S5_PiS6_ilSA_
	.p2align	8
	.type	_ZN9rocsolver6v33100L13bdsqr_computeILi256EffPfPKS2_S4_EEviiiiPT1_lS6_lT2_iilT3_iilT4_iiliS5_S5_S5_S5_PiS6_ilSA_,@function
_ZN9rocsolver6v33100L13bdsqr_computeILi256EffPfPKS2_S4_EEviiiiPT1_lS6_lT2_iilT3_iilT4_iiliS5_S5_S5_S5_PiS6_ilSA_: ; @_ZN9rocsolver6v33100L13bdsqr_computeILi256EffPfPKS2_S4_EEviiiiPT1_lS6_lT2_iilT3_iilT4_iiliS5_S5_S5_S5_PiS6_ilSA_
; %bb.0:
	s_load_dwordx4 s[0:3], s[4:5], 0xa8
	s_ashr_i32 s9, s8, 31
	s_lshl_b64 s[10:11], s[8:9], 2
	s_waitcnt lgkmcnt(0)
	s_add_u32 s2, s2, s10
	s_addc_u32 s3, s3, s11
	s_load_dword s2, s[2:3], 0x8
	s_waitcnt lgkmcnt(0)
	s_cmp_lg_u32 s2, 0
	s_cbranch_scc1 .LBB39_179
; %bb.1:
	s_load_dwordx8 s[20:27], s[4:5], 0x30
	s_mov_b64 s[34:35], 0
	s_mov_b64 s[44:45], 0
	s_waitcnt lgkmcnt(0)
	s_cmp_eq_u64 s[20:21], 0
	s_cbranch_scc1 .LBB39_3
; %bb.2:
	s_mul_i32 s6, s8, s25
	s_mul_hi_u32 s10, s8, s24
	s_add_i32 s6, s10, s6
	s_mul_i32 s10, s9, s24
	s_add_i32 s11, s6, s10
	s_mul_i32 s10, s8, s24
	s_ashr_i32 s3, s22, 31
	s_lshl_b64 s[10:11], s[10:11], 2
	s_mov_b32 s2, s22
	s_add_u32 s6, s20, s10
	s_addc_u32 s10, s21, s11
	s_lshl_b64 s[2:3], s[2:3], 2
	s_add_u32 s44, s6, s2
	s_addc_u32 s45, s10, s3
.LBB39_3:
	s_load_dwordx2 s[82:83], s[4:5], 0x50
	s_cmp_eq_u64 s[26:27], 0
	s_cbranch_scc1 .LBB39_5
; %bb.4:
	s_lshl_b64 s[2:3], s[8:9], 3
	s_add_u32 s2, s26, s2
	s_addc_u32 s3, s27, s3
	s_load_dwordx2 s[2:3], s[2:3], 0x0
	s_waitcnt lgkmcnt(0)
	s_ashr_i32 s11, s82, 31
	s_mov_b32 s10, s82
	s_lshl_b64 s[10:11], s[10:11], 2
	s_add_u32 s34, s2, s10
	s_addc_u32 s35, s3, s11
.LBB39_5:
	s_load_dwordx4 s[36:39], s[4:5], 0x60
	s_mov_b64 s[46:47], 0
	s_waitcnt lgkmcnt(0)
	s_cmp_eq_u64 s[36:37], 0
	s_cbranch_scc1 .LBB39_7
; %bb.6:
	s_lshl_b64 s[2:3], s[8:9], 3
	s_add_u32 s2, s36, s2
	s_addc_u32 s3, s37, s3
	s_load_dwordx2 s[2:3], s[2:3], 0x0
	s_ashr_i32 s11, s38, 31
	s_mov_b32 s10, s38
	s_lshl_b64 s[10:11], s[10:11], 2
	s_waitcnt lgkmcnt(0)
	s_add_u32 s46, s2, s10
	s_addc_u32 s47, s3, s11
.LBB39_7:
	s_load_dwordx4 s[12:15], s[4:5], 0x90
	s_mul_i32 s1, s8, s1
	s_mul_hi_u32 s2, s8, s0
	s_add_i32 s1, s2, s1
	s_mul_i32 s2, s9, s0
	s_add_i32 s1, s1, s2
	s_mul_i32 s0, s8, s0
	s_lshl_b64 s[56:57], s[0:1], 2
	s_waitcnt lgkmcnt(0)
	s_add_u32 s36, s14, s56
	s_addc_u32 s37, s15, s57
	s_load_dword s0, s[36:37], 0x8
	s_waitcnt lgkmcnt(0)
	v_cvt_i32_f32_e32 v1, s0
	v_cmp_ge_i32_e32 vcc, s7, v1
	s_cbranch_vccnz .LBB39_179
; %bb.8:
	s_load_dwordx4 s[40:43], s[4:5], 0x0
	s_load_dwordx8 s[24:31], s[4:5], 0x10
                                        ; implicit-def: $vgpr31 : SGPR spill to VGPR lane
	v_lshlrev_b32_e32 v8, 2, v0
	v_mul_lo_u32 v14, v0, s23
	v_mul_lo_u32 v16, v0, s39
	s_waitcnt lgkmcnt(0)
	s_mul_i32 s0, s8, s40
	s_lshl_b32 s0, s0, 1
	s_ashr_i32 s1, s0, 31
	s_lshl_b64 s[0:1], s[0:1], 2
	s_mul_i32 s2, s8, s27
	s_mul_hi_u32 s3, s8, s26
	s_add_u32 s6, s12, s0
	s_addc_u32 s20, s13, s1
	s_add_i32 s0, s3, s2
	s_mul_i32 s1, s9, s26
	s_add_i32 s1, s0, s1
	s_mul_i32 s0, s8, s26
	s_lshl_b64 s[0:1], s[0:1], 2
	s_add_u32 s22, s24, s0
	s_addc_u32 s33, s25, s1
	s_mul_i32 s0, s8, s31
	s_mul_hi_u32 s1, s8, s30
	s_add_i32 s0, s1, s0
	s_mul_i32 s1, s9, s30
	s_add_i32 s1, s0, s1
	s_mul_i32 s0, s8, s30
	v_writelane_b32 v31, s0, 0
	s_lshl_b64 s[10:11], s[0:1], 2
	s_add_u32 s38, s28, s10
	s_addc_u32 s40, s29, s11
	s_cmp_lg_u32 s41, 0
	s_cselect_b64 s[26:27], -1, 0
	s_or_b32 s8, s43, s42
	s_cmp_eq_u32 s8, 0
	v_writelane_b32 v31, s1, 1
	s_cselect_b64 s[8:9], -1, 0
	v_writelane_b32 v31, s8, 2
	s_cmp_lg_u64 s[44:45], 0
	v_writelane_b32 v31, s9, 3
	s_cselect_b64 s[8:9], -1, 0
	s_and_b64 s[88:89], s[26:27], s[8:9]
	s_add_u32 s8, s4, 0xb8
	s_addc_u32 s9, s5, 0
	v_writelane_b32 v31, s8, 4
	s_cmp_lg_u64 s[34:35], 0
	v_writelane_b32 v31, s9, 5
	s_cselect_b64 s[8:9], -1, 0
	s_cmp_lg_u32 s42, 0
	s_cselect_b64 s[12:13], -1, 0
	s_and_b64 s[92:93], s[12:13], s[8:9]
	v_cmp_gt_i32_e64 s[8:9], s42, v0
	v_writelane_b32 v31, s8, 6
	s_cmp_lg_u64 s[46:47], 0
	v_writelane_b32 v31, s9, 7
	s_cselect_b64 s[8:9], -1, 0
	s_cmp_lg_u32 s43, 0
	s_cselect_b64 s[12:13], -1, 0
	s_and_b64 s[50:51], s[12:13], s[8:9]
	v_cmp_gt_i32_e64 s[8:9], s43, v0
	s_add_u32 s18, s14, s56
	v_writelane_b32 v31, s8, 8
	s_addc_u32 s19, s15, s57
	v_writelane_b32 v31, s9, 9
	s_load_dwordx2 s[56:57], s[4:5], 0x78
	s_load_dwordx2 s[58:59], s[4:5], 0x84
	s_load_dword s82, s[4:5], 0xa0
	s_load_dword s8, s[4:5], 0xbc
	s_add_u32 s4, s18, 12
	v_writelane_b32 v31, s4, 10
	s_addc_u32 s4, s19, 0
	v_writelane_b32 v31, s4, 11
	s_add_u32 s4, s28, -4
	s_addc_u32 s5, s29, -1
	v_writelane_b32 v31, s4, 12
	s_add_u32 s4, s4, s10
	v_writelane_b32 v31, s4, 13
	v_writelane_b32 v31, s5, 14
	s_addc_u32 s4, s5, s11
	v_mov_b32_e32 v2, s33
	v_add_co_u32_e32 v10, vcc, s22, v8
	v_writelane_b32 v31, s4, 15
	s_add_u32 s4, s22, -4
	v_addc_co_u32_e32 v11, vcc, 0, v2, vcc
	v_writelane_b32 v31, s4, 16
	s_addc_u32 s4, s33, -1
	s_movk_i32 s0, 0x80
	v_mov_b32_e32 v2, s40
	v_add_co_u32_e32 v12, vcc, s38, v8
	v_writelane_b32 v31, s4, 17
	s_add_u32 s4, s18, 20
	v_cmp_gt_u32_e64 s[0:1], s0, v0
	v_cmp_gt_u32_e64 s[2:3], 64, v0
	v_cmp_eq_u32_e64 s[16:17], 0, v0
	v_cmp_gt_i32_e64 s[90:91], s41, v0
	v_mov_b32_e32 v9, 0
	v_addc_co_u32_e32 v13, vcc, 0, v2, vcc
	v_writelane_b32 v31, s4, 18
	s_addc_u32 s4, s19, 0
	v_add_u32_e32 v15, -1, v14
	v_add_u32_e32 v17, -1, v16
	s_mov_b32 s10, 0xf800000
	v_mov_b32_e32 v18, 0x260
	v_mov_b32_e32 v19, 1
	v_writelane_b32 v31, s4, 19
	s_branch .LBB39_11
.LBB39_9:                               ;   in Loop: Header=BB39_11 Depth=1
	s_or_b64 exec, exec, s[12:13]
.LBB39_10:                              ;   in Loop: Header=BB39_11 Depth=1
	s_waitcnt lgkmcnt(0)
	s_add_i32 s7, s8, s7
	v_cmp_lt_i32_e32 vcc, s7, v1
	s_cbranch_vccz .LBB39_179
.LBB39_11:                              ; =>This Loop Header: Depth=1
                                        ;     Child Loop BB39_15 Depth 2
                                        ;     Child Loop BB39_40 Depth 2
                                        ;     Child Loop BB39_67 Depth 2
                                        ;     Child Loop BB39_124 Depth 2
                                        ;     Child Loop BB39_162 Depth 2
                                        ;       Child Loop BB39_164 Depth 3
                                        ;     Child Loop BB39_169 Depth 2
                                        ;       Child Loop BB39_171 Depth 3
                                        ;     Child Loop BB39_176 Depth 2
                                        ;       Child Loop BB39_178 Depth 3
	s_lshl_b32 s4, s7, 2
	s_ashr_i32 s5, s4, 31
	s_lshl_b64 s[4:5], s[4:5], 2
	s_add_u32 s12, s6, s4
	s_addc_u32 s13, s20, s5
	global_load_dwordx2 v[2:3], v9, s[12:13] offset:4
	s_waitcnt vmcnt(0)
	v_readfirstlane_b32 s62, v2
	v_readfirstlane_b32 s60, v3
	s_cmp_le_i32 s60, s62
	s_cbranch_scc1 .LBB39_10
; %bb.12:                               ;   in Loop: Header=BB39_11 Depth=1
	global_load_dword v2, v9, s[12:13] offset:12
	s_waitcnt vmcnt(0) lgkmcnt(0)
	v_cmp_le_i32_e32 vcc, s56, v2
	s_cbranch_vccnz .LBB39_10
; %bb.13:                               ;   in Loop: Header=BB39_11 Depth=1
	s_sub_i32 s28, s60, s62
	s_ashr_i32 s63, s62, 31
	v_cmp_ge_i32_e32 vcc, s28, v0
	v_mov_b32_e32 v4, 0
	s_and_saveexec_b64 s[4:5], vcc
	s_cbranch_execz .LBB39_17
; %bb.14:                               ;   in Loop: Header=BB39_11 Depth=1
	s_lshl_b64 s[14:15], s[62:63], 2
	v_mov_b32_e32 v3, s15
	v_add_co_u32_e32 v2, vcc, s14, v10
	v_addc_co_u32_e32 v3, vcc, v11, v3, vcc
	s_mov_b64 s[14:15], 0
	v_mov_b32_e32 v4, 0
	v_mov_b32_e32 v5, v0
.LBB39_15:                              ;   Parent Loop BB39_11 Depth=1
                                        ; =>  This Inner Loop Header: Depth=2
	global_load_dword v6, v[2:3], off
	v_add_co_u32_e32 v2, vcc, 0x400, v2
	v_add_u32_e32 v5, 0x100, v5
	v_addc_co_u32_e32 v3, vcc, 0, v3, vcc
	v_cmp_lt_i32_e32 vcc, s28, v5
	s_or_b64 s[14:15], vcc, s[14:15]
	s_waitcnt vmcnt(0)
	v_cmp_lt_f32_e64 s[24:25], v4, |v6|
	v_cndmask_b32_e64 v4, v4, |v6|, s[24:25]
	s_andn2_b64 exec, exec, s[14:15]
	s_cbranch_execnz .LBB39_15
; %bb.16:                               ;   in Loop: Header=BB39_11 Depth=1
	s_or_b64 exec, exec, s[14:15]
.LBB39_17:                              ;   in Loop: Header=BB39_11 Depth=1
	s_or_b64 exec, exec, s[4:5]
	s_cmp_lt_i32 s28, 1
	ds_write_b32 v8, v4
	s_waitcnt lgkmcnt(0)
	s_barrier
	s_cbranch_scc1 .LBB39_38
; %bb.18:                               ;   in Loop: Header=BB39_11 Depth=1
	s_and_saveexec_b64 s[4:5], s[0:1]
	s_cbranch_execz .LBB39_22
; %bb.19:                               ;   in Loop: Header=BB39_11 Depth=1
	ds_read_b32 v2, v8 offset:512
	s_waitcnt lgkmcnt(0)
	v_cmp_lt_f32_e32 vcc, v4, v2
	s_and_saveexec_b64 s[14:15], vcc
	s_cbranch_execz .LBB39_21
; %bb.20:                               ;   in Loop: Header=BB39_11 Depth=1
	v_mov_b32_e32 v4, v2
	ds_write_b32 v8, v2
.LBB39_21:                              ;   in Loop: Header=BB39_11 Depth=1
	s_or_b64 exec, exec, s[14:15]
.LBB39_22:                              ;   in Loop: Header=BB39_11 Depth=1
	s_or_b64 exec, exec, s[4:5]
	s_waitcnt lgkmcnt(0)
	s_barrier
	s_and_saveexec_b64 s[4:5], s[2:3]
	s_cbranch_execz .LBB39_37
; %bb.23:                               ;   in Loop: Header=BB39_11 Depth=1
	ds_read_b32 v2, v8 offset:256
	s_waitcnt lgkmcnt(0)
	v_cmp_lt_f32_e32 vcc, v4, v2
	s_and_saveexec_b64 s[14:15], vcc
	s_cbranch_execz .LBB39_25
; %bb.24:                               ;   in Loop: Header=BB39_11 Depth=1
	v_mov_b32_e32 v4, v2
	ds_write_b32 v8, v2
.LBB39_25:                              ;   in Loop: Header=BB39_11 Depth=1
	s_or_b64 exec, exec, s[14:15]
	ds_read_b32 v2, v8 offset:128
	s_waitcnt lgkmcnt(0)
	v_cmp_lt_f32_e32 vcc, v4, v2
	s_and_saveexec_b64 s[14:15], vcc
	s_cbranch_execz .LBB39_27
; %bb.26:                               ;   in Loop: Header=BB39_11 Depth=1
	v_mov_b32_e32 v4, v2
	ds_write_b32 v8, v2
.LBB39_27:                              ;   in Loop: Header=BB39_11 Depth=1
	s_or_b64 exec, exec, s[14:15]
	;; [unrolled: 10-line block ×6, first 2 shown]
	ds_read_b32 v2, v8 offset:4
	s_waitcnt lgkmcnt(0)
	v_cmp_lt_f32_e32 vcc, v4, v2
	s_and_b64 exec, exec, vcc
	s_cbranch_execz .LBB39_37
; %bb.36:                               ;   in Loop: Header=BB39_11 Depth=1
	ds_write_b32 v8, v2
.LBB39_37:                              ;   in Loop: Header=BB39_11 Depth=1
	s_or_b64 exec, exec, s[4:5]
.LBB39_38:                              ;   in Loop: Header=BB39_11 Depth=1
	v_cmp_gt_i32_e32 vcc, s28, v0
	v_mov_b32_e32 v4, 0
	s_waitcnt lgkmcnt(0)
	s_barrier
	s_and_saveexec_b64 s[4:5], vcc
	s_cbranch_execz .LBB39_42
; %bb.39:                               ;   in Loop: Header=BB39_11 Depth=1
	s_lshl_b64 s[14:15], s[62:63], 2
	v_mov_b32_e32 v3, s15
	v_add_co_u32_e32 v2, vcc, s14, v12
	v_addc_co_u32_e32 v3, vcc, v13, v3, vcc
	s_mov_b64 s[14:15], 0
	v_mov_b32_e32 v4, 0
	v_mov_b32_e32 v5, v0
.LBB39_40:                              ;   Parent Loop BB39_11 Depth=1
                                        ; =>  This Inner Loop Header: Depth=2
	global_load_dword v6, v[2:3], off
	v_add_co_u32_e32 v2, vcc, 0x400, v2
	v_add_u32_e32 v5, 0x100, v5
	v_addc_co_u32_e32 v3, vcc, 0, v3, vcc
	v_cmp_le_i32_e32 vcc, s28, v5
	s_or_b64 s[14:15], vcc, s[14:15]
	s_waitcnt vmcnt(0)
	v_cmp_lt_f32_e64 s[24:25], v4, |v6|
	v_cndmask_b32_e64 v4, v4, |v6|, s[24:25]
	s_andn2_b64 exec, exec, s[14:15]
	s_cbranch_execnz .LBB39_40
; %bb.41:                               ;   in Loop: Header=BB39_11 Depth=1
	s_or_b64 exec, exec, s[14:15]
.LBB39_42:                              ;   in Loop: Header=BB39_11 Depth=1
	s_or_b64 exec, exec, s[4:5]
	s_cmp_lt_i32 s28, 2
	ds_write_b32 v8, v4 offset:4
	s_waitcnt lgkmcnt(0)
	s_barrier
	s_cbranch_scc1 .LBB39_63
; %bb.43:                               ;   in Loop: Header=BB39_11 Depth=1
	s_and_saveexec_b64 s[4:5], s[0:1]
	s_cbranch_execz .LBB39_47
; %bb.44:                               ;   in Loop: Header=BB39_11 Depth=1
	ds_read_b32 v2, v8 offset:516
	s_waitcnt lgkmcnt(0)
	v_cmp_lt_f32_e32 vcc, v4, v2
	s_and_saveexec_b64 s[14:15], vcc
	s_cbranch_execz .LBB39_46
; %bb.45:                               ;   in Loop: Header=BB39_11 Depth=1
	v_mov_b32_e32 v4, v2
	ds_write_b32 v8, v2 offset:4
.LBB39_46:                              ;   in Loop: Header=BB39_11 Depth=1
	s_or_b64 exec, exec, s[14:15]
.LBB39_47:                              ;   in Loop: Header=BB39_11 Depth=1
	s_or_b64 exec, exec, s[4:5]
	s_waitcnt lgkmcnt(0)
	s_barrier
	s_and_saveexec_b64 s[4:5], s[2:3]
	s_cbranch_execz .LBB39_62
; %bb.48:                               ;   in Loop: Header=BB39_11 Depth=1
	ds_read_b32 v2, v8 offset:260
	s_waitcnt lgkmcnt(0)
	v_cmp_lt_f32_e32 vcc, v4, v2
	s_and_saveexec_b64 s[14:15], vcc
	s_cbranch_execz .LBB39_50
; %bb.49:                               ;   in Loop: Header=BB39_11 Depth=1
	v_mov_b32_e32 v4, v2
	ds_write_b32 v8, v2 offset:4
.LBB39_50:                              ;   in Loop: Header=BB39_11 Depth=1
	s_or_b64 exec, exec, s[14:15]
	ds_read_b32 v2, v8 offset:132
	s_waitcnt lgkmcnt(0)
	v_cmp_lt_f32_e32 vcc, v4, v2
	s_and_saveexec_b64 s[14:15], vcc
	s_cbranch_execz .LBB39_52
; %bb.51:                               ;   in Loop: Header=BB39_11 Depth=1
	v_mov_b32_e32 v4, v2
	ds_write_b32 v8, v2 offset:4
.LBB39_52:                              ;   in Loop: Header=BB39_11 Depth=1
	s_or_b64 exec, exec, s[14:15]
	;; [unrolled: 10-line block ×6, first 2 shown]
	ds_read_b32 v2, v8 offset:8
	s_waitcnt lgkmcnt(0)
	v_cmp_lt_f32_e32 vcc, v4, v2
	s_and_b64 exec, exec, vcc
	s_cbranch_execz .LBB39_62
; %bb.61:                               ;   in Loop: Header=BB39_11 Depth=1
	ds_write_b32 v8, v2 offset:4
.LBB39_62:                              ;   in Loop: Header=BB39_11 Depth=1
	s_or_b64 exec, exec, s[4:5]
.LBB39_63:                              ;   in Loop: Header=BB39_11 Depth=1
	s_lshl_b64 s[64:65], s[62:63], 2
	s_add_u32 s11, s38, s64
	s_addc_u32 s9, s40, s65
	s_add_u32 s14, s22, s64
	s_addc_u32 s15, s33, s65
	s_waitcnt lgkmcnt(0)
	s_barrier
	s_and_saveexec_b64 s[66:67], s[16:17]
	s_cbranch_execz .LBB39_78
; %bb.64:                               ;   in Loop: Header=BB39_11 Depth=1
	s_ashr_i32 s61, s60, 31
	s_lshl_b64 s[4:5], s[60:61], 2
	s_add_u32 s4, s22, s4
	s_addc_u32 s5, s33, s5
	global_load_dword v3, v9, s[14:15]
	global_load_dword v4, v9, s[4:5]
	s_ashr_i32 s29, s28, 31
	s_lshl_b64 s[4:5], s[28:29], 2
	s_add_u32 s21, s14, s4
	s_addc_u32 s29, s15, s5
	s_waitcnt vmcnt(0)
	v_cmp_ge_f32_e64 s[4:5], |v3|, |v4|
	s_and_b64 s[24:25], s[4:5], exec
	s_cselect_b32 s25, s15, s29
	s_cselect_b32 s24, s14, s21
	global_load_dword v5, v9, s[24:25]
	v_cndmask_b32_e64 v2, 0, 1, s[4:5]
	ds_write_b32 v9, v2 offset:1028
	s_cmp_lt_i32 s28, 1
	s_waitcnt vmcnt(0)
	v_and_b32_e32 v2, 0x7fffffff, v5
	s_cbranch_scc1 .LBB39_71
; %bb.65:                               ;   in Loop: Header=BB39_11 Depth=1
	s_not_b32 s21, s62
	s_add_i32 s21, s21, s60
	s_mov_b32 s24, 0
	v_mov_b32_e32 v5, v2
	s_branch .LBB39_67
.LBB39_66:                              ;   in Loop: Header=BB39_67 Depth=2
	s_add_i32 s24, s24, 1
	s_and_b64 s[48:49], s[4:5], exec
	s_cselect_b32 s48, s24, s21
	s_ashr_i32 s49, s48, 31
	s_lshl_b64 s[48:49], s[48:49], 2
	s_add_u32 s48, s14, s48
	s_addc_u32 s49, s15, s49
	global_load_dword v7, v9, s[48:49]
	v_add_f32_e64 v6, v5, |v6|
	v_div_scale_f32 v20, s[48:49], v6, v6, v5
	v_rcp_f32_e32 v21, v20
	v_div_scale_f32 v22, vcc, v5, v6, v5
	s_add_i32 s21, s21, -1
	v_fma_f32 v23, -v20, v21, 1.0
	v_fmac_f32_e32 v21, v23, v21
	v_mul_f32_e32 v23, v22, v21
	v_fma_f32 v24, -v20, v23, v22
	v_fmac_f32_e32 v23, v24, v21
	v_fma_f32 v20, -v20, v23, v22
	v_div_fmas_f32 v20, v20, v21, v23
	v_div_fixup_f32 v5, v20, v6, v5
	s_cmp_eq_u32 s21, -1
	s_mov_b64 s[68:69], 0
	s_cselect_b64 s[70:71], -1, 0
	s_waitcnt vmcnt(0)
	v_mul_f32_e64 v5, v5, |v7|
	v_cmp_lt_f32_e32 vcc, v5, v2
	v_cndmask_b32_e32 v2, v2, v5, vcc
	s_andn2_b64 vcc, exec, s[70:71]
	s_cbranch_vccz .LBB39_69
.LBB39_67:                              ;   Parent Loop BB39_11 Depth=1
                                        ; =>  This Inner Loop Header: Depth=2
	s_and_b64 s[30:31], s[4:5], exec
	s_cselect_b32 s30, s24, s21
	s_ashr_i32 s31, s30, 31
	s_lshl_b64 s[30:31], s[30:31], 2
	s_add_u32 s30, s11, s30
	s_addc_u32 s31, s9, s31
	global_load_dword v6, v9, s[30:31]
	v_mul_f32_e32 v7, s58, v5
	s_waitcnt vmcnt(0)
	v_cmp_nle_f32_e64 s[48:49], |v6|, v7
	s_and_b64 vcc, exec, s[48:49]
	s_cbranch_vccnz .LBB39_66
; %bb.68:                               ;   in Loop: Header=BB39_11 Depth=1
	s_mov_b64 s[68:69], -1
                                        ; implicit-def: $vgpr5
                                        ; implicit-def: $sgpr21
                                        ; implicit-def: $sgpr24
                                        ; implicit-def: $vgpr2
.LBB39_69:                              ;   in Loop: Header=BB39_11 Depth=1
	s_and_b64 vcc, exec, s[68:69]
	s_cbranch_vccz .LBB39_71
; %bb.70:                               ;   in Loop: Header=BB39_11 Depth=1
	v_mov_b32_e32 v2, -1.0
	global_store_dword v9, v9, s[30:31]
.LBB39_71:                              ;   in Loop: Header=BB39_11 Depth=1
	v_cmp_nle_f32_e32 vcc, 0, v2
	v_and_b32_e32 v3, 0x7fffffff, v3
	v_and_b32_e32 v4, 0x7fffffff, v4
	ds_write_b32 v9, v2 offset:1032
	ds_write_b8 v9, v9 offset:1036
	s_cbranch_vccnz .LBB39_78
; %bb.72:                               ;   in Loop: Header=BB39_11 Depth=1
	ds_read_b64 v[6:7], v9
	s_mov_b64 s[30:31], -1
	s_waitcnt lgkmcnt(0)
	v_cmp_lt_f32_e32 vcc, v6, v7
	v_cndmask_b32_e32 v5, v6, v7, vcc
	v_div_scale_f32 v6, s[24:25], v5, v5, v2
	v_rcp_f32_e32 v7, v6
	v_div_scale_f32 v20, vcc, v2, v5, v2
	v_fma_f32 v21, -v6, v7, 1.0
	v_fmac_f32_e32 v7, v21, v7
	v_mul_f32_e32 v21, v20, v7
	v_fma_f32 v22, -v6, v21, v20
	v_fmac_f32_e32 v21, v22, v7
	v_fma_f32 v6, -v6, v21, v20
	v_div_fmas_f32 v6, v6, v7, v21
	v_div_fixup_f32 v5, v6, v5, v2
	v_cmp_ge_f32_e32 vcc, s59, v5
	s_cbranch_vccnz .LBB39_75
; %bb.73:                               ;   in Loop: Header=BB39_11 Depth=1
	v_cndmask_b32_e64 v3, v4, v3, s[4:5]
	v_cmp_lt_f32_e32 vcc, 0, v3
	s_mov_b64 s[30:31], 0
	s_cbranch_vccz .LBB39_75
; %bb.74:                               ;   in Loop: Header=BB39_11 Depth=1
	v_mul_f32_e32 v2, v2, v2
	v_div_scale_f32 v4, s[4:5], v3, v3, v2
	v_rcp_f32_e32 v5, v4
	v_div_scale_f32 v6, vcc, v2, v3, v2
	v_fma_f32 v7, -v4, v5, 1.0
	v_fmac_f32_e32 v5, v7, v5
	v_mul_f32_e32 v7, v6, v5
	v_fma_f32 v20, -v4, v7, v6
	v_fmac_f32_e32 v7, v20, v5
	v_fma_f32 v4, -v4, v7, v6
	v_div_fmas_f32 v4, v4, v5, v7
	v_div_fixup_f32 v2, v4, v3, v2
	v_div_scale_f32 v4, s[4:5], v3, v3, v2
	v_rcp_f32_e32 v5, v4
	v_fma_f32 v6, -v4, v5, 1.0
	v_fmac_f32_e32 v5, v6, v5
	v_div_scale_f32 v6, vcc, v2, v3, v2
	v_mul_f32_e32 v7, v6, v5
	v_fma_f32 v20, -v4, v7, v6
	v_fmac_f32_e32 v7, v20, v5
	v_fma_f32 v4, -v4, v7, v6
	v_div_fmas_f32 v4, v4, v5, v7
	v_div_fixup_f32 v2, v4, v3, v2
	v_cmp_gt_f32_e64 s[30:31], s57, v2
.LBB39_75:                              ;   in Loop: Header=BB39_11 Depth=1
	s_and_b64 vcc, exec, s[30:31]
	s_cbranch_vccz .LBB39_77
; %bb.76:                               ;   in Loop: Header=BB39_11 Depth=1
	ds_write_b32 v9, v9 offset:1032
.LBB39_77:                              ;   in Loop: Header=BB39_11 Depth=1
	ds_write_b8 v9, v19 offset:1036
.LBB39_78:                              ;   in Loop: Header=BB39_11 Depth=1
	s_or_b64 exec, exec, s[66:67]
	s_waitcnt lgkmcnt(0)
	s_barrier
	ds_read_u8 v2, v9 offset:1036
	s_mov_b64 s[4:5], -1
	s_waitcnt lgkmcnt(0)
	v_cmp_eq_u32_e32 vcc, 0, v2
	s_cbranch_vccz .LBB39_82
; %bb.79:                               ;   in Loop: Header=BB39_11 Depth=1
	s_and_saveexec_b64 s[4:5], s[16:17]
	s_cbranch_execz .LBB39_81
; %bb.80:                               ;   in Loop: Header=BB39_11 Depth=1
	global_store_dword v9, v9, s[12:13]
.LBB39_81:                              ;   in Loop: Header=BB39_11 Depth=1
	s_or_b64 exec, exec, s[4:5]
	s_mov_b64 s[4:5], 0
.LBB39_82:                              ;   in Loop: Header=BB39_11 Depth=1
	s_andn2_b64 vcc, exec, s[4:5]
	s_cbranch_vccnz .LBB39_10
; %bb.83:                               ;   in Loop: Header=BB39_11 Depth=1
	ds_read_b32 v2, v9 offset:1028
	s_waitcnt lgkmcnt(0)
	v_readfirstlane_b32 s66, v2
	s_and_saveexec_b64 s[4:5], s[16:17]
	s_cbranch_execz .LBB39_85
; %bb.84:                               ;   in Loop: Header=BB39_11 Depth=1
	s_cmp_eq_u32 s66, 0
	s_cselect_b32 s21, -1, 1
	v_mov_b32_e32 v2, s21
	global_store_dword v9, v2, s[12:13]
.LBB39_85:                              ;   in Loop: Header=BB39_11 Depth=1
	s_or_b64 exec, exec, s[4:5]
	s_add_i32 s78, s28, 1
	s_mul_i32 s68, s62, s82
	s_sub_i32 s76, 1, s66
	s_ashr_i32 s69, s68, 31
	s_sub_i32 s70, s66, s76
	s_lshl_b32 s12, s78, 1
	s_and_b64 s[4:5], s[26:27], exec
	s_cselect_b32 s29, s12, 0
	s_and_saveexec_b64 s[72:73], s[16:17]
	s_cbranch_execz .LBB39_156
; %bb.86:                               ;   in Loop: Header=BB39_11 Depth=1
	s_cmp_lg_u32 s66, 0
	s_cselect_b64 s[74:75], -1, 0
	s_and_b64 s[4:5], s[74:75], exec
	s_cselect_b32 s84, 0, s28
	s_ashr_i32 s85, s84, 31
	s_lshl_b64 s[4:5], s[84:85], 2
	s_add_u32 s14, s14, s4
	s_addc_u32 s15, s15, s5
	global_load_dword v2, v9, s[14:15]
	v_mov_b32_e32 v3, 0
	s_waitcnt vmcnt(0)
	v_cmp_eq_f32_e32 vcc, 0, v2
	s_cbranch_vccnz .LBB39_88
; %bb.87:                               ;   in Loop: Header=BB39_11 Depth=1
	ds_read_b32 v3, v9 offset:1032
	v_cmp_lt_f32_e32 vcc, 0, v2
	v_cndmask_b32_e64 v4, 0, 1, vcc
	v_cmp_gt_f32_e32 vcc, 0, v2
	v_subbrev_co_u32_e32 v4, vcc, 0, v4, vcc
	s_waitcnt lgkmcnt(0)
	v_div_scale_f32 v5, s[4:5], v2, v2, v3
	v_rcp_f32_e32 v6, v5
	v_cvt_f32_i32_e32 v4, v4
	v_sub_f32_e64 v7, |v2|, v3
	v_fma_f32 v20, -v5, v6, 1.0
	v_fmac_f32_e32 v6, v20, v6
	v_div_scale_f32 v20, vcc, v3, v2, v3
	v_mul_f32_e32 v21, v20, v6
	v_fma_f32 v22, -v5, v21, v20
	v_fmac_f32_e32 v21, v22, v6
	v_fma_f32 v5, -v5, v21, v20
	v_div_fmas_f32 v5, v5, v6, v21
	v_div_fixup_f32 v3, v5, v2, v3
	v_add_f32_e32 v3, v3, v4
	v_mul_f32_e32 v3, v7, v3
.LBB39_88:                              ;   in Loop: Header=BB39_11 Depth=1
	s_cmp_gt_i32 s28, 0
	s_cbranch_scc1 .LBB39_90
; %bb.89:                               ;   in Loop: Header=BB39_11 Depth=1
	s_add_i32 s61, s28, -1
	s_cbranch_execz .LBB39_91
	s_branch .LBB39_155
.LBB39_90:                              ;   in Loop: Header=BB39_11 Depth=1
                                        ; implicit-def: $sgpr61
.LBB39_91:                              ;   in Loop: Header=BB39_11 Depth=1
	s_ashr_i32 s67, s66, 31
	s_sub_u32 s12, 0, s66
	s_subb_u32 s13, 0, s67
	s_add_u32 s80, s84, s66
	s_addc_u32 s81, s85, s67
	v_writelane_b32 v31, s82, 20
	s_mov_b32 s55, s83
	s_lshl_b64 s[82:83], s[80:81], 2
	s_add_u32 s86, s11, s82
	s_addc_u32 s87, s9, s83
	global_load_dword v4, v9, s[86:87] offset:-4
	v_writelane_b32 v31, s88, 21
	v_writelane_b32 v31, s89, 22
	v_mov_b32_e32 v5, 0
	v_writelane_b32 v31, s90, 23
	v_writelane_b32 v31, s91, 24
	s_waitcnt vmcnt(0)
	v_cmp_eq_f32_e32 vcc, 0, v4
	s_cbranch_vccnz .LBB39_95
; %bb.92:                               ;   in Loop: Header=BB39_11 Depth=1
	v_cmp_eq_f32_e32 vcc, 0, v3
	v_mov_b32_e32 v6, 0
	s_cbranch_vccnz .LBB39_96
; %bb.93:                               ;   in Loop: Header=BB39_11 Depth=1
	v_cmp_gt_f32_e64 s[4:5], |v4|, |v3|
	s_and_b64 vcc, exec, s[4:5]
	s_cbranch_vccnz .LBB39_97
; %bb.94:                               ;   in Loop: Header=BB39_11 Depth=1
	v_div_scale_f32 v5, s[4:5], v3, v3, -v4
	v_rcp_f32_e32 v6, v5
	v_div_scale_f32 v7, vcc, -v4, v3, -v4
	v_fma_f32 v20, -v5, v6, 1.0
	v_fmac_f32_e32 v6, v20, v6
	v_mul_f32_e32 v20, v7, v6
	v_fma_f32 v21, -v5, v20, v7
	v_fmac_f32_e32 v20, v21, v6
	v_fma_f32 v5, -v5, v20, v7
	v_div_fmas_f32 v5, v5, v6, v20
	v_div_fixup_f32 v5, v5, v3, -v4
	v_fma_f32 v6, v5, v5, 1.0
	v_mul_f32_e32 v7, 0x4f800000, v6
	v_cmp_gt_f32_e32 vcc, s10, v6
	v_cndmask_b32_e32 v6, v6, v7, vcc
	v_sqrt_f32_e32 v7, v6
	v_add_u32_e32 v20, -1, v7
	v_fma_f32 v21, -v20, v7, v6
	v_cmp_ge_f32_e64 s[4:5], 0, v21
	v_add_u32_e32 v21, 1, v7
	v_cndmask_b32_e64 v20, v7, v20, s[4:5]
	v_fma_f32 v7, -v21, v7, v6
	v_cmp_lt_f32_e64 s[4:5], 0, v7
	v_cndmask_b32_e64 v7, v20, v21, s[4:5]
	v_mul_f32_e32 v20, 0x37800000, v7
	v_cndmask_b32_e32 v7, v7, v20, vcc
	v_cmp_class_f32_e32 vcc, v6, v18
	v_cndmask_b32_e32 v6, v7, v6, vcc
	v_div_scale_f32 v7, s[4:5], v6, v6, 1.0
	v_rcp_f32_e32 v20, v7
	s_mov_b64 s[4:5], 0
	v_fma_f32 v21, -v7, v20, 1.0
	v_fmac_f32_e32 v20, v21, v20
	v_div_scale_f32 v21, vcc, 1.0, v6, 1.0
	v_mul_f32_e32 v22, v21, v20
	v_fma_f32 v23, -v7, v22, v21
	v_fmac_f32_e32 v22, v23, v20
	v_fma_f32 v7, -v7, v22, v21
	v_div_fmas_f32 v7, v7, v20, v22
	v_div_fixup_f32 v6, v7, v6, 1.0
	v_mul_f32_e32 v5, v5, v6
	s_branch .LBB39_98
.LBB39_95:                              ;   in Loop: Header=BB39_11 Depth=1
	v_mov_b32_e32 v6, 1.0
	s_branch .LBB39_100
.LBB39_96:                              ;   in Loop: Header=BB39_11 Depth=1
	v_mov_b32_e32 v5, 1.0
	s_branch .LBB39_100
.LBB39_97:                              ;   in Loop: Header=BB39_11 Depth=1
	s_mov_b64 s[4:5], -1
                                        ; implicit-def: $vgpr5
                                        ; implicit-def: $vgpr6
.LBB39_98:                              ;   in Loop: Header=BB39_11 Depth=1
	s_andn2_b64 vcc, exec, s[4:5]
	s_cbranch_vccnz .LBB39_100
; %bb.99:                               ;   in Loop: Header=BB39_11 Depth=1
	v_div_scale_f32 v5, s[4:5], v4, v4, -v3
	v_rcp_f32_e32 v6, v5
	v_div_scale_f32 v7, vcc, -v3, v4, -v3
	v_fma_f32 v20, -v5, v6, 1.0
	v_fmac_f32_e32 v6, v20, v6
	v_mul_f32_e32 v20, v7, v6
	v_fma_f32 v21, -v5, v20, v7
	v_fmac_f32_e32 v20, v21, v6
	v_fma_f32 v5, -v5, v20, v7
	v_div_fmas_f32 v5, v5, v6, v20
	v_div_fixup_f32 v3, v5, v4, -v3
	v_fma_f32 v5, v3, v3, 1.0
	v_mul_f32_e32 v6, 0x4f800000, v5
	v_cmp_gt_f32_e32 vcc, s10, v5
	v_cndmask_b32_e32 v5, v5, v6, vcc
	v_sqrt_f32_e32 v6, v5
	v_add_u32_e32 v7, -1, v6
	v_fma_f32 v20, -v7, v6, v5
	v_cmp_ge_f32_e64 s[4:5], 0, v20
	v_add_u32_e32 v20, 1, v6
	v_cndmask_b32_e64 v7, v6, v7, s[4:5]
	v_fma_f32 v6, -v20, v6, v5
	v_cmp_lt_f32_e64 s[4:5], 0, v6
	v_cndmask_b32_e64 v6, v7, v20, s[4:5]
	v_mul_f32_e32 v7, 0x37800000, v6
	v_cndmask_b32_e32 v6, v6, v7, vcc
	v_cmp_class_f32_e32 vcc, v5, v18
	v_cndmask_b32_e32 v5, v6, v5, vcc
	v_div_scale_f32 v6, s[4:5], v5, v5, 1.0
	v_rcp_f32_e32 v7, v6
	v_fma_f32 v20, -v6, v7, 1.0
	v_fmac_f32_e32 v7, v20, v7
	v_div_scale_f32 v20, vcc, 1.0, v5, 1.0
	v_mul_f32_e32 v21, v20, v7
	v_fma_f32 v22, -v6, v21, v20
	v_fmac_f32_e32 v21, v22, v7
	v_fma_f32 v6, -v6, v21, v20
	v_div_fmas_f32 v6, v6, v7, v21
	v_div_fixup_f32 v5, v6, v5, 1.0
	v_mul_f32_e32 v6, v3, v5
.LBB39_100:                             ;   in Loop: Header=BB39_11 Depth=1
	s_lshl_b64 s[88:89], s[68:69], 2
	s_and_b64 s[4:5], s[26:27], s[74:75]
	s_add_u32 s21, s36, s88
	s_addc_u32 s24, s37, s89
	s_add_u32 s21, s21, 16
	s_addc_u32 s24, s24, 0
	s_sub_u32 s90, s66, s12
	s_subb_u32 s91, s67, s13
	v_mul_f32_e32 v3, v2, v5
	s_lshl_b64 s[12:13], s[90:91], 2
	v_fmac_f32_e32 v3, v4, v6
	s_add_u32 s94, s14, s12
	global_store_dword v9, v3, s[86:87] offset:-4
	s_addc_u32 s95, s15, s13
	global_load_dword v7, v9, s[94:95] offset:-4
	v_cndmask_b32_e64 v3, 0, 1, s[4:5]
	v_writelane_b32 v31, s92, 25
	v_cmp_ne_u32_e64 s[12:13], 1, v3
	s_andn2_b64 vcc, exec, s[4:5]
	v_writelane_b32 v31, s93, 26
	s_waitcnt vmcnt(0)
	v_mul_f32_e32 v3, v6, v7
	global_store_dword v9, v3, s[94:95] offset:-4
	s_cbranch_vccnz .LBB39_102
; %bb.101:                              ;   in Loop: Header=BB39_11 Depth=1
	s_add_u32 s4, s21, s82
	s_addc_u32 s5, s24, s83
	s_ashr_i32 s79, s78, 31
	s_lshl_b64 s[30:31], s[78:79], 2
	s_add_u32 s30, s4, s30
	s_addc_u32 s31, s5, s31
	global_store_dword v9, v6, s[4:5] offset:-4
	global_store_dword v9, v5, s[30:31] offset:-4
.LBB39_102:                             ;   in Loop: Header=BB39_11 Depth=1
	s_cmp_lg_u32 s66, 1
	s_cselect_b64 s[30:31], -1, 0
	s_cmp_eq_u32 s66, 1
	v_readlane_b32 s48, v31, 2
	s_cselect_b64 s[4:5], -1, 0
	v_readlane_b32 s49, v31, 3
	s_or_b64 s[92:93], s[48:49], s[4:5]
	s_and_b64 vcc, exec, s[92:93]
	s_cbranch_vccnz .LBB39_104
; %bb.103:                              ;   in Loop: Header=BB39_11 Depth=1
	s_ashr_i32 s5, s29, 31
	s_add_u32 s4, s80, s29
	s_addc_u32 s5, s81, s5
	s_lshl_b64 s[4:5], s[4:5], 2
	s_add_u32 s4, s21, s4
	s_addc_u32 s5, s24, s5
	s_ashr_i32 s79, s78, 31
	s_lshl_b64 s[48:49], s[78:79], 2
	s_add_u32 s48, s4, s48
	s_addc_u32 s49, s5, s49
	global_store_dword v9, v6, s[4:5] offset:-4
	global_store_dword v9, v5, s[48:49] offset:-4
.LBB39_104:                             ;   in Loop: Header=BB39_11 Depth=1
	v_mul_f32_e32 v3, v4, v5
	v_fma_f32 v3, v2, v6, -v3
	v_mul_f32_e64 v2, v7, -v5
	v_cmp_eq_f32_e32 vcc, 0, v2
	v_mov_b32_e32 v4, 0
	s_cbranch_vccnz .LBB39_108
; %bb.105:                              ;   in Loop: Header=BB39_11 Depth=1
	v_cmp_eq_f32_e32 vcc, 0, v3
	s_cbranch_vccnz .LBB39_109
; %bb.106:                              ;   in Loop: Header=BB39_11 Depth=1
	v_cmp_gt_f32_e64 s[4:5], |v2|, |v3|
	s_and_b64 vcc, exec, s[4:5]
	s_cbranch_vccnz .LBB39_110
; %bb.107:                              ;   in Loop: Header=BB39_11 Depth=1
	v_div_scale_f32 v4, s[4:5], v3, v3, -v2
	v_rcp_f32_e32 v5, v4
	v_div_scale_f32 v6, vcc, -v2, v3, -v2
	v_fma_f32 v7, -v4, v5, 1.0
	v_fmac_f32_e32 v5, v7, v5
	v_mul_f32_e32 v7, v6, v5
	v_fma_f32 v20, -v4, v7, v6
	v_fmac_f32_e32 v7, v20, v5
	v_fma_f32 v4, -v4, v7, v6
	v_div_fmas_f32 v4, v4, v5, v7
	v_div_fixup_f32 v4, v4, v3, -v2
	v_fma_f32 v5, v4, v4, 1.0
	v_mul_f32_e32 v6, 0x4f800000, v5
	v_cmp_gt_f32_e32 vcc, s10, v5
	v_cndmask_b32_e32 v5, v5, v6, vcc
	v_sqrt_f32_e32 v6, v5
	v_add_u32_e32 v7, -1, v6
	v_fma_f32 v21, -v7, v6, v5
	v_add_u32_e32 v20, 1, v6
	v_cmp_ge_f32_e64 s[4:5], 0, v21
	v_cndmask_b32_e64 v7, v6, v7, s[4:5]
	v_fma_f32 v6, -v20, v6, v5
	v_cmp_lt_f32_e64 s[4:5], 0, v6
	v_cndmask_b32_e64 v6, v7, v20, s[4:5]
	v_mul_f32_e32 v7, 0x37800000, v6
	v_cndmask_b32_e32 v6, v6, v7, vcc
	v_cmp_class_f32_e32 vcc, v5, v18
	v_cndmask_b32_e32 v5, v6, v5, vcc
	v_div_scale_f32 v6, s[4:5], v5, v5, 1.0
	v_rcp_f32_e32 v7, v6
	s_mov_b64 s[4:5], 0
	v_fma_f32 v20, -v6, v7, 1.0
	v_fmac_f32_e32 v7, v20, v7
	v_div_scale_f32 v20, vcc, 1.0, v5, 1.0
	v_mul_f32_e32 v21, v20, v7
	v_fma_f32 v22, -v6, v21, v20
	v_fmac_f32_e32 v21, v22, v7
	v_fma_f32 v6, -v6, v21, v20
	v_div_fmas_f32 v6, v6, v7, v21
	v_div_fixup_f32 v5, v6, v5, 1.0
	v_mul_f32_e32 v4, v4, v5
	s_branch .LBB39_111
.LBB39_108:                             ;   in Loop: Header=BB39_11 Depth=1
	v_mov_b32_e32 v5, 1.0
	s_branch .LBB39_115
.LBB39_109:                             ;   in Loop: Header=BB39_11 Depth=1
                                        ; implicit-def: $vgpr3
                                        ; implicit-def: $vgpr4
                                        ; implicit-def: $vgpr5
	s_cbranch_execnz .LBB39_114
	s_branch .LBB39_115
.LBB39_110:                             ;   in Loop: Header=BB39_11 Depth=1
	s_mov_b64 s[4:5], -1
                                        ; implicit-def: $vgpr4
                                        ; implicit-def: $vgpr5
.LBB39_111:                             ;   in Loop: Header=BB39_11 Depth=1
	s_andn2_b64 vcc, exec, s[4:5]
	s_cbranch_vccnz .LBB39_113
; %bb.112:                              ;   in Loop: Header=BB39_11 Depth=1
	v_div_scale_f32 v4, s[4:5], v2, v2, -v3
	v_rcp_f32_e32 v5, v4
	v_div_scale_f32 v6, vcc, -v3, v2, -v3
	v_fma_f32 v7, -v4, v5, 1.0
	v_fmac_f32_e32 v5, v7, v5
	v_mul_f32_e32 v7, v6, v5
	v_fma_f32 v20, -v4, v7, v6
	v_fmac_f32_e32 v7, v20, v5
	v_fma_f32 v4, -v4, v7, v6
	v_div_fmas_f32 v4, v4, v5, v7
	v_div_fixup_f32 v5, v4, v2, -v3
	v_fma_f32 v4, v5, v5, 1.0
	v_mul_f32_e32 v6, 0x4f800000, v4
	v_cmp_gt_f32_e32 vcc, s10, v4
	v_cndmask_b32_e32 v4, v4, v6, vcc
	v_sqrt_f32_e32 v6, v4
	v_add_u32_e32 v7, -1, v6
	v_fma_f32 v21, -v7, v6, v4
	v_add_u32_e32 v20, 1, v6
	v_cmp_ge_f32_e64 s[4:5], 0, v21
	v_cndmask_b32_e64 v7, v6, v7, s[4:5]
	v_fma_f32 v6, -v20, v6, v4
	v_cmp_lt_f32_e64 s[4:5], 0, v6
	v_cndmask_b32_e64 v6, v7, v20, s[4:5]
	v_mul_f32_e32 v7, 0x37800000, v6
	v_cndmask_b32_e32 v6, v6, v7, vcc
	v_cmp_class_f32_e32 vcc, v4, v18
	v_cndmask_b32_e32 v4, v6, v4, vcc
	v_div_scale_f32 v6, s[4:5], v4, v4, 1.0
	v_rcp_f32_e32 v7, v6
	v_fma_f32 v20, -v6, v7, 1.0
	v_fmac_f32_e32 v7, v20, v7
	v_div_scale_f32 v20, vcc, 1.0, v4, 1.0
	v_mul_f32_e32 v21, v20, v7
	v_fma_f32 v22, -v6, v21, v20
	v_fmac_f32_e32 v21, v22, v7
	v_fma_f32 v6, -v6, v21, v20
	v_div_fmas_f32 v6, v6, v7, v21
	v_div_fixup_f32 v4, v6, v4, 1.0
	v_mul_f32_e32 v5, v5, v4
.LBB39_113:                             ;   in Loop: Header=BB39_11 Depth=1
	v_mul_f32_e32 v6, v2, v4
	v_fma_f32 v3, v3, v5, -v6
	s_branch .LBB39_115
.LBB39_114:                             ;   in Loop: Header=BB39_11 Depth=1
	v_xor_b32_e32 v3, 0x80000000, v2
	v_mov_b32_e32 v5, 0
	v_mov_b32_e32 v4, 1.0
.LBB39_115:                             ;   in Loop: Header=BB39_11 Depth=1
	global_store_dword v9, v3, s[14:15]
	global_load_dword v6, v9, s[94:95] offset:-4
	s_nop 0
	global_load_dword v3, v9, s[86:87] offset:-4
	s_cmp_eq_u32 s78, 2
	s_waitcnt vmcnt(1)
	v_mul_f32_e32 v7, v5, v6
	s_waitcnt vmcnt(0)
	v_fmac_f32_e32 v7, v4, v3
	global_store_dword v9, v7, s[94:95] offset:-4
	s_cbranch_scc1 .LBB39_117
; %bb.116:                              ;   in Loop: Header=BB39_11 Depth=1
	s_ashr_i32 s71, s70, 31
	s_lshl_b64 s[4:5], s[70:71], 2
	s_add_u32 s4, s86, s4
	s_addc_u32 s5, s87, s5
	global_load_dword v7, v9, s[4:5] offset:-4
	s_waitcnt vmcnt(0)
	v_mul_f32_e64 v2, v7, -v4
	v_mul_f32_e32 v7, v5, v7
	global_store_dword v9, v7, s[4:5] offset:-4
.LBB39_117:                             ;   in Loop: Header=BB39_11 Depth=1
	s_and_b64 s[4:5], s[26:27], s[30:31]
	v_cndmask_b32_e64 v7, 0, 1, s[4:5]
	v_cmp_ne_u32_e64 s[14:15], 1, v7
	s_andn2_b64 vcc, exec, s[4:5]
	s_cbranch_vccnz .LBB39_119
; %bb.118:                              ;   in Loop: Header=BB39_11 Depth=1
	s_add_u32 s4, s21, s82
	s_addc_u32 s5, s24, s83
	s_ashr_i32 s79, s78, 31
	s_lshl_b64 s[30:31], s[78:79], 2
	s_add_u32 s30, s4, s30
	s_addc_u32 s31, s5, s31
	global_store_dword v9, v5, s[4:5] offset:-4
	global_store_dword v9, v4, s[30:31] offset:-4
.LBB39_119:                             ;   in Loop: Header=BB39_11 Depth=1
	v_readlane_b32 s30, v31, 2
	s_xor_b64 s[4:5], s[74:75], -1
	v_readlane_b32 s31, v31, 3
	s_or_b64 s[4:5], s[30:31], s[4:5]
	s_and_b64 vcc, exec, s[4:5]
	s_cbranch_vccnz .LBB39_121
; %bb.120:                              ;   in Loop: Header=BB39_11 Depth=1
	s_ashr_i32 s25, s29, 31
	s_add_u32 s30, s80, s29
	s_addc_u32 s31, s81, s25
	s_lshl_b64 s[30:31], s[30:31], 2
	s_add_u32 s30, s21, s30
	s_addc_u32 s31, s24, s31
	s_ashr_i32 s79, s78, 31
	s_lshl_b64 s[24:25], s[78:79], 2
	s_add_u32 s24, s30, s24
	s_addc_u32 s25, s31, s25
	global_store_dword v9, v5, s[30:31] offset:-4
	global_store_dword v9, v4, s[24:25] offset:-4
.LBB39_121:                             ;   in Loop: Header=BB39_11 Depth=1
	v_mul_f32_e32 v4, v4, v6
	v_fma_f32 v3, v5, v3, -v4
	s_cmp_eq_u32 s28, 1
	s_mov_b32 s61, 0
	s_cbranch_scc1 .LBB39_154
; %bb.122:                              ;   in Loop: Header=BB39_11 Depth=1
	s_xor_b64 s[80:81], s[92:93], -1
	s_xor_b64 s[82:83], s[4:5], -1
	s_add_i32 s4, s84, s70
	s_add_i32 s61, s28, -1
	s_sub_i32 s24, s84, s76
	s_ashr_i32 s5, s29, 31
	s_ashr_i32 s79, s78, 31
	s_add_u32 s21, s90, s29
	s_addc_u32 s5, s91, s5
	s_ashr_i32 s25, s24, 31
	s_add_u32 s30, s21, s24
	s_addc_u32 s31, s5, s25
	s_lshl_b64 s[30:31], s[30:31], 2
	s_add_u32 s5, s30, s88
	s_addc_u32 s21, s31, s89
	s_lshl_b64 s[30:31], s[78:79], 2
	s_add_u32 s48, s5, s30
	s_addc_u32 s49, s21, s31
	v_readlane_b32 s54, v31, 10
	s_add_u32 s71, s54, s48
	v_readlane_b32 s77, v31, 11
	s_addc_u32 s90, s77, s49
	s_lshl_b32 s48, s66, 1
	s_add_i32 s48, s48, -2
	s_ashr_i32 s49, s48, 31
	s_lshl_b64 s[78:79], s[48:49], 2
	s_or_b32 s78, s78, 4
	s_add_u32 s92, s54, s5
	s_addc_u32 s93, s77, s21
	s_lshl_b64 s[48:49], s[66:67], 3
	s_add_u32 s5, s48, s88
	s_addc_u32 s21, s49, s89
	s_lshl_b64 s[52:53], s[24:25], 2
	s_add_u32 s5, s5, s52
	s_addc_u32 s21, s21, s53
	s_add_u32 s30, s5, s30
	s_addc_u32 s31, s21, s31
	;; [unrolled: 2-line block ×4, first 2 shown]
	v_readlane_b32 s30, v31, 0
	v_readlane_b32 s31, v31, 1
	s_add_u32 s30, s30, s62
	s_addc_u32 s31, s31, s63
	s_add_u32 s24, s30, s24
	s_addc_u32 s25, s31, s25
	s_mul_i32 s21, s66, 12
	s_lshl_b64 s[24:25], s[24:25], 2
	s_mul_hi_i32 s5, s66, 12
	s_add_u32 s21, s21, s24
	s_addc_u32 s5, s5, s25
	s_ashr_i32 s77, s76, 31
	s_lshl_b64 s[24:25], s[76:77], 2
	s_sub_u32 s21, s21, s24
	s_subb_u32 s5, s5, s25
	v_readlane_b32 s24, v31, 12
	s_add_u32 s63, s24, s21
	v_readlane_b32 s21, v31, 14
	s_addc_u32 s95, s21, s5
	s_add_u32 s30, s48, s64
	s_addc_u32 s31, s49, s65
	s_add_u32 s5, s30, s52
	s_addc_u32 s24, s31, s53
	v_readlane_b32 s21, v31, 13
	s_add_u32 s21, s21, s5
	v_readlane_b32 s5, v31, 15
	s_addc_u32 s24, s5, s24
	s_add_u32 s5, s64, s52
	s_addc_u32 s48, s65, s53
	s_add_u32 s25, s38, s5
	s_addc_u32 s48, s40, s48
	s_ashr_i32 s5, s4, 31
	s_lshl_b64 s[4:5], s[4:5], 2
	s_add_u32 s30, s30, s4
	s_addc_u32 s31, s31, s5
	v_readlane_b32 s49, v31, 16
	s_add_u32 s49, s49, s30
	v_readlane_b32 s30, v31, 17
	s_addc_u32 s52, s30, s31
	s_add_u32 s4, s64, s4
	s_addc_u32 s5, s65, s5
	s_add_u32 s53, s22, s4
	s_mov_b32 s91, 1
	s_addc_u32 s54, s33, s5
	s_mov_b64 s[76:77], 0
	s_branch .LBB39_124
.LBB39_123:                             ;   in Loop: Header=BB39_124 Depth=2
	s_add_i32 s91, s91, 1
	s_add_u32 s76, s76, s78
	v_mul_f32_e32 v5, v5, v6
	s_addc_u32 s77, s77, s79
	s_cmp_eq_u32 s28, s91
	v_fma_f32 v3, v4, v3, -v5
	s_cbranch_scc1 .LBB39_154
.LBB39_124:                             ;   Parent Loop BB39_11 Depth=1
                                        ; =>  This Inner Loop Header: Depth=2
	v_cmp_eq_f32_e32 vcc, 0, v2
	v_mov_b32_e32 v4, 0
	s_cbranch_vccnz .LBB39_128
; %bb.125:                              ;   in Loop: Header=BB39_124 Depth=2
	v_cmp_neq_f32_e32 vcc, 0, v3
	s_cbranch_vccz .LBB39_129
; %bb.126:                              ;   in Loop: Header=BB39_124 Depth=2
	v_cmp_ngt_f32_e64 s[4:5], |v2|, |v3|
	s_and_b64 vcc, exec, s[4:5]
	s_cbranch_vccz .LBB39_130
; %bb.127:                              ;   in Loop: Header=BB39_124 Depth=2
	v_div_scale_f32 v4, s[4:5], v3, v3, -v2
	v_rcp_f32_e32 v5, v4
	v_div_scale_f32 v6, vcc, -v2, v3, -v2
	v_fma_f32 v7, -v4, v5, 1.0
	v_fmac_f32_e32 v5, v7, v5
	v_mul_f32_e32 v7, v6, v5
	v_fma_f32 v20, -v4, v7, v6
	v_fmac_f32_e32 v7, v20, v5
	v_fma_f32 v4, -v4, v7, v6
	v_div_fmas_f32 v4, v4, v5, v7
	v_div_fixup_f32 v4, v4, v3, -v2
	v_fma_f32 v5, v4, v4, 1.0
	v_mul_f32_e32 v6, 0x4f800000, v5
	v_cmp_gt_f32_e32 vcc, s10, v5
	v_cndmask_b32_e32 v5, v5, v6, vcc
	v_sqrt_f32_e32 v6, v5
	v_add_u32_e32 v7, -1, v6
	v_fma_f32 v21, -v7, v6, v5
	v_add_u32_e32 v20, 1, v6
	v_cmp_ge_f32_e64 s[4:5], 0, v21
	v_cndmask_b32_e64 v7, v6, v7, s[4:5]
	v_fma_f32 v6, -v20, v6, v5
	v_cmp_lt_f32_e64 s[4:5], 0, v6
	v_cndmask_b32_e64 v6, v7, v20, s[4:5]
	v_mul_f32_e32 v7, 0x37800000, v6
	v_cndmask_b32_e32 v6, v6, v7, vcc
	v_cmp_class_f32_e32 vcc, v5, v18
	v_cndmask_b32_e32 v5, v6, v5, vcc
	v_div_scale_f32 v6, s[4:5], v5, v5, 1.0
	v_rcp_f32_e32 v7, v6
	v_fma_f32 v20, -v6, v7, 1.0
	v_fmac_f32_e32 v7, v20, v7
	v_div_scale_f32 v20, vcc, 1.0, v5, 1.0
	v_mul_f32_e32 v21, v20, v7
	v_fma_f32 v22, -v6, v21, v20
	v_fmac_f32_e32 v21, v22, v7
	v_fma_f32 v6, -v6, v21, v20
	v_div_fmas_f32 v6, v6, v7, v21
	v_div_fixup_f32 v5, v6, v5, 1.0
	v_mul_f32_e32 v4, v4, v5
	s_cbranch_execz .LBB39_131
	s_branch .LBB39_132
.LBB39_128:                             ;   in Loop: Header=BB39_124 Depth=2
	v_mov_b32_e32 v5, 1.0
	s_branch .LBB39_134
.LBB39_129:                             ;   in Loop: Header=BB39_124 Depth=2
                                        ; implicit-def: $vgpr3
                                        ; implicit-def: $vgpr4
                                        ; implicit-def: $vgpr5
	s_cbranch_execnz .LBB39_133
	s_branch .LBB39_134
.LBB39_130:                             ;   in Loop: Header=BB39_124 Depth=2
                                        ; implicit-def: $vgpr4
                                        ; implicit-def: $vgpr5
.LBB39_131:                             ;   in Loop: Header=BB39_124 Depth=2
	v_div_scale_f32 v4, s[4:5], v2, v2, -v3
	v_rcp_f32_e32 v5, v4
	v_div_scale_f32 v6, vcc, -v3, v2, -v3
	v_fma_f32 v7, -v4, v5, 1.0
	v_fmac_f32_e32 v5, v7, v5
	v_mul_f32_e32 v7, v6, v5
	v_fma_f32 v20, -v4, v7, v6
	v_fmac_f32_e32 v7, v20, v5
	v_fma_f32 v4, -v4, v7, v6
	v_div_fmas_f32 v4, v4, v5, v7
	v_div_fixup_f32 v5, v4, v2, -v3
	v_fma_f32 v4, v5, v5, 1.0
	v_mul_f32_e32 v6, 0x4f800000, v4
	v_cmp_gt_f32_e32 vcc, s10, v4
	v_cndmask_b32_e32 v4, v4, v6, vcc
	v_sqrt_f32_e32 v6, v4
	v_add_u32_e32 v7, -1, v6
	v_fma_f32 v21, -v7, v6, v4
	v_add_u32_e32 v20, 1, v6
	v_cmp_ge_f32_e64 s[4:5], 0, v21
	v_cndmask_b32_e64 v7, v6, v7, s[4:5]
	v_fma_f32 v6, -v20, v6, v4
	v_cmp_lt_f32_e64 s[4:5], 0, v6
	v_cndmask_b32_e64 v6, v7, v20, s[4:5]
	v_mul_f32_e32 v7, 0x37800000, v6
	v_cndmask_b32_e32 v6, v6, v7, vcc
	v_cmp_class_f32_e32 vcc, v4, v18
	v_cndmask_b32_e32 v4, v6, v4, vcc
	v_div_scale_f32 v6, s[4:5], v4, v4, 1.0
	v_rcp_f32_e32 v7, v6
	v_fma_f32 v20, -v6, v7, 1.0
	v_fmac_f32_e32 v7, v20, v7
	v_div_scale_f32 v20, vcc, 1.0, v4, 1.0
	v_mul_f32_e32 v21, v20, v7
	v_fma_f32 v22, -v6, v21, v20
	v_fmac_f32_e32 v21, v22, v7
	v_fma_f32 v6, -v6, v21, v20
	v_div_fmas_f32 v6, v6, v7, v21
	v_div_fixup_f32 v4, v6, v4, 1.0
	v_mul_f32_e32 v5, v5, v4
.LBB39_132:                             ;   in Loop: Header=BB39_124 Depth=2
	v_mul_f32_e32 v6, v2, v4
	v_fma_f32 v3, v3, v5, -v6
	s_branch .LBB39_134
.LBB39_133:                             ;   in Loop: Header=BB39_124 Depth=2
	v_xor_b32_e32 v3, 0x80000000, v2
	v_mov_b32_e32 v5, 0
	v_mov_b32_e32 v4, 1.0
.LBB39_134:                             ;   in Loop: Header=BB39_124 Depth=2
	s_add_u32 s4, s25, s76
	s_addc_u32 s5, s48, s77
	s_add_u32 s84, s53, s76
	s_addc_u32 s85, s54, s77
	s_add_u32 s30, s21, s76
	global_store_dword v9, v3, s[4:5]
	s_addc_u32 s31, s24, s77
	global_load_dword v3, v9, s[30:31]
	global_load_dword v2, v9, s[84:85]
	s_add_u32 s86, s49, s76
	s_addc_u32 s87, s52, s77
	s_and_b64 vcc, exec, s[12:13]
	s_waitcnt vmcnt(1)
	v_mul_f32_e32 v6, v5, v3
	s_waitcnt vmcnt(0)
	v_fmac_f32_e32 v6, v4, v2
	global_store_dword v9, v6, s[30:31]
	global_load_dword v6, v9, s[86:87]
	s_waitcnt vmcnt(0)
	v_mul_f32_e32 v7, v5, v6
	global_store_dword v9, v7, s[86:87]
	s_cbranch_vccnz .LBB39_136
; %bb.135:                              ;   in Loop: Header=BB39_124 Depth=2
	s_add_u32 s4, s89, s76
	s_addc_u32 s5, s94, s77
	s_add_u32 vcc_lo, s67, s76
	s_addc_u32 vcc_hi, s88, s77
	global_store_dword v9, v5, s[4:5]
	global_store_dword v9, v4, vcc
.LBB39_136:                             ;   in Loop: Header=BB39_124 Depth=2
	s_andn2_b64 vcc, exec, s[80:81]
	s_cbranch_vccnz .LBB39_138
; %bb.137:                              ;   in Loop: Header=BB39_124 Depth=2
	s_add_u32 s4, s92, s76
	s_addc_u32 s5, s93, s77
	s_add_u32 vcc_lo, s71, s76
	s_addc_u32 vcc_hi, s90, s77
	global_store_dword v9, v5, s[4:5]
	global_store_dword v9, v4, vcc
.LBB39_138:                             ;   in Loop: Header=BB39_124 Depth=2
	v_mul_f32_e32 v3, v4, v3
	v_fma_f32 v3, v5, v2, -v3
	v_mul_f32_e64 v2, v6, -v4
	v_cmp_eq_f32_e32 vcc, 0, v2
	v_mov_b32_e32 v5, 0
	s_cbranch_vccnz .LBB39_142
; %bb.139:                              ;   in Loop: Header=BB39_124 Depth=2
	v_cmp_neq_f32_e32 vcc, 0, v3
	s_cbranch_vccz .LBB39_143
; %bb.140:                              ;   in Loop: Header=BB39_124 Depth=2
	v_cmp_ngt_f32_e64 s[4:5], |v2|, |v3|
	s_and_b64 vcc, exec, s[4:5]
	s_cbranch_vccz .LBB39_144
; %bb.141:                              ;   in Loop: Header=BB39_124 Depth=2
	v_div_scale_f32 v4, s[4:5], v3, v3, -v2
	v_rcp_f32_e32 v5, v4
	v_div_scale_f32 v6, vcc, -v2, v3, -v2
	v_fma_f32 v7, -v4, v5, 1.0
	v_fmac_f32_e32 v5, v7, v5
	v_mul_f32_e32 v7, v6, v5
	v_fma_f32 v20, -v4, v7, v6
	v_fmac_f32_e32 v7, v20, v5
	v_fma_f32 v4, -v4, v7, v6
	v_div_fmas_f32 v4, v4, v5, v7
	v_div_fixup_f32 v5, v4, v3, -v2
	v_fma_f32 v4, v5, v5, 1.0
	v_mul_f32_e32 v6, 0x4f800000, v4
	v_cmp_gt_f32_e32 vcc, s10, v4
	v_cndmask_b32_e32 v4, v4, v6, vcc
	v_sqrt_f32_e32 v6, v4
	v_add_u32_e32 v7, -1, v6
	v_fma_f32 v21, -v7, v6, v4
	v_add_u32_e32 v20, 1, v6
	v_cmp_ge_f32_e64 s[4:5], 0, v21
	v_cndmask_b32_e64 v7, v6, v7, s[4:5]
	v_fma_f32 v6, -v20, v6, v4
	v_cmp_lt_f32_e64 s[4:5], 0, v6
	v_cndmask_b32_e64 v6, v7, v20, s[4:5]
	v_mul_f32_e32 v7, 0x37800000, v6
	v_cndmask_b32_e32 v6, v6, v7, vcc
	v_cmp_class_f32_e32 vcc, v4, v18
	v_cndmask_b32_e32 v4, v6, v4, vcc
	v_div_scale_f32 v6, s[4:5], v4, v4, 1.0
	v_rcp_f32_e32 v7, v6
	v_fma_f32 v20, -v6, v7, 1.0
	v_fmac_f32_e32 v7, v20, v7
	v_div_scale_f32 v20, vcc, 1.0, v4, 1.0
	v_mul_f32_e32 v21, v20, v7
	v_fma_f32 v22, -v6, v21, v20
	v_fmac_f32_e32 v21, v22, v7
	v_fma_f32 v6, -v6, v21, v20
	v_div_fmas_f32 v6, v6, v7, v21
	v_div_fixup_f32 v4, v6, v4, 1.0
	v_mul_f32_e32 v5, v5, v4
	s_cbranch_execz .LBB39_145
	s_branch .LBB39_146
.LBB39_142:                             ;   in Loop: Header=BB39_124 Depth=2
	v_mov_b32_e32 v4, 1.0
	s_branch .LBB39_148
.LBB39_143:                             ;   in Loop: Header=BB39_124 Depth=2
                                        ; implicit-def: $vgpr3
                                        ; implicit-def: $vgpr5
                                        ; implicit-def: $vgpr4
	s_cbranch_execnz .LBB39_147
	s_branch .LBB39_148
.LBB39_144:                             ;   in Loop: Header=BB39_124 Depth=2
                                        ; implicit-def: $vgpr5
                                        ; implicit-def: $vgpr4
.LBB39_145:                             ;   in Loop: Header=BB39_124 Depth=2
	v_div_scale_f32 v4, s[4:5], v2, v2, -v3
	v_rcp_f32_e32 v5, v4
	v_div_scale_f32 v6, vcc, -v3, v2, -v3
	v_fma_f32 v7, -v4, v5, 1.0
	v_fmac_f32_e32 v5, v7, v5
	v_mul_f32_e32 v7, v6, v5
	v_fma_f32 v20, -v4, v7, v6
	v_fmac_f32_e32 v7, v20, v5
	v_fma_f32 v4, -v4, v7, v6
	v_div_fmas_f32 v4, v4, v5, v7
	v_div_fixup_f32 v4, v4, v2, -v3
	v_fma_f32 v5, v4, v4, 1.0
	v_mul_f32_e32 v6, 0x4f800000, v5
	v_cmp_gt_f32_e32 vcc, s10, v5
	v_cndmask_b32_e32 v5, v5, v6, vcc
	v_sqrt_f32_e32 v6, v5
	v_add_u32_e32 v7, -1, v6
	v_fma_f32 v21, -v7, v6, v5
	v_add_u32_e32 v20, 1, v6
	v_cmp_ge_f32_e64 s[4:5], 0, v21
	v_cndmask_b32_e64 v7, v6, v7, s[4:5]
	v_fma_f32 v6, -v20, v6, v5
	v_cmp_lt_f32_e64 s[4:5], 0, v6
	v_cndmask_b32_e64 v6, v7, v20, s[4:5]
	v_mul_f32_e32 v7, 0x37800000, v6
	v_cndmask_b32_e32 v6, v6, v7, vcc
	v_cmp_class_f32_e32 vcc, v5, v18
	v_cndmask_b32_e32 v5, v6, v5, vcc
	v_div_scale_f32 v6, s[4:5], v5, v5, 1.0
	v_rcp_f32_e32 v7, v6
	v_fma_f32 v20, -v6, v7, 1.0
	v_fmac_f32_e32 v7, v20, v7
	v_div_scale_f32 v20, vcc, 1.0, v5, 1.0
	v_mul_f32_e32 v21, v20, v7
	v_fma_f32 v22, -v6, v21, v20
	v_fmac_f32_e32 v21, v22, v7
	v_fma_f32 v6, -v6, v21, v20
	v_div_fmas_f32 v6, v6, v7, v21
	v_div_fixup_f32 v5, v6, v5, 1.0
	v_mul_f32_e32 v4, v4, v5
.LBB39_146:                             ;   in Loop: Header=BB39_124 Depth=2
	v_mul_f32_e32 v6, v2, v5
	v_fma_f32 v3, v3, v4, -v6
	s_branch .LBB39_148
.LBB39_147:                             ;   in Loop: Header=BB39_124 Depth=2
	v_xor_b32_e32 v3, 0x80000000, v2
	v_mov_b32_e32 v4, 0
	v_mov_b32_e32 v5, 1.0
.LBB39_148:                             ;   in Loop: Header=BB39_124 Depth=2
	global_store_dword v9, v3, s[84:85]
	global_load_dword v6, v9, s[86:87]
	s_nop 0
	global_load_dword v3, v9, s[30:31]
	s_cmp_ge_i32 s91, s61
	s_waitcnt vmcnt(1)
	v_mul_f32_e32 v7, v4, v6
	s_waitcnt vmcnt(0)
	v_fmac_f32_e32 v7, v5, v3
	global_store_dword v9, v7, s[86:87]
	s_cbranch_scc0 .LBB39_151
; %bb.149:                              ;   in Loop: Header=BB39_124 Depth=2
	s_and_b64 vcc, exec, s[14:15]
	s_cbranch_vccz .LBB39_152
.LBB39_150:                             ;   in Loop: Header=BB39_124 Depth=2
	s_andn2_b64 vcc, exec, s[82:83]
	s_cbranch_vccnz .LBB39_123
	s_branch .LBB39_153
.LBB39_151:                             ;   in Loop: Header=BB39_124 Depth=2
	s_add_u32 s4, s63, s76
	s_addc_u32 s5, s95, s77
	global_load_dword v7, v9, s[4:5]
	s_waitcnt vmcnt(0)
	v_mul_f32_e64 v2, v7, -v5
	v_mul_f32_e32 v7, v4, v7
	global_store_dword v9, v7, s[4:5]
	s_and_b64 vcc, exec, s[14:15]
	s_cbranch_vccnz .LBB39_150
.LBB39_152:                             ;   in Loop: Header=BB39_124 Depth=2
	s_add_u32 s4, s89, s76
	s_addc_u32 s5, s94, s77
	s_add_u32 s30, s67, s76
	s_addc_u32 s31, s88, s77
	global_store_dword v9, v4, s[4:5]
	global_store_dword v9, v5, s[30:31]
	s_andn2_b64 vcc, exec, s[82:83]
	s_cbranch_vccnz .LBB39_123
.LBB39_153:                             ;   in Loop: Header=BB39_124 Depth=2
	s_add_u32 s4, s92, s76
	s_addc_u32 s5, s93, s77
	s_add_u32 s30, s71, s76
	s_addc_u32 s31, s90, s77
	global_store_dword v9, v4, s[4:5]
	global_store_dword v9, v5, s[30:31]
	s_branch .LBB39_123
.LBB39_154:                             ;   in Loop: Header=BB39_11 Depth=1
	v_readlane_b32 s88, v31, 21
	v_readlane_b32 s90, v31, 23
	;; [unrolled: 1-line block ×3, first 2 shown]
	s_mov_b32 s83, s55
	v_readlane_b32 s89, v31, 22
	v_readlane_b32 s82, v31, 20
	v_readlane_b32 s91, v31, 24
	v_readlane_b32 s93, v31, 26
.LBB39_155:                             ;   in Loop: Header=BB39_11 Depth=1
	s_and_b64 s[4:5], s[74:75], exec
	s_cselect_b32 s4, s61, 0
	s_ashr_i32 s5, s4, 31
	s_lshl_b64 s[4:5], s[4:5], 2
	s_add_u32 s4, s11, s4
	s_addc_u32 s5, s9, s5
	global_store_dword v9, v3, s[4:5]
.LBB39_156:                             ;   in Loop: Header=BB39_11 Depth=1
	s_or_b64 exec, exec, s[72:73]
	s_andn2_b64 vcc, exec, s[88:89]
	s_barrier
	s_cbranch_vccz .LBB39_159
; %bb.157:                              ;   in Loop: Header=BB39_11 Depth=1
	s_andn2_b64 vcc, exec, s[92:93]
	s_cbranch_vccz .LBB39_166
.LBB39_158:                             ;   in Loop: Header=BB39_11 Depth=1
	s_andn2_b64 vcc, exec, s[50:51]
	s_cbranch_vccnz .LBB39_10
	s_branch .LBB39_173
.LBB39_159:                             ;   in Loop: Header=BB39_11 Depth=1
	s_and_saveexec_b64 s[12:13], s[90:91]
	s_cbranch_execz .LBB39_165
; %bb.160:                              ;   in Loop: Header=BB39_11 Depth=1
	v_readlane_b32 s14, v31, 4
	v_readlane_b32 s15, v31, 5
	s_load_dword s5, s[14:15], 0xc
	s_add_u32 s9, s44, s64
	s_addc_u32 s11, s45, s65
	s_add_i32 s4, s28, -1
	s_cmp_eq_u32 s66, 0
	s_cselect_b32 s21, s28, 0
	s_cselect_b32 s4, s4, 0
	s_cmp_gt_i32 s28, 0
	s_cselect_b64 s[14:15], -1, 0
	s_waitcnt lgkmcnt(0)
	s_and_b32 s24, s5, 0xffff
	s_ashr_i32 s5, s4, 31
	s_lshl_b64 s[4:5], s[4:5], 2
	s_lshl_b64 s[30:31], s[68:69], 2
	s_add_u32 s49, s4, s30
	s_addc_u32 s52, s5, s31
	s_add_u32 s25, s18, s49
	s_addc_u32 s48, s19, s52
	s_lshl_b32 s54, s66, 1
	s_add_i32 s30, s54, -2
	s_ashr_i32 s31, s30, 31
	s_lshl_b64 s[72:73], s[30:31], 2
	s_ashr_i32 s61, s60, 31
	s_or_b32 s72, s72, 4
	s_lshl_b64 s[4:5], s[60:61], 2
	s_add_u32 s4, s49, s4
	s_addc_u32 s5, s52, s5
	s_sub_u32 s4, s4, s64
	s_subb_u32 s5, s5, s65
	v_readlane_b32 s49, v31, 18
	s_add_u32 s49, s49, s4
	v_readlane_b32 s4, v31, 19
	s_addc_u32 s52, s4, s5
	s_add_i32 s54, s54, s21
	v_add_u32_e32 v2, s21, v14
	s_mul_i32 s53, s23, s24
	s_not_b64 s[74:75], s[30:31]
	v_add_u32_e32 v4, s54, v15
	s_or_b32 s30, s30, 1
	s_mov_b64 s[76:77], 0
	v_mov_b32_e32 v20, v0
	s_branch .LBB39_162
.LBB39_161:                             ;   in Loop: Header=BB39_162 Depth=2
	v_lshlrev_b64 v[6:7], 2, v[6:7]
	v_mov_b32_e32 v3, s11
	v_add_co_u32_e32 v6, vcc, s9, v6
	v_addc_co_u32_e32 v7, vcc, v3, v7, vcc
	v_add_u32_e32 v20, s24, v20
	v_cmp_le_i32_e32 vcc, s41, v20
	v_add_u32_e32 v2, s53, v2
	s_or_b64 s[76:77], vcc, s[76:77]
	v_add_u32_e32 v4, s53, v4
	s_waitcnt vmcnt(0) lgkmcnt(0)
	flat_store_dword v[6:7], v21
	s_andn2_b64 exec, exec, s[76:77]
	s_cbranch_execz .LBB39_165
.LBB39_162:                             ;   Parent Loop BB39_11 Depth=1
                                        ; =>  This Loop Header: Depth=2
                                        ;       Child Loop BB39_164 Depth 3
	v_mul_lo_u32 v3, v20, s23
	v_add_u32_e32 v6, s21, v3
	v_ashrrev_i32_e32 v7, 31, v6
	v_lshlrev_b64 v[22:23], 2, v[6:7]
	v_mov_b32_e32 v3, s11
	v_add_co_u32_e32 v22, vcc, s9, v22
	v_addc_co_u32_e32 v23, vcc, v3, v23, vcc
	flat_load_dword v21, v[22:23]
	s_andn2_b64 vcc, exec, s[14:15]
	s_cbranch_vccnz .LBB39_161
; %bb.163:                              ;   in Loop: Header=BB39_162 Depth=2
	v_ashrrev_i32_e32 v3, 31, v2
	v_lshlrev_b64 v[6:7], 2, v[2:3]
	v_mov_b32_e32 v23, s11
	v_add_co_u32_e32 v3, vcc, s9, v6
	v_addc_co_u32_e32 v22, vcc, v23, v7, vcc
	v_ashrrev_i32_e32 v5, 31, v4
	v_mov_b32_e32 v7, s75
	v_add_co_u32_e32 v6, vcc, s74, v4
	v_addc_co_u32_e32 v7, vcc, v7, v5, vcc
	v_lshlrev_b64 v[24:25], 2, v[4:5]
	v_add_co_u32_e32 v5, vcc, s9, v24
	v_addc_co_u32_e32 v23, vcc, v23, v25, vcc
	s_mov_b64 s[78:79], 0
	s_mov_b32 s54, s28
.LBB39_164:                             ;   Parent Loop BB39_11 Depth=1
                                        ;     Parent Loop BB39_162 Depth=2
                                        ; =>    This Inner Loop Header: Depth=3
	s_add_u32 s4, s25, s78
	v_mov_b32_e32 v26, s79
	v_add_co_u32_e32 v24, vcc, s78, v5
	s_addc_u32 s5, s48, s79
	v_addc_co_u32_e32 v25, vcc, v23, v26, vcc
	s_add_u32 s80, s49, s78
	flat_load_dword v27, v[24:25]
	s_addc_u32 s81, s52, s79
	global_load_dword v28, v9, s[80:81]
	global_load_dword v29, v9, s[4:5] offset:16
	v_add_co_u32_e64 v24, s[4:5], s78, v3
	s_add_i32 s54, s54, -1
	v_addc_co_u32_e64 v25, s[4:5], v22, v26, s[4:5]
	s_add_u32 s78, s78, s72
	v_mov_b32_e32 v30, s31
	v_add_co_u32_e32 v6, vcc, s30, v6
	s_addc_u32 s79, s79, s73
	v_addc_co_u32_e32 v7, vcc, v7, v30, vcc
	s_cmp_eq_u32 s54, 0
	s_waitcnt vmcnt(0) lgkmcnt(0)
	v_mul_f32_e32 v26, v27, v28
	v_fma_f32 v26, v21, v29, -v26
	v_mul_f32_e32 v21, v21, v28
	v_fmac_f32_e32 v21, v27, v29
	flat_store_dword v[24:25], v26
	s_cbranch_scc0 .LBB39_164
	s_branch .LBB39_161
.LBB39_165:                             ;   in Loop: Header=BB39_11 Depth=1
	s_or_b64 exec, exec, s[12:13]
	s_andn2_b64 vcc, exec, s[92:93]
	s_cbranch_vccnz .LBB39_158
.LBB39_166:                             ;   in Loop: Header=BB39_11 Depth=1
	s_mov_b64 s[4:5], exec
	v_readlane_b32 s12, v31, 6
	v_readlane_b32 s13, v31, 7
	s_and_b64 s[12:13], s[4:5], s[12:13]
	s_mov_b64 exec, s[12:13]
	s_cbranch_execz .LBB39_172
; %bb.167:                              ;   in Loop: Header=BB39_11 Depth=1
	s_mul_i32 s12, s62, s83
	s_ashr_i32 s13, s12, 31
	s_lshl_b64 s[12:13], s[12:13], 2
	v_readlane_b32 s14, v31, 4
	s_add_u32 s9, s34, s12
	v_readlane_b32 s15, v31, 5
	s_addc_u32 s11, s35, s13
	s_add_i32 s12, s28, -1
	s_load_dword s15, s[14:15], 0xc
	s_cmp_eq_u32 s66, 0
	s_cselect_b32 s12, s12, 0
	s_cselect_b32 s52, s28, 0
	s_add_i32 s14, s12, s29
	s_cmp_gt_i32 s28, 0
	s_cselect_b64 s[12:13], -1, 0
	s_waitcnt lgkmcnt(0)
	s_and_b32 s24, s15, 0xffff
	s_ashr_i32 s15, s14, 31
	s_lshl_b64 s[30:31], s[68:69], 2
	s_lshl_b64 s[14:15], s[14:15], 2
	s_add_u32 s14, s30, s14
	s_addc_u32 s15, s31, s15
	s_add_u32 s14, s18, s14
	s_addc_u32 s15, s19, s15
	s_lshl_b32 s53, s66, 1
	s_add_i32 s30, s53, -2
	s_ashr_i32 s31, s30, 31
	s_lshl_b64 s[30:31], s[30:31], 2
	s_ashr_i32 s61, s60, 31
	s_or_b32 s30, s30, 4
	s_lshl_b64 s[48:49], s[60:61], 2
	s_sub_u32 s25, s48, s64
	s_subb_u32 s48, s49, s65
	s_add_u32 s25, s25, 20
	s_mul_i32 s21, s52, s83
	s_addc_u32 s48, s48, 0
	s_add_i32 s52, s52, s53
	s_add_i32 s52, s52, -1
	s_mul_i32 s52, s83, s52
	v_add_u32_e32 v4, s21, v0
	s_mul_i32 s49, s83, s70
	v_add_u32_e32 v5, s52, v0
	s_mov_b64 s[62:63], 0
	v_mov_b32_e32 v6, v0
	s_branch .LBB39_169
.LBB39_168:                             ;   in Loop: Header=BB39_169 Depth=2
	v_lshlrev_b64 v[2:3], 2, v[2:3]
	v_mov_b32_e32 v20, s11
	v_add_co_u32_e32 v2, vcc, s9, v2
	v_addc_co_u32_e32 v3, vcc, v20, v3, vcc
	v_add_u32_e32 v6, s24, v6
	v_cmp_le_i32_e32 vcc, s42, v6
	v_add_u32_e32 v4, s24, v4
	s_or_b64 s[62:63], vcc, s[62:63]
	v_add_u32_e32 v5, s24, v5
	s_waitcnt vmcnt(0) lgkmcnt(0)
	flat_store_dword v[2:3], v7
	s_andn2_b64 exec, exec, s[62:63]
	s_cbranch_execz .LBB39_172
.LBB39_169:                             ;   Parent Loop BB39_11 Depth=1
                                        ; =>  This Loop Header: Depth=2
                                        ;       Child Loop BB39_171 Depth 3
	v_add_u32_e32 v2, s21, v6
	v_ashrrev_i32_e32 v3, 31, v2
	v_lshlrev_b64 v[20:21], 2, v[2:3]
	v_mov_b32_e32 v7, s11
	v_add_co_u32_e32 v20, vcc, s9, v20
	v_addc_co_u32_e32 v21, vcc, v7, v21, vcc
	flat_load_dword v7, v[20:21]
	s_andn2_b64 vcc, exec, s[12:13]
	s_cbranch_vccnz .LBB39_168
; %bb.170:                              ;   in Loop: Header=BB39_169 Depth=2
	s_mov_b32 s52, 0
	s_mov_b64 s[70:71], s[14:15]
	s_mov_b32 s53, s28
.LBB39_171:                             ;   Parent Loop BB39_11 Depth=1
                                        ;     Parent Loop BB39_169 Depth=2
                                        ; =>    This Inner Loop Header: Depth=3
	v_add_u32_e32 v2, s52, v5
	v_ashrrev_i32_e32 v3, 31, v2
	v_lshlrev_b64 v[20:21], 2, v[2:3]
	v_mov_b32_e32 v22, s11
	s_add_u32 s54, s70, s25
	v_add_co_u32_e32 v20, vcc, s9, v20
	s_addc_u32 s55, s71, s48
	v_addc_co_u32_e32 v21, vcc, v22, v21, vcc
	global_load_dword v23, v9, s[70:71] offset:16
	global_load_dword v24, v9, s[54:55]
	flat_load_dword v25, v[20:21]
	v_add_u32_e32 v20, s52, v4
	v_ashrrev_i32_e32 v21, 31, v20
	v_lshlrev_b64 v[20:21], 2, v[20:21]
	s_add_i32 s53, s53, -1
	v_add_co_u32_e32 v20, vcc, s9, v20
	s_add_u32 s70, s70, s30
	v_addc_co_u32_e32 v21, vcc, v22, v21, vcc
	s_addc_u32 s71, s71, s31
	s_add_i32 s52, s52, s49
	s_cmp_eq_u32 s53, 0
	s_waitcnt vmcnt(0) lgkmcnt(0)
	v_mul_f32_e32 v22, v25, v24
	v_fma_f32 v22, v7, v23, -v22
	v_mul_f32_e32 v7, v7, v24
	v_fmac_f32_e32 v7, v25, v23
	flat_store_dword v[20:21], v22
	s_cbranch_scc0 .LBB39_171
	s_branch .LBB39_168
.LBB39_172:                             ;   in Loop: Header=BB39_11 Depth=1
	s_or_b64 exec, exec, s[4:5]
	s_andn2_b64 vcc, exec, s[50:51]
	s_cbranch_vccnz .LBB39_10
.LBB39_173:                             ;   in Loop: Header=BB39_11 Depth=1
	s_mov_b64 s[12:13], exec
	v_readlane_b32 s4, v31, 8
	v_readlane_b32 s5, v31, 9
	s_and_b64 s[4:5], s[12:13], s[4:5]
	s_mov_b64 exec, s[4:5]
	s_cbranch_execz .LBB39_9
; %bb.174:                              ;   in Loop: Header=BB39_11 Depth=1
	v_readlane_b32 s14, v31, 4
	s_add_u32 s9, s46, s64
	v_readlane_b32 s15, v31, 5
	s_addc_u32 s11, s47, s65
	s_add_i32 s4, s28, -1
	s_load_dword s5, s[14:15], 0xc
	s_cmp_eq_u32 s66, 0
	s_cselect_b32 s4, s4, 0
	s_cselect_b32 s21, s28, 0
	s_add_i32 s4, s4, s29
	s_cmp_gt_i32 s28, 0
	s_cselect_b64 s[14:15], -1, 0
	s_waitcnt lgkmcnt(0)
	s_and_b32 s24, s5, 0xffff
	s_ashr_i32 s5, s4, 31
	s_lshl_b64 s[30:31], s[68:69], 2
	s_lshl_b64 s[4:5], s[4:5], 2
	s_add_u32 s48, s30, s4
	s_addc_u32 s49, s31, s5
	s_add_u32 s25, s18, s48
	s_addc_u32 s29, s19, s49
	s_lshl_b32 s53, s66, 1
	s_add_i32 s30, s53, -2
	s_ashr_i32 s31, s30, 31
	s_lshl_b64 s[62:63], s[30:31], 2
	s_ashr_i32 s61, s60, 31
	s_or_b32 s62, s62, 4
	s_lshl_b64 s[4:5], s[60:61], 2
	s_add_u32 s4, s48, s4
	s_addc_u32 s5, s49, s5
	s_sub_u32 s4, s4, s64
	s_subb_u32 s5, s5, s65
	v_readlane_b32 s48, v31, 18
	s_add_u32 s48, s48, s4
	v_readlane_b32 s4, v31, 19
	s_addc_u32 s49, s4, s5
	s_add_i32 s53, s53, s21
	v_add_u32_e32 v2, s21, v16
	s_mul_i32 s52, s39, s24
	s_not_b64 s[60:61], s[30:31]
	v_add_u32_e32 v4, s53, v17
	s_or_b32 s30, s30, 1
	s_mov_b64 s[64:65], 0
	v_mov_b32_e32 v20, v0
	s_branch .LBB39_176
.LBB39_175:                             ;   in Loop: Header=BB39_176 Depth=2
	v_lshlrev_b64 v[6:7], 2, v[6:7]
	v_mov_b32_e32 v3, s11
	v_add_co_u32_e32 v6, vcc, s9, v6
	v_addc_co_u32_e32 v7, vcc, v3, v7, vcc
	v_add_u32_e32 v20, s24, v20
	v_cmp_le_i32_e32 vcc, s43, v20
	v_add_u32_e32 v2, s52, v2
	s_or_b64 s[64:65], vcc, s[64:65]
	v_add_u32_e32 v4, s52, v4
	s_waitcnt vmcnt(0) lgkmcnt(0)
	flat_store_dword v[6:7], v21
	s_andn2_b64 exec, exec, s[64:65]
	s_cbranch_execz .LBB39_9
.LBB39_176:                             ;   Parent Loop BB39_11 Depth=1
                                        ; =>  This Loop Header: Depth=2
                                        ;       Child Loop BB39_178 Depth 3
	v_mul_lo_u32 v3, v20, s39
	v_add_u32_e32 v6, s21, v3
	v_ashrrev_i32_e32 v7, 31, v6
	v_lshlrev_b64 v[22:23], 2, v[6:7]
	v_mov_b32_e32 v3, s11
	v_add_co_u32_e32 v22, vcc, s9, v22
	v_addc_co_u32_e32 v23, vcc, v3, v23, vcc
	flat_load_dword v21, v[22:23]
	s_andn2_b64 vcc, exec, s[14:15]
	s_cbranch_vccnz .LBB39_175
; %bb.177:                              ;   in Loop: Header=BB39_176 Depth=2
	v_ashrrev_i32_e32 v3, 31, v2
	v_lshlrev_b64 v[6:7], 2, v[2:3]
	v_mov_b32_e32 v23, s11
	v_add_co_u32_e32 v3, vcc, s9, v6
	v_addc_co_u32_e32 v22, vcc, v23, v7, vcc
	v_ashrrev_i32_e32 v5, 31, v4
	v_mov_b32_e32 v7, s61
	v_add_co_u32_e32 v6, vcc, s60, v4
	v_addc_co_u32_e32 v7, vcc, v7, v5, vcc
	v_lshlrev_b64 v[24:25], 2, v[4:5]
	v_add_co_u32_e32 v5, vcc, s9, v24
	v_addc_co_u32_e32 v23, vcc, v23, v25, vcc
	s_mov_b64 s[66:67], 0
	s_mov_b32 s53, s28
.LBB39_178:                             ;   Parent Loop BB39_11 Depth=1
                                        ;     Parent Loop BB39_176 Depth=2
                                        ; =>    This Inner Loop Header: Depth=3
	s_add_u32 s4, s25, s66
	s_addc_u32 s5, s29, s67
	v_mov_b32_e32 v26, s67
	v_add_co_u32_e32 v24, vcc, s66, v5
	s_add_u32 s54, s48, s66
	v_addc_co_u32_e32 v25, vcc, v23, v26, vcc
	s_addc_u32 s55, s49, s67
	flat_load_dword v27, v[24:25]
	global_load_dword v28, v9, s[4:5] offset:16
	global_load_dword v29, v9, s[54:55]
	v_add_co_u32_e64 v24, s[4:5], s66, v3
	s_add_i32 s53, s53, -1
	v_addc_co_u32_e64 v25, s[4:5], v22, v26, s[4:5]
	s_add_u32 s66, s66, s62
	v_mov_b32_e32 v30, s31
	v_add_co_u32_e32 v6, vcc, s30, v6
	s_addc_u32 s67, s67, s63
	v_addc_co_u32_e32 v7, vcc, v7, v30, vcc
	s_cmp_eq_u32 s53, 0
	s_waitcnt vmcnt(0) lgkmcnt(0)
	v_mul_f32_e32 v26, v27, v29
	v_fma_f32 v26, v21, v28, -v26
	v_mul_f32_e32 v21, v21, v29
	v_fmac_f32_e32 v21, v27, v28
	flat_store_dword v[24:25], v26
	s_cbranch_scc0 .LBB39_178
	s_branch .LBB39_175
.LBB39_179:
	s_endpgm
	.section	.rodata,"a",@progbits
	.p2align	6, 0x0
	.amdhsa_kernel _ZN9rocsolver6v33100L13bdsqr_computeILi256EffPfPKS2_S4_EEviiiiPT1_lS6_lT2_iilT3_iilT4_iiliS5_S5_S5_S5_PiS6_ilSA_
		.amdhsa_group_segment_fixed_size 1040
		.amdhsa_private_segment_fixed_size 0
		.amdhsa_kernarg_size 440
		.amdhsa_user_sgpr_count 6
		.amdhsa_user_sgpr_private_segment_buffer 1
		.amdhsa_user_sgpr_dispatch_ptr 0
		.amdhsa_user_sgpr_queue_ptr 0
		.amdhsa_user_sgpr_kernarg_segment_ptr 1
		.amdhsa_user_sgpr_dispatch_id 0
		.amdhsa_user_sgpr_flat_scratch_init 0
		.amdhsa_user_sgpr_kernarg_preload_length 0
		.amdhsa_user_sgpr_kernarg_preload_offset 0
		.amdhsa_user_sgpr_private_segment_size 0
		.amdhsa_uses_dynamic_stack 0
		.amdhsa_system_sgpr_private_segment_wavefront_offset 0
		.amdhsa_system_sgpr_workgroup_id_x 1
		.amdhsa_system_sgpr_workgroup_id_y 1
		.amdhsa_system_sgpr_workgroup_id_z 1
		.amdhsa_system_sgpr_workgroup_info 0
		.amdhsa_system_vgpr_workitem_id 0
		.amdhsa_next_free_vgpr 32
		.amdhsa_next_free_sgpr 96
		.amdhsa_accum_offset 32
		.amdhsa_reserve_vcc 1
		.amdhsa_reserve_flat_scratch 0
		.amdhsa_float_round_mode_32 0
		.amdhsa_float_round_mode_16_64 0
		.amdhsa_float_denorm_mode_32 3
		.amdhsa_float_denorm_mode_16_64 3
		.amdhsa_dx10_clamp 1
		.amdhsa_ieee_mode 1
		.amdhsa_fp16_overflow 0
		.amdhsa_tg_split 0
		.amdhsa_exception_fp_ieee_invalid_op 0
		.amdhsa_exception_fp_denorm_src 0
		.amdhsa_exception_fp_ieee_div_zero 0
		.amdhsa_exception_fp_ieee_overflow 0
		.amdhsa_exception_fp_ieee_underflow 0
		.amdhsa_exception_fp_ieee_inexact 0
		.amdhsa_exception_int_div_zero 0
	.end_amdhsa_kernel
	.section	.text._ZN9rocsolver6v33100L13bdsqr_computeILi256EffPfPKS2_S4_EEviiiiPT1_lS6_lT2_iilT3_iilT4_iiliS5_S5_S5_S5_PiS6_ilSA_,"axG",@progbits,_ZN9rocsolver6v33100L13bdsqr_computeILi256EffPfPKS2_S4_EEviiiiPT1_lS6_lT2_iilT3_iilT4_iiliS5_S5_S5_S5_PiS6_ilSA_,comdat
.Lfunc_end39:
	.size	_ZN9rocsolver6v33100L13bdsqr_computeILi256EffPfPKS2_S4_EEviiiiPT1_lS6_lT2_iilT3_iilT4_iiliS5_S5_S5_S5_PiS6_ilSA_, .Lfunc_end39-_ZN9rocsolver6v33100L13bdsqr_computeILi256EffPfPKS2_S4_EEviiiiPT1_lS6_lT2_iilT3_iilT4_iiliS5_S5_S5_S5_PiS6_ilSA_
                                        ; -- End function
	.section	.AMDGPU.csdata,"",@progbits
; Kernel info:
; codeLenInByte = 8668
; NumSgprs: 100
; NumVgprs: 32
; NumAgprs: 0
; TotalNumVgprs: 32
; ScratchSize: 0
; MemoryBound: 0
; FloatMode: 240
; IeeeMode: 1
; LDSByteSize: 1040 bytes/workgroup (compile time only)
; SGPRBlocks: 12
; VGPRBlocks: 3
; NumSGPRsForWavesPerEU: 100
; NumVGPRsForWavesPerEU: 32
; AccumOffset: 32
; Occupancy: 8
; WaveLimiterHint : 1
; COMPUTE_PGM_RSRC2:SCRATCH_EN: 0
; COMPUTE_PGM_RSRC2:USER_SGPR: 6
; COMPUTE_PGM_RSRC2:TRAP_HANDLER: 0
; COMPUTE_PGM_RSRC2:TGID_X_EN: 1
; COMPUTE_PGM_RSRC2:TGID_Y_EN: 1
; COMPUTE_PGM_RSRC2:TGID_Z_EN: 1
; COMPUTE_PGM_RSRC2:TIDIG_COMP_CNT: 0
; COMPUTE_PGM_RSRC3_GFX90A:ACCUM_OFFSET: 7
; COMPUTE_PGM_RSRC3_GFX90A:TG_SPLIT: 0
	.section	.text._ZN9rocsolver6v33100L12bdsqr_rotateIffPfPKS2_S4_EEviiiiT1_iilT2_iilT3_iiliPiPT0_ilS8_,"axG",@progbits,_ZN9rocsolver6v33100L12bdsqr_rotateIffPfPKS2_S4_EEviiiiT1_iilT2_iilT3_iiliPiPT0_ilS8_,comdat
	.globl	_ZN9rocsolver6v33100L12bdsqr_rotateIffPfPKS2_S4_EEviiiiT1_iilT2_iilT3_iiliPiPT0_ilS8_ ; -- Begin function _ZN9rocsolver6v33100L12bdsqr_rotateIffPfPKS2_S4_EEviiiiT1_iilT2_iilT3_iiliPiPT0_ilS8_
	.p2align	8
	.type	_ZN9rocsolver6v33100L12bdsqr_rotateIffPfPKS2_S4_EEviiiiT1_iilT2_iilT3_iiliPiPT0_ilS8_,@function
_ZN9rocsolver6v33100L12bdsqr_rotateIffPfPKS2_S4_EEviiiiT1_iilT2_iilT3_iiliPiPT0_ilS8_: ; @_ZN9rocsolver6v33100L12bdsqr_rotateIffPfPKS2_S4_EEviiiiT1_iilT2_iilT3_iiliPiPT0_ilS8_
; %bb.0:
	s_load_dwordx4 s[0:3], s[4:5], 0x78
	s_ashr_i32 s9, s8, 31
	s_lshl_b64 s[10:11], s[8:9], 2
	s_waitcnt lgkmcnt(0)
	s_add_u32 s2, s2, s10
	s_addc_u32 s3, s3, s11
	s_load_dword s2, s[2:3], 0x8
	s_waitcnt lgkmcnt(0)
	s_cmp_lg_u32 s2, 0
	s_cbranch_scc1 .LBB40_25
; %bb.1:
	s_load_dwordx8 s[12:19], s[4:5], 0x10
	s_add_u32 s26, s4, 0x88
	s_addc_u32 s27, s5, 0
	s_mov_b64 s[2:3], 0
	s_mov_b64 s[10:11], 0
	s_waitcnt lgkmcnt(0)
	s_cmp_eq_u64 s[12:13], 0
	s_cbranch_scc1 .LBB40_3
; %bb.2:
	s_ashr_i32 s11, s14, 31
	s_mov_b32 s10, s14
	s_mul_i32 s14, s8, s17
	s_mul_hi_u32 s17, s8, s16
	s_add_i32 s14, s17, s14
	s_mul_i32 s17, s9, s16
	s_add_i32 s17, s14, s17
	s_mul_i32 s16, s8, s16
	s_lshl_b64 s[16:17], s[16:17], 2
	s_add_u32 s12, s12, s16
	s_addc_u32 s13, s13, s17
	s_lshl_b64 s[10:11], s[10:11], 2
	s_add_u32 s10, s12, s10
	s_addc_u32 s11, s13, s11
.LBB40_3:
	s_load_dwordx2 s[12:13], s[4:5], 0x30
	s_cmp_eq_u64 s[18:19], 0
	s_cbranch_scc1 .LBB40_5
; %bb.4:
	s_lshl_b64 s[2:3], s[8:9], 3
	s_add_u32 s2, s18, s2
	s_addc_u32 s3, s19, s3
	s_load_dwordx2 s[2:3], s[2:3], 0x0
	s_waitcnt lgkmcnt(0)
	s_ashr_i32 s17, s12, 31
	s_mov_b32 s16, s12
	s_lshl_b64 s[16:17], s[16:17], 2
	s_add_u32 s2, s2, s16
	s_addc_u32 s3, s3, s17
.LBB40_5:
	s_load_dwordx4 s[16:19], s[4:5], 0x40
	s_mov_b64 s[24:25], 0
	s_waitcnt lgkmcnt(0)
	s_cmp_eq_u64 s[16:17], 0
	s_cbranch_scc1 .LBB40_7
; %bb.6:
	s_lshl_b64 s[20:21], s[8:9], 3
	s_add_u32 s16, s16, s20
	s_addc_u32 s17, s17, s21
	s_load_dwordx2 s[16:17], s[16:17], 0x0
	s_ashr_i32 s21, s18, 31
	s_mov_b32 s20, s18
	s_lshl_b64 s[20:21], s[20:21], 2
	s_waitcnt lgkmcnt(0)
	s_add_u32 s24, s16, s20
	s_addc_u32 s25, s17, s21
.LBB40_7:
	s_load_dwordx4 s[20:23], s[4:5], 0x60
	s_mul_i32 s1, s8, s1
	s_mul_hi_u32 s12, s8, s0
	s_add_i32 s1, s12, s1
	s_mul_i32 s9, s9, s0
	s_add_i32 s1, s1, s9
	s_mul_i32 s0, s8, s0
	s_lshl_b64 s[16:17], s[0:1], 2
	s_waitcnt lgkmcnt(0)
	s_add_u32 s0, s22, s16
	s_addc_u32 s1, s23, s17
	s_load_dword s0, s[0:1], 0x8
	s_waitcnt lgkmcnt(0)
	v_cvt_i32_f32_e32 v4, s0
	v_cmp_ge_i32_e32 vcc, s7, v4
	s_cbranch_vccnz .LBB40_25
; %bb.8:
	s_load_dwordx4 s[28:31], s[4:5], 0x0
	s_load_dword s12, s[4:5], 0x58
	s_load_dword s9, s[4:5], 0x94
	;; [unrolled: 1-line block ×3, first 2 shown]
	v_mov_b32_e32 v8, 0
	s_waitcnt lgkmcnt(0)
	s_mul_i32 s0, s8, s28
	s_lshl_b32 s0, s0, 1
	s_ashr_i32 s1, s0, 31
	s_lshl_b64 s[0:1], s[0:1], 2
	s_add_u32 s36, s20, s0
	s_addc_u32 s37, s21, s1
	s_and_b32 s0, 0xffff, s9
	s_mul_i32 s6, s6, s0
	s_cmp_eq_u32 s29, 0
	v_add_u32_e32 v5, s6, v0
	s_cselect_b64 s[0:1], -1, 0
	s_cmp_lg_u64 s[10:11], 0
	s_cselect_b64 s[4:5], -1, 0
	v_cmp_gt_i32_e32 vcc, s29, v5
	s_and_b64 s[4:5], vcc, s[4:5]
	s_cmp_lg_u64 s[2:3], 0
	s_cselect_b64 s[8:9], -1, 0
	v_cmp_gt_i32_e32 vcc, s30, v5
	s_and_b64 s[8:9], vcc, s[8:9]
	s_cmp_lg_u64 s[24:25], 0
	v_mul_lo_u32 v6, v5, s15
	s_cselect_b64 s[14:15], -1, 0
	v_cmp_gt_i32_e32 vcc, s31, v5
	s_and_b64 s[14:15], vcc, s[14:15]
	s_load_dword s6, s[26:27], 0x4
	s_add_u32 s38, s22, s16
	s_addc_u32 s39, s23, s17
	s_add_u32 s40, s38, 20
	v_mul_lo_u32 v7, v5, s19
	s_addc_u32 s41, s39, 0
	s_branch .LBB40_12
.LBB40_9:                               ;   in Loop: Header=BB40_12 Depth=1
	v_mov_b32_e32 v0, s21
	v_subrev_co_u32_e32 v1, vcc, s20, v2
	s_add_u32 s16, s18, s24
	v_subb_co_u32_e32 v2, vcc, v3, v0, vcc
	s_addc_u32 s17, s19, s25
	v_mov_b32_e32 v3, s17
	v_add_co_u32_e32 v0, vcc, s16, v1
	v_addc_co_u32_e32 v1, vcc, v3, v2, vcc
	flat_store_dword v[0:1], v9
.LBB40_10:                              ;   in Loop: Header=BB40_12 Depth=1
	s_or_b64 exec, exec, s[28:29]
.LBB40_11:                              ;   in Loop: Header=BB40_12 Depth=1
	s_add_i32 s7, s6, s7
	v_cmp_lt_i32_e32 vcc, s7, v4
	s_cbranch_vccz .LBB40_25
.LBB40_12:                              ; =>This Loop Header: Depth=1
                                        ;     Child Loop BB40_16 Depth 2
                                        ;     Child Loop BB40_20 Depth 2
	;; [unrolled: 1-line block ×3, first 2 shown]
	s_lshl_b32 s16, s7, 2
	s_ashr_i32 s17, s16, 31
	s_lshl_b64 s[16:17], s[16:17], 2
	s_add_u32 s16, s36, s16
	s_addc_u32 s17, s37, s17
	s_load_dwordx2 s[18:19], s[16:17], 0x0
	s_load_dword s22, s[16:17], 0x8
	s_waitcnt lgkmcnt(0)
	s_cmp_le_i32 s22, s19
	s_cbranch_scc1 .LBB40_11
; %bb.13:                               ;   in Loop: Header=BB40_12 Depth=1
	s_load_dword s16, s[16:17], 0xc
	s_waitcnt lgkmcnt(0)
	s_cmp_lt_i32 s16, s12
	s_cselect_b64 s[16:17], -1, 0
	s_cmp_lg_u32 s18, 0
	s_cselect_b64 s[20:21], -1, 0
	s_and_b64 s[16:17], s[16:17], s[20:21]
	s_andn2_b64 vcc, exec, s[16:17]
	s_cbranch_vccnz .LBB40_11
; %bb.14:                               ;   in Loop: Header=BB40_12 Depth=1
	s_mul_i32 s20, s19, s33
	s_ashr_i32 s21, s20, 31
	s_cmp_gt_i32 s18, 0
	s_cselect_b64 s[26:27], -1, 0
	s_sub_i32 s16, s22, s19
	s_and_saveexec_b64 s[28:29], s[4:5]
	s_cbranch_execz .LBB40_18
; %bb.15:                               ;   in Loop: Header=BB40_12 Depth=1
	s_and_b64 s[30:31], s[26:27], exec
	s_cselect_b32 s17, s19, s22
	v_add_u32_e32 v2, s17, v6
	v_ashrrev_i32_e32 v3, 31, v2
	v_lshlrev_b64 v[0:1], 2, v[2:3]
	v_mov_b32_e32 v11, s11
	v_add_co_u32_e32 v0, vcc, s10, v0
	v_addc_co_u32_e32 v1, vcc, v11, v1, vcc
	flat_load_dword v9, v[0:1]
	s_add_i32 s17, s16, -1
	s_and_b64 s[30:31], s[26:27], exec
	s_cselect_b32 s30, 0, s17
	s_ashr_i32 s31, s30, 31
	s_lshl_b64 s[30:31], s[30:31], 2
	s_lshl_b64 s[34:35], s[20:21], 2
	s_add_u32 s43, s30, s34
	s_addc_u32 s44, s31, s35
	s_add_u32 s17, s38, s43
	s_addc_u32 s42, s39, s44
	s_ashr_i32 s31, s18, 31
	s_mov_b32 s30, s18
	s_ashr_i32 s23, s22, 31
	s_lshl_b64 s[30:31], s[30:31], 2
	s_lshl_b64 s[34:35], s[22:23], 2
	s_add_u32 s23, s43, s34
	s_addc_u32 s43, s44, s35
	s_ashr_i32 s35, s19, 31
	s_mov_b32 s34, s19
	s_lshl_b64 s[34:35], s[34:35], 2
	v_add_u32_e32 v2, s18, v2
	s_sub_u32 s23, s23, s34
	v_ashrrev_i32_e32 v3, 31, v2
	s_subb_u32 s34, s43, s35
	v_lshlrev_b64 v[2:3], 2, v[2:3]
	s_add_u32 s23, s40, s23
	v_add_co_u32_e32 v10, vcc, s10, v2
	s_addc_u32 s43, s41, s34
	v_addc_co_u32_e32 v11, vcc, v11, v3, vcc
	s_mov_b64 s[34:35], 0
	s_mov_b32 s44, s16
.LBB40_16:                              ;   Parent Loop BB40_12 Depth=1
                                        ; =>  This Inner Loop Header: Depth=2
	s_add_u32 s46, s17, s34
	s_addc_u32 s47, s42, s35
	v_mov_b32_e32 v14, s35
	v_add_co_u32_e32 v12, vcc, s34, v10
	s_add_u32 s48, s23, s34
	v_addc_co_u32_e32 v13, vcc, v11, v14, vcc
	s_addc_u32 s49, s43, s35
	flat_load_dword v15, v[12:13]
	global_load_dword v16, v8, s[46:47] offset:16
	global_load_dword v17, v8, s[48:49]
	v_add_co_u32_e32 v12, vcc, s34, v0
	s_add_i32 s44, s44, -1
	v_addc_co_u32_e32 v13, vcc, v1, v14, vcc
	s_add_u32 s34, s34, s30
	s_addc_u32 s35, s35, s31
	s_cmp_eq_u32 s44, 0
	s_waitcnt vmcnt(0) lgkmcnt(0)
	v_mul_f32_e32 v14, v15, v17
	v_fma_f32 v14, v9, v16, -v14
	v_mul_f32_e32 v9, v9, v17
	v_fmac_f32_e32 v9, v15, v16
	flat_store_dword v[12:13], v14
	s_cbranch_scc0 .LBB40_16
; %bb.17:                               ;   in Loop: Header=BB40_12 Depth=1
	v_mov_b32_e32 v0, s31
	v_subrev_co_u32_e32 v1, vcc, s30, v2
	s_add_u32 s17, s34, s10
	v_subb_co_u32_e32 v2, vcc, v3, v0, vcc
	s_addc_u32 s23, s35, s11
	v_mov_b32_e32 v3, s23
	v_add_co_u32_e32 v0, vcc, s17, v1
	v_addc_co_u32_e32 v1, vcc, v3, v2, vcc
	flat_store_dword v[0:1], v9
.LBB40_18:                              ;   in Loop: Header=BB40_12 Depth=1
	s_or_b64 exec, exec, s[28:29]
	s_lshl_b32 s17, s16, 1
	s_add_i32 s17, s17, 2
	s_and_b64 s[28:29], s[0:1], exec
	s_cselect_b32 s23, 0, s17
	s_and_saveexec_b64 s[28:29], s[8:9]
	s_cbranch_execz .LBB40_22
; %bb.19:                               ;   in Loop: Header=BB40_12 Depth=1
	s_and_b64 s[30:31], s[26:27], exec
	s_cselect_b32 s46, s19, s22
	s_mul_i32 s42, s46, s13
	v_add_u32_e32 v0, s42, v5
	v_ashrrev_i32_e32 v1, 31, v0
	v_lshlrev_b64 v[0:1], 2, v[0:1]
	v_mov_b32_e32 v2, s3
	v_add_co_u32_e32 v0, vcc, s2, v0
	v_addc_co_u32_e32 v1, vcc, v2, v1, vcc
	flat_load_dword v2, v[0:1]
	s_add_i32 s17, s16, -1
	s_and_b64 s[30:31], s[26:27], exec
	s_cselect_b32 s17, 0, s17
	s_add_i32 s30, s23, s17
	s_ashr_i32 s31, s30, 31
	s_ashr_i32 s17, s16, 31
	s_lshl_b64 s[34:35], s[20:21], 2
	s_lshl_b64 s[30:31], s[30:31], 2
	s_add_u32 s30, s34, s30
	s_addc_u32 s31, s35, s31
	s_add_u32 s30, s38, s30
	s_addc_u32 s31, s39, s31
	s_ashr_i32 s35, s18, 31
	s_mov_b32 s34, s18
	s_lshl_b64 s[34:35], s[34:35], 2
	s_lshl_b64 s[44:45], s[16:17], 2
	s_add_u32 s17, s44, 20
	s_addc_u32 s43, s45, 0
	s_add_i32 s46, s46, s18
	s_mul_i32 s44, s13, s46
	s_mul_i32 s45, s13, s18
	v_mov_b32_e32 v3, v5
	s_mov_b32 s46, s16
.LBB40_20:                              ;   Parent Loop BB40_12 Depth=1
                                        ; =>  This Inner Loop Header: Depth=2
	v_add_u32_e32 v0, s44, v3
	v_ashrrev_i32_e32 v1, 31, v0
	v_lshlrev_b64 v[0:1], 2, v[0:1]
	v_mov_b32_e32 v9, s3
	s_add_u32 s48, s30, s17
	v_add_co_u32_e32 v0, vcc, s2, v0
	s_addc_u32 s49, s31, s43
	v_addc_co_u32_e32 v1, vcc, v9, v1, vcc
	global_load_dword v12, v8, s[30:31] offset:16
	global_load_dword v13, v8, s[48:49]
	flat_load_dword v14, v[0:1]
	v_add_u32_e32 v10, s42, v3
	v_ashrrev_i32_e32 v11, 31, v10
	v_lshlrev_b64 v[10:11], 2, v[10:11]
	s_add_i32 s46, s46, -1
	v_add_co_u32_e32 v10, vcc, s2, v10
	s_add_u32 s30, s30, s34
	v_addc_co_u32_e32 v11, vcc, v9, v11, vcc
	s_addc_u32 s31, s31, s35
	v_add_u32_e32 v3, s45, v3
	s_cmp_eq_u32 s46, 0
	s_waitcnt vmcnt(0) lgkmcnt(0)
	v_mul_f32_e32 v9, v14, v13
	v_fma_f32 v9, v2, v12, -v9
	v_mul_f32_e32 v2, v2, v13
	v_fmac_f32_e32 v2, v14, v12
	flat_store_dword v[10:11], v9
	s_cbranch_scc0 .LBB40_20
; %bb.21:                               ;   in Loop: Header=BB40_12 Depth=1
	flat_store_dword v[0:1], v2
.LBB40_22:                              ;   in Loop: Header=BB40_12 Depth=1
	s_or_b64 exec, exec, s[28:29]
	s_and_saveexec_b64 s[28:29], s[14:15]
	s_cbranch_execz .LBB40_10
; %bb.23:                               ;   in Loop: Header=BB40_12 Depth=1
	s_and_b64 s[30:31], s[26:27], exec
	s_cselect_b32 s17, s19, s22
	v_add_u32_e32 v2, s17, v7
	v_ashrrev_i32_e32 v3, 31, v2
	v_lshlrev_b64 v[0:1], 2, v[2:3]
	v_mov_b32_e32 v11, s25
	v_add_co_u32_e32 v0, vcc, s24, v0
	v_addc_co_u32_e32 v1, vcc, v11, v1, vcc
	flat_load_dword v9, v[0:1]
	s_add_i32 s17, s16, -1
	s_and_b64 s[26:27], s[26:27], exec
	s_cselect_b32 s17, 0, s17
	s_add_i32 s22, s23, s17
	s_ashr_i32 s23, s22, 31
	s_ashr_i32 s17, s16, 31
	s_lshl_b64 s[20:21], s[20:21], 2
	s_lshl_b64 s[22:23], s[22:23], 2
	s_add_u32 s30, s20, s22
	s_addc_u32 s31, s21, s23
	s_add_u32 s22, s38, s30
	s_addc_u32 s23, s39, s31
	s_ashr_i32 s19, s18, 31
	s_lshl_b64 s[20:21], s[18:19], 2
	s_lshl_b64 s[26:27], s[16:17], 2
	v_add_u32_e32 v2, s18, v2
	s_add_u32 s17, s30, s26
	v_ashrrev_i32_e32 v3, 31, v2
	s_addc_u32 s19, s31, s27
	v_lshlrev_b64 v[2:3], 2, v[2:3]
	s_add_u32 s17, s40, s17
	v_add_co_u32_e32 v10, vcc, s24, v2
	s_addc_u32 s26, s41, s19
	v_addc_co_u32_e32 v11, vcc, v11, v3, vcc
	s_mov_b64 s[18:19], 0
.LBB40_24:                              ;   Parent Loop BB40_12 Depth=1
                                        ; =>  This Inner Loop Header: Depth=2
	s_add_u32 s30, s22, s18
	s_addc_u32 s31, s23, s19
	v_mov_b32_e32 v14, s19
	v_add_co_u32_e32 v12, vcc, s18, v10
	s_add_u32 s34, s17, s18
	v_addc_co_u32_e32 v13, vcc, v11, v14, vcc
	s_addc_u32 s35, s26, s19
	flat_load_dword v15, v[12:13]
	global_load_dword v16, v8, s[30:31] offset:16
	global_load_dword v17, v8, s[34:35]
	v_add_co_u32_e32 v12, vcc, s18, v0
	s_add_i32 s16, s16, -1
	v_addc_co_u32_e32 v13, vcc, v1, v14, vcc
	s_add_u32 s18, s18, s20
	s_addc_u32 s19, s19, s21
	s_cmp_eq_u32 s16, 0
	s_waitcnt vmcnt(0) lgkmcnt(0)
	v_mul_f32_e32 v14, v15, v17
	v_fma_f32 v14, v9, v16, -v14
	v_mul_f32_e32 v9, v9, v17
	v_fmac_f32_e32 v9, v15, v16
	flat_store_dword v[12:13], v14
	s_cbranch_scc0 .LBB40_24
	s_branch .LBB40_9
.LBB40_25:
	s_endpgm
	.section	.rodata,"a",@progbits
	.p2align	6, 0x0
	.amdhsa_kernel _ZN9rocsolver6v33100L12bdsqr_rotateIffPfPKS2_S4_EEviiiiT1_iilT2_iilT3_iiliPiPT0_ilS8_
		.amdhsa_group_segment_fixed_size 0
		.amdhsa_private_segment_fixed_size 0
		.amdhsa_kernarg_size 392
		.amdhsa_user_sgpr_count 6
		.amdhsa_user_sgpr_private_segment_buffer 1
		.amdhsa_user_sgpr_dispatch_ptr 0
		.amdhsa_user_sgpr_queue_ptr 0
		.amdhsa_user_sgpr_kernarg_segment_ptr 1
		.amdhsa_user_sgpr_dispatch_id 0
		.amdhsa_user_sgpr_flat_scratch_init 0
		.amdhsa_user_sgpr_kernarg_preload_length 0
		.amdhsa_user_sgpr_kernarg_preload_offset 0
		.amdhsa_user_sgpr_private_segment_size 0
		.amdhsa_uses_dynamic_stack 0
		.amdhsa_system_sgpr_private_segment_wavefront_offset 0
		.amdhsa_system_sgpr_workgroup_id_x 1
		.amdhsa_system_sgpr_workgroup_id_y 1
		.amdhsa_system_sgpr_workgroup_id_z 1
		.amdhsa_system_sgpr_workgroup_info 0
		.amdhsa_system_vgpr_workitem_id 0
		.amdhsa_next_free_vgpr 18
		.amdhsa_next_free_sgpr 50
		.amdhsa_accum_offset 20
		.amdhsa_reserve_vcc 1
		.amdhsa_reserve_flat_scratch 0
		.amdhsa_float_round_mode_32 0
		.amdhsa_float_round_mode_16_64 0
		.amdhsa_float_denorm_mode_32 3
		.amdhsa_float_denorm_mode_16_64 3
		.amdhsa_dx10_clamp 1
		.amdhsa_ieee_mode 1
		.amdhsa_fp16_overflow 0
		.amdhsa_tg_split 0
		.amdhsa_exception_fp_ieee_invalid_op 0
		.amdhsa_exception_fp_denorm_src 0
		.amdhsa_exception_fp_ieee_div_zero 0
		.amdhsa_exception_fp_ieee_overflow 0
		.amdhsa_exception_fp_ieee_underflow 0
		.amdhsa_exception_fp_ieee_inexact 0
		.amdhsa_exception_int_div_zero 0
	.end_amdhsa_kernel
	.section	.text._ZN9rocsolver6v33100L12bdsqr_rotateIffPfPKS2_S4_EEviiiiT1_iilT2_iilT3_iiliPiPT0_ilS8_,"axG",@progbits,_ZN9rocsolver6v33100L12bdsqr_rotateIffPfPKS2_S4_EEviiiiT1_iilT2_iilT3_iiliPiPT0_ilS8_,comdat
.Lfunc_end40:
	.size	_ZN9rocsolver6v33100L12bdsqr_rotateIffPfPKS2_S4_EEviiiiT1_iilT2_iilT3_iiliPiPT0_ilS8_, .Lfunc_end40-_ZN9rocsolver6v33100L12bdsqr_rotateIffPfPKS2_S4_EEviiiiT1_iilT2_iilT3_iiliPiPT0_ilS8_
                                        ; -- End function
	.section	.AMDGPU.csdata,"",@progbits
; Kernel info:
; codeLenInByte = 1616
; NumSgprs: 54
; NumVgprs: 18
; NumAgprs: 0
; TotalNumVgprs: 18
; ScratchSize: 0
; MemoryBound: 0
; FloatMode: 240
; IeeeMode: 1
; LDSByteSize: 0 bytes/workgroup (compile time only)
; SGPRBlocks: 6
; VGPRBlocks: 2
; NumSGPRsForWavesPerEU: 54
; NumVGPRsForWavesPerEU: 18
; AccumOffset: 20
; Occupancy: 8
; WaveLimiterHint : 1
; COMPUTE_PGM_RSRC2:SCRATCH_EN: 0
; COMPUTE_PGM_RSRC2:USER_SGPR: 6
; COMPUTE_PGM_RSRC2:TRAP_HANDLER: 0
; COMPUTE_PGM_RSRC2:TGID_X_EN: 1
; COMPUTE_PGM_RSRC2:TGID_Y_EN: 1
; COMPUTE_PGM_RSRC2:TGID_Z_EN: 1
; COMPUTE_PGM_RSRC2:TIDIG_COMP_CNT: 0
; COMPUTE_PGM_RSRC3_GFX90A:ACCUM_OFFSET: 4
; COMPUTE_PGM_RSRC3_GFX90A:TG_SPLIT: 0
	.section	.text._ZN9rocsolver6v33100L14bdsqr_finalizeIffPfPKS2_S4_EEviiiiPT0_lS6_lT1_iilT2_iilT3_iilPiSA_SA_,"axG",@progbits,_ZN9rocsolver6v33100L14bdsqr_finalizeIffPfPKS2_S4_EEviiiiPT0_lS6_lT1_iilT2_iilT3_iilPiSA_SA_,comdat
	.globl	_ZN9rocsolver6v33100L14bdsqr_finalizeIffPfPKS2_S4_EEviiiiPT0_lS6_lT1_iilT2_iilT3_iilPiSA_SA_ ; -- Begin function _ZN9rocsolver6v33100L14bdsqr_finalizeIffPfPKS2_S4_EEviiiiPT0_lS6_lT1_iilT2_iilT3_iilPiSA_SA_
	.p2align	8
	.type	_ZN9rocsolver6v33100L14bdsqr_finalizeIffPfPKS2_S4_EEviiiiPT0_lS6_lT1_iilT2_iilT3_iilPiSA_SA_,@function
_ZN9rocsolver6v33100L14bdsqr_finalizeIffPfPKS2_S4_EEviiiiPT0_lS6_lT1_iilT2_iilT3_iilPiSA_SA_: ; @_ZN9rocsolver6v33100L14bdsqr_finalizeIffPfPKS2_S4_EEviiiiPT0_lS6_lT1_iilT2_iilT3_iilPiSA_SA_
; %bb.0:
	s_add_u32 flat_scratch_lo, s6, s10
	s_addc_u32 flat_scratch_hi, s7, 0
	s_load_dwordx2 s[6:7], s[4:5], 0x88
	s_add_u32 s0, s0, s10
	s_addc_u32 s1, s1, 0
	s_mov_b32 s12, s9
	s_ashr_i32 s13, s9, 31
	s_lshl_b64 s[26:27], s[12:13], 2
	s_waitcnt lgkmcnt(0)
	s_add_u32 s6, s6, s26
	s_addc_u32 s7, s7, s27
	s_load_dword s6, s[6:7], 0x8
	s_mov_b32 s32, 0
	s_waitcnt lgkmcnt(0)
	s_cmp_gt_i32 s6, 1
	s_cbranch_scc1 .LBB41_264
; %bb.1:
	s_load_dwordx2 s[6:7], s[4:5], 0x9c
	s_load_dwordx8 s[36:43], s[4:5], 0x30
	s_load_dwordx8 s[44:51], s[4:5], 0x10
	s_mov_b64 s[28:29], 0
	s_mov_b64 s[34:35], 0
	s_waitcnt lgkmcnt(0)
	s_and_b32 s7, s7, 0xffff
	s_cmp_eq_u64 s[36:37], 0
	s_cbranch_scc1 .LBB41_3
; %bb.2:
	s_mul_i32 s10, s12, s41
	s_mul_hi_u32 s11, s12, s40
	s_add_i32 s10, s11, s10
	s_mul_i32 s11, s13, s40
	s_add_i32 s11, s10, s11
	s_mul_i32 s10, s12, s40
	s_ashr_i32 s9, s38, 31
	s_lshl_b64 s[10:11], s[10:11], 2
	s_mov_b32 s8, s38
	s_add_u32 s10, s36, s10
	s_addc_u32 s11, s37, s11
	s_lshl_b64 s[8:9], s[8:9], 2
	s_add_u32 s34, s10, s8
	s_addc_u32 s35, s11, s9
.LBB41_3:
	s_load_dwordx2 s[36:37], s[4:5], 0x50
	s_cmp_eq_u64 s[42:43], 0
	s_cbranch_scc1 .LBB41_5
; %bb.4:
	s_lshl_b64 s[8:9], s[12:13], 3
	s_add_u32 s8, s42, s8
	s_addc_u32 s9, s43, s9
	s_load_dwordx2 s[8:9], s[8:9], 0x0
	s_waitcnt lgkmcnt(0)
	s_ashr_i32 s11, s36, 31
	s_mov_b32 s10, s36
	s_lshl_b64 s[10:11], s[10:11], 2
	s_add_u32 s28, s8, s10
	s_addc_u32 s29, s9, s11
.LBB41_5:
	s_load_dwordx4 s[56:59], s[4:5], 0x60
	s_load_dwordx4 s[40:43], s[4:5], 0x78
	s_mov_b64 s[60:61], 0
	s_waitcnt lgkmcnt(0)
	s_cmp_eq_u64 s[56:57], 0
	s_cbranch_scc1 .LBB41_7
; %bb.6:
	s_lshl_b64 s[8:9], s[12:13], 3
	s_add_u32 s8, s56, s8
	s_addc_u32 s9, s57, s9
	s_load_dwordx2 s[8:9], s[8:9], 0x0
	s_ashr_i32 s11, s58, 31
	s_mov_b32 s10, s58
	s_lshl_b64 s[10:11], s[10:11], 2
	s_waitcnt lgkmcnt(0)
	s_add_u32 s60, s8, s10
	s_addc_u32 s61, s9, s11
.LBB41_7:
	s_mul_i32 s8, s12, s47
	s_mul_hi_u32 s9, s12, s46
	s_add_i32 s8, s9, s8
	s_mul_i32 s9, s13, s46
	s_add_i32 s9, s8, s9
	s_mul_i32 s8, s12, s46
	s_lshl_b64 s[56:57], s[8:9], 2
	s_add_u32 s46, s44, s56
	s_load_dwordx4 s[52:55], s[4:5], 0x0
	s_addc_u32 s47, s45, s57
	s_lshr_b32 s8, s6, 16
	s_and_b32 s36, s6, 0xffff
	v_bfe_u32 v43, v0, 10, 10
	v_bfe_u32 v44, v0, 20, 10
	s_mul_i32 s58, s8, s36
	v_and_b32_e32 v42, 0x3ff, v0
	v_mul_u32_u24_e32 v1, s36, v43
	v_mul_lo_u32 v0, s58, v44
	v_add3_u32 v41, v1, v42, v0
	s_and_b32 s6, s7, 0xffff
	s_mul_i32 s58, s58, s6
	s_waitcnt lgkmcnt(0)
	s_cmp_lt_i32 s52, 1
	v_cmp_eq_u32_e64 s[6:7], 0, v41
	s_cbranch_scc1 .LBB41_22
; %bb.8:
	s_mul_i32 s8, s12, s51
	s_mul_hi_u32 s9, s12, s50
	s_add_i32 s8, s9, s8
	s_mul_i32 s9, s13, s50
	s_add_i32 s9, s8, s9
	s_mul_i32 s8, s12, s50
	s_lshl_b64 s[8:9], s[8:9], 2
	s_add_u32 s13, s48, s8
	s_addc_u32 s22, s49, s9
	s_add_i32 s23, s52, -1
	s_cmp_lg_u32 s53, 0
	s_cselect_b64 s[10:11], -1, 0
	s_mov_b32 s15, 0
	v_cndmask_b32_e64 v0, 0, 1, s[10:11]
	v_cmp_gt_u32_e64 s[8:9], s53, v41
	s_ashr_i32 s24, s39, 31
	s_mov_b32 s25, s39
	v_mov_b32_e32 v2, 0
	v_cmp_ne_u32_e64 s[10:11], 1, v0
	v_mov_b32_e32 v3, s35
	s_mov_b32 s14, s15
	s_mov_b32 s38, s15
	s_branch .LBB41_11
.LBB41_9:                               ;   in Loop: Header=BB41_11 Depth=1
	s_or_b64 exec, exec, s[18:19]
.LBB41_10:                              ;   in Loop: Header=BB41_11 Depth=1
	s_add_i32 s14, s14, 1
	s_cmp_eq_u32 s14, s52
	s_cbranch_scc1 .LBB41_23
.LBB41_11:                              ; =>This Loop Header: Depth=1
                                        ;     Child Loop BB41_18 Depth 2
	s_cmp_ge_i32 s14, s23
	s_cbranch_scc1 .LBB41_14
; %bb.12:                               ;   in Loop: Header=BB41_11 Depth=1
	s_lshl_b64 s[16:17], s[14:15], 2
	s_add_u32 s16, s13, s16
	s_addc_u32 s17, s22, s17
	global_load_dword v0, v2, s[16:17]
	s_waitcnt vmcnt(0)
	v_cmp_eq_f32_e32 vcc, 0, v0
	s_cbranch_vccnz .LBB41_14
; %bb.13:                               ;   in Loop: Header=BB41_11 Depth=1
	s_add_i32 s38, s38, 1
.LBB41_14:                              ;   in Loop: Header=BB41_11 Depth=1
	s_lshl_b64 s[16:17], s[14:15], 2
	s_add_u32 s16, s46, s16
	s_addc_u32 s17, s47, s17
	global_load_dword v0, v2, s[16:17]
	s_waitcnt vmcnt(0)
	v_cmp_ngt_f32_e32 vcc, 0, v0
	s_cbranch_vccnz .LBB41_10
; %bb.15:                               ;   in Loop: Header=BB41_11 Depth=1
	s_and_b64 vcc, exec, s[10:11]
	s_cbranch_vccnz .LBB41_20
; %bb.16:                               ;   in Loop: Header=BB41_11 Depth=1
	s_and_saveexec_b64 s[18:19], s[8:9]
	s_cbranch_execz .LBB41_19
; %bb.17:                               ;   in Loop: Header=BB41_11 Depth=1
	s_mov_b64 s[20:21], 0
	v_pk_mov_b32 v[0:1], s[14:15], s[14:15] op_sel:[0,1]
	v_mov_b32_e32 v4, v41
.LBB41_18:                              ;   Parent Loop BB41_11 Depth=1
                                        ; =>  This Inner Loop Header: Depth=2
	v_mad_u64_u32 v[6:7], s[30:31], v4, s25, v[0:1]
	v_mov_b32_e32 v8, v7
	v_mad_u64_u32 v[8:9], s[30:31], v4, s24, v[8:9]
	v_mov_b32_e32 v7, v8
	v_lshlrev_b64 v[6:7], 2, v[6:7]
	v_add_co_u32_e32 v6, vcc, s34, v6
	v_addc_co_u32_e32 v7, vcc, v3, v7, vcc
	flat_load_dword v5, v[6:7]
	v_add_u32_e32 v4, s58, v4
	v_cmp_le_u32_e32 vcc, s53, v4
	s_or_b64 s[20:21], vcc, s[20:21]
	s_waitcnt vmcnt(0) lgkmcnt(0)
	v_xor_b32_e32 v5, 0x80000000, v5
	flat_store_dword v[6:7], v5
	s_andn2_b64 exec, exec, s[20:21]
	s_cbranch_execnz .LBB41_18
.LBB41_19:                              ;   in Loop: Header=BB41_11 Depth=1
	s_or_b64 exec, exec, s[18:19]
	s_waitcnt lgkmcnt(0)
	s_barrier
.LBB41_20:                              ;   in Loop: Header=BB41_11 Depth=1
	s_and_saveexec_b64 s[18:19], s[6:7]
	s_cbranch_execz .LBB41_9
; %bb.21:                               ;   in Loop: Header=BB41_11 Depth=1
	global_load_dword v0, v2, s[16:17]
	s_waitcnt vmcnt(0)
	v_xor_b32_e32 v0, 0x80000000, v0
	global_store_dword v2, v0, s[16:17]
	s_branch .LBB41_9
.LBB41_22:
	s_mov_b32 s38, 0
.LBB41_23:
	s_cmp_lt_i32 s38, 1
	s_mov_b64 s[6:7], -1
	s_cbranch_scc0 .LBB41_261
; %bb.24:
	s_mul_i32 s6, s12, s52
	s_lshl_b32 s6, s6, 1
	s_ashr_i32 s7, s6, 31
	s_lshl_b64 s[6:7], s[6:7], 2
	s_add_u32 s6, s42, s6
	s_addc_u32 s7, s43, s7
	s_cmp_lg_u64 s[42:43], 0
	s_cselect_b32 s49, s7, 0
	s_cselect_b32 s48, s6, 0
	s_mov_b64 s[62:63], 0
	s_cmp_lg_u64 s[48:49], 0
	s_barrier
	s_cbranch_scc0 .LBB41_40
; %bb.25:
	s_or_b32 s6, s54, s53
	s_or_b32 s8, s6, s55
	s_cmp_gt_i32 s52, 0
	s_cselect_b64 s[64:65], -1, 0
	s_cmp_lg_u64 s[44:45], 0
	s_cselect_b64 s[6:7], -1, 0
	s_and_b64 s[42:43], s[64:65], s[6:7]
	s_cmp_eq_u32 s8, 0
	s_cbranch_scc1 .LBB41_41
; %bb.26:
	s_mov_b64 s[66:67], -1
	s_mov_b64 s[50:51], 0
	s_and_b64 vcc, exec, s[42:43]
	s_cbranch_vccz .LBB41_119
; %bb.27:
	v_cmp_gt_u32_e32 vcc, s52, v41
	s_barrier
	s_and_saveexec_b64 s[6:7], vcc
	s_cbranch_execz .LBB41_30
; %bb.28:
	s_mov_b64 s[8:9], 0
	v_mov_b32_e32 v1, 0
	v_mov_b32_e32 v2, s49
	;; [unrolled: 1-line block ×3, first 2 shown]
.LBB41_29:                              ; =>This Inner Loop Header: Depth=1
	v_lshlrev_b64 v[4:5], 2, v[0:1]
	v_add_co_u32_e32 v4, vcc, s48, v4
	v_addc_co_u32_e32 v5, vcc, v2, v5, vcc
	global_store_dword v[4:5], v0, off
	v_add_u32_e32 v0, s58, v0
	v_cmp_le_u32_e32 vcc, s52, v0
	s_or_b64 s[8:9], vcc, s[8:9]
	s_andn2_b64 exec, exec, s[8:9]
	s_cbranch_execnz .LBB41_29
.LBB41_30:
	s_or_b64 exec, exec, s[6:7]
	v_or3_b32 v0, v43, v44, v42
	v_cmp_eq_u32_e32 vcc, 0, v0
	s_barrier
	s_and_saveexec_b64 s[6:7], vcc
	s_cbranch_execz .LBB41_103
; %bb.31:
	s_cmpk_lt_i32 s52, 0x2be
	s_cbranch_scc1 .LBB41_42
; %bb.32:
	s_add_u32 s8, s48, 0xaf4
	s_addc_u32 s9, s49, 0
	s_mov_b64 s[10:11], 0x2bd
	v_mov_b32_e32 v0, 0
	s_mov_b64 s[12:13], s[46:47]
	s_branch .LBB41_34
.LBB41_33:                              ;   in Loop: Header=BB41_34 Depth=1
	s_lshl_b64 s[14:15], s[14:15], 2
	s_add_u32 s16, s46, s14
	s_addc_u32 s17, s47, s15
	s_add_u32 s14, s48, s14
	s_addc_u32 s15, s49, s15
	;; [unrolled: 2-line block ×5, first 2 shown]
	s_cmp_eq_u32 s10, s52
	global_store_dword v0, v2, s[16:17]
	global_store_dword v0, v1, s[14:15]
	s_cbranch_scc1 .LBB41_42
.LBB41_34:                              ; =>This Loop Header: Depth=1
                                        ;     Child Loop BB41_36 Depth 2
	s_lshl_b64 s[14:15], s[10:11], 2
	s_and_b32 s15, s15, 3
	s_add_u32 s16, s46, s14
	s_addc_u32 s17, s47, s15
	s_add_u32 s14, s48, s14
	s_addc_u32 s15, s49, s15
	global_load_dword v2, v0, s[16:17]
	global_load_dword v1, v0, s[14:15]
	s_mov_b64 s[16:17], s[12:13]
	s_mov_b64 s[18:19], s[8:9]
	;; [unrolled: 1-line block ×3, first 2 shown]
	s_branch .LBB41_36
.LBB41_35:                              ;   in Loop: Header=BB41_36 Depth=2
	global_load_dword v4, v0, s[18:19] offset:-2804
	s_add_u32 s30, s18, 0xfffff50c
	s_addc_u32 s31, s19, -1
	s_add_u32 s22, s14, 0xfffffd43
	s_addc_u32 s23, s15, -1
	global_store_dword v0, v3, s[16:17] offset:2804
	s_add_u32 s16, s16, 0xfffff50c
	s_addc_u32 s17, s17, -1
	s_cmpk_lt_i32 s14, 0x57a
	s_mov_b64 s[20:21], 0
	s_mov_b64 s[14:15], s[22:23]
	s_cselect_b64 s[24:25], -1, 0
	s_waitcnt vmcnt(1)
	global_store_dword v0, v4, s[18:19]
	s_mov_b64 s[18:19], s[30:31]
	s_andn2_b64 vcc, exec, s[24:25]
	s_cbranch_vccz .LBB41_38
.LBB41_36:                              ;   Parent Loop BB41_34 Depth=1
                                        ; =>  This Inner Loop Header: Depth=2
	global_load_dword v3, v0, s[16:17]
	s_mov_b64 s[20:21], -1
	s_waitcnt vmcnt(0)
	v_cmp_nlt_f32_e32 vcc, v3, v2
	s_cbranch_vccz .LBB41_35
; %bb.37:                               ;   in Loop: Header=BB41_34 Depth=1
                                        ; implicit-def: $sgpr18_sgpr19
                                        ; implicit-def: $sgpr16_sgpr17
                                        ; implicit-def: $sgpr22_sgpr23
.LBB41_38:                              ;   in Loop: Header=BB41_34 Depth=1
	s_andn2_b64 vcc, exec, s[20:21]
	s_cbranch_vccz .LBB41_33
; %bb.39:                               ;   in Loop: Header=BB41_34 Depth=1
	s_bfe_i64 s[14:15], s[22:23], 0x200000
	s_branch .LBB41_33
.LBB41_40:
	s_branch .LBB41_237
.LBB41_41:
	s_mov_b64 s[50:51], 0
	s_cbranch_execnz .LBB41_144
	s_branch .LBB41_232
.LBB41_42:
	s_cmpk_lt_i32 s52, 0x12e
	s_cbranch_scc1 .LBB41_51
; %bb.43:
	s_add_u32 s8, s48, 0x4b4
	s_addc_u32 s9, s49, 0
	s_mov_b64 s[10:11], 0x12d
	v_mov_b32_e32 v0, 0
	s_mov_b64 s[12:13], s[46:47]
	s_branch .LBB41_45
.LBB41_44:                              ;   in Loop: Header=BB41_45 Depth=1
	s_lshl_b64 s[14:15], s[14:15], 2
	s_add_u32 s16, s46, s14
	s_addc_u32 s17, s47, s15
	s_add_u32 s14, s48, s14
	s_addc_u32 s15, s49, s15
	;; [unrolled: 2-line block ×5, first 2 shown]
	s_cmp_lg_u32 s10, s52
	global_store_dword v0, v2, s[16:17]
	global_store_dword v0, v1, s[14:15]
	s_cbranch_scc0 .LBB41_51
.LBB41_45:                              ; =>This Loop Header: Depth=1
                                        ;     Child Loop BB41_47 Depth 2
	s_lshl_b64 s[14:15], s[10:11], 2
	s_and_b32 s15, s15, 3
	s_add_u32 s16, s46, s14
	s_addc_u32 s17, s47, s15
	s_add_u32 s14, s48, s14
	s_addc_u32 s15, s49, s15
	global_load_dword v2, v0, s[16:17]
	global_load_dword v1, v0, s[14:15]
	s_mov_b64 s[16:17], s[12:13]
	s_mov_b64 s[18:19], s[8:9]
	;; [unrolled: 1-line block ×3, first 2 shown]
	s_branch .LBB41_47
.LBB41_46:                              ;   in Loop: Header=BB41_47 Depth=2
	global_load_dword v4, v0, s[18:19] offset:-1204
	s_add_u32 s30, s18, 0xfffffb4c
	s_addc_u32 s31, s19, -1
	s_add_u32 s22, s14, 0xfffffed3
	s_addc_u32 s23, s15, -1
	global_store_dword v0, v3, s[16:17] offset:1204
	s_add_u32 s16, s16, 0xfffffb4c
	s_addc_u32 s17, s17, -1
	s_cmpk_lt_i32 s14, 0x25a
	s_mov_b64 s[20:21], 0
	s_mov_b64 s[14:15], s[22:23]
	s_cselect_b64 s[24:25], -1, 0
	s_waitcnt vmcnt(1)
	global_store_dword v0, v4, s[18:19]
	s_mov_b64 s[18:19], s[30:31]
	s_andn2_b64 vcc, exec, s[24:25]
	s_cbranch_vccz .LBB41_49
.LBB41_47:                              ;   Parent Loop BB41_45 Depth=1
                                        ; =>  This Inner Loop Header: Depth=2
	global_load_dword v3, v0, s[16:17]
	s_mov_b64 s[20:21], -1
	s_waitcnt vmcnt(0)
	v_cmp_nlt_f32_e32 vcc, v3, v2
	s_cbranch_vccz .LBB41_46
; %bb.48:                               ;   in Loop: Header=BB41_45 Depth=1
                                        ; implicit-def: $sgpr18_sgpr19
                                        ; implicit-def: $sgpr16_sgpr17
                                        ; implicit-def: $sgpr22_sgpr23
.LBB41_49:                              ;   in Loop: Header=BB41_45 Depth=1
	s_andn2_b64 vcc, exec, s[20:21]
	s_cbranch_vccz .LBB41_44
; %bb.50:                               ;   in Loop: Header=BB41_45 Depth=1
	s_bfe_i64 s[14:15], s[22:23], 0x200000
	s_branch .LBB41_44
.LBB41_51:
	s_cmpk_lt_i32 s52, 0x85
	s_cbranch_scc1 .LBB41_60
; %bb.52:
	s_add_u32 s8, s48, 0x210
	s_addc_u32 s9, s49, 0
	s_mov_b64 s[10:11], 0x84
	v_mov_b32_e32 v0, 0
	s_mov_b64 s[12:13], s[46:47]
	s_branch .LBB41_54
.LBB41_53:                              ;   in Loop: Header=BB41_54 Depth=1
	s_lshl_b64 s[14:15], s[14:15], 2
	s_add_u32 s16, s46, s14
	s_addc_u32 s17, s47, s15
	s_add_u32 s14, s48, s14
	s_addc_u32 s15, s49, s15
	;; [unrolled: 2-line block ×5, first 2 shown]
	s_cmp_lg_u32 s10, s52
	global_store_dword v0, v2, s[16:17]
	global_store_dword v0, v1, s[14:15]
	s_cbranch_scc0 .LBB41_60
.LBB41_54:                              ; =>This Loop Header: Depth=1
                                        ;     Child Loop BB41_56 Depth 2
	s_lshl_b64 s[14:15], s[10:11], 2
	s_and_b32 s15, s15, 3
	s_add_u32 s16, s46, s14
	s_addc_u32 s17, s47, s15
	s_add_u32 s14, s48, s14
	s_addc_u32 s15, s49, s15
	global_load_dword v2, v0, s[16:17]
	global_load_dword v1, v0, s[14:15]
	s_mov_b64 s[16:17], s[12:13]
	s_mov_b64 s[18:19], s[8:9]
	;; [unrolled: 1-line block ×3, first 2 shown]
	s_branch .LBB41_56
.LBB41_55:                              ;   in Loop: Header=BB41_56 Depth=2
	global_load_dword v4, v0, s[18:19] offset:-528
	s_add_u32 s30, s18, 0xfffffdf0
	s_addc_u32 s31, s19, -1
	s_add_u32 s22, s14, 0xffffff7c
	s_addc_u32 s23, s15, -1
	global_store_dword v0, v3, s[16:17] offset:528
	s_add_u32 s16, s16, 0xfffffdf0
	s_addc_u32 s17, s17, -1
	s_cmpk_lt_i32 s14, 0x108
	s_mov_b64 s[20:21], 0
	s_mov_b64 s[14:15], s[22:23]
	s_cselect_b64 s[24:25], -1, 0
	s_waitcnt vmcnt(1)
	global_store_dword v0, v4, s[18:19]
	s_mov_b64 s[18:19], s[30:31]
	s_andn2_b64 vcc, exec, s[24:25]
	s_cbranch_vccz .LBB41_58
.LBB41_56:                              ;   Parent Loop BB41_54 Depth=1
                                        ; =>  This Inner Loop Header: Depth=2
	global_load_dword v3, v0, s[16:17]
	s_mov_b64 s[20:21], -1
	s_waitcnt vmcnt(0)
	v_cmp_nlt_f32_e32 vcc, v3, v2
	s_cbranch_vccz .LBB41_55
; %bb.57:                               ;   in Loop: Header=BB41_54 Depth=1
                                        ; implicit-def: $sgpr18_sgpr19
                                        ; implicit-def: $sgpr16_sgpr17
                                        ; implicit-def: $sgpr22_sgpr23
.LBB41_58:                              ;   in Loop: Header=BB41_54 Depth=1
	s_andn2_b64 vcc, exec, s[20:21]
	s_cbranch_vccz .LBB41_53
; %bb.59:                               ;   in Loop: Header=BB41_54 Depth=1
	s_bfe_i64 s[14:15], s[22:23], 0x200000
	s_branch .LBB41_53
.LBB41_60:
	s_cmp_lt_i32 s52, 58
	s_cbranch_scc1 .LBB41_69
; %bb.61:
	s_add_u32 s8, s48, 0xe4
	s_addc_u32 s9, s49, 0
	s_mov_b64 s[10:11], 57
	v_mov_b32_e32 v0, 0
	s_mov_b64 s[12:13], s[46:47]
	s_branch .LBB41_63
.LBB41_62:                              ;   in Loop: Header=BB41_63 Depth=1
	s_lshl_b64 s[14:15], s[14:15], 2
	s_add_u32 s16, s46, s14
	s_addc_u32 s17, s47, s15
	s_add_u32 s14, s48, s14
	s_addc_u32 s15, s49, s15
	;; [unrolled: 2-line block ×5, first 2 shown]
	s_cmp_lg_u32 s10, s52
	global_store_dword v0, v2, s[16:17]
	global_store_dword v0, v1, s[14:15]
	s_cbranch_scc0 .LBB41_69
.LBB41_63:                              ; =>This Loop Header: Depth=1
                                        ;     Child Loop BB41_65 Depth 2
	s_lshl_b64 s[14:15], s[10:11], 2
	s_and_b32 s15, s15, 3
	s_add_u32 s16, s46, s14
	s_addc_u32 s17, s47, s15
	s_add_u32 s14, s48, s14
	s_addc_u32 s15, s49, s15
	global_load_dword v2, v0, s[16:17]
	global_load_dword v1, v0, s[14:15]
	s_mov_b64 s[16:17], s[12:13]
	s_mov_b64 s[18:19], s[8:9]
	;; [unrolled: 1-line block ×3, first 2 shown]
	s_branch .LBB41_65
.LBB41_64:                              ;   in Loop: Header=BB41_65 Depth=2
	global_load_dword v4, v0, s[18:19] offset:-228
	s_add_u32 s30, s18, 0xffffff1c
	s_addc_u32 s31, s19, -1
	s_add_u32 s22, s14, 0xffffffc7
	s_addc_u32 s23, s15, -1
	global_store_dword v0, v3, s[16:17] offset:228
	s_add_u32 s16, s16, 0xffffff1c
	s_addc_u32 s17, s17, -1
	s_cmpk_lt_i32 s14, 0x72
	s_mov_b64 s[20:21], 0
	s_mov_b64 s[14:15], s[22:23]
	s_cselect_b64 s[24:25], -1, 0
	s_waitcnt vmcnt(1)
	global_store_dword v0, v4, s[18:19]
	s_mov_b64 s[18:19], s[30:31]
	s_andn2_b64 vcc, exec, s[24:25]
	s_cbranch_vccz .LBB41_67
.LBB41_65:                              ;   Parent Loop BB41_63 Depth=1
                                        ; =>  This Inner Loop Header: Depth=2
	global_load_dword v3, v0, s[16:17]
	s_mov_b64 s[20:21], -1
	s_waitcnt vmcnt(0)
	v_cmp_nlt_f32_e32 vcc, v3, v2
	s_cbranch_vccz .LBB41_64
; %bb.66:                               ;   in Loop: Header=BB41_63 Depth=1
                                        ; implicit-def: $sgpr18_sgpr19
                                        ; implicit-def: $sgpr16_sgpr17
                                        ; implicit-def: $sgpr22_sgpr23
.LBB41_67:                              ;   in Loop: Header=BB41_63 Depth=1
	s_andn2_b64 vcc, exec, s[20:21]
	s_cbranch_vccz .LBB41_62
; %bb.68:                               ;   in Loop: Header=BB41_63 Depth=1
	s_bfe_i64 s[14:15], s[22:23], 0x200000
	s_branch .LBB41_62
.LBB41_69:
	s_cmp_lt_i32 s52, 24
	s_cbranch_scc1 .LBB41_78
; %bb.70:
	s_add_u32 s8, s48, 0x5c
	s_addc_u32 s9, s49, 0
	s_mov_b64 s[10:11], 23
	v_mov_b32_e32 v0, 0
	s_mov_b64 s[12:13], s[46:47]
	s_branch .LBB41_72
.LBB41_71:                              ;   in Loop: Header=BB41_72 Depth=1
	s_lshl_b64 s[14:15], s[14:15], 2
	s_add_u32 s16, s46, s14
	s_addc_u32 s17, s47, s15
	s_add_u32 s14, s48, s14
	s_addc_u32 s15, s49, s15
	;; [unrolled: 2-line block ×5, first 2 shown]
	s_cmp_lg_u32 s10, s52
	global_store_dword v0, v2, s[16:17]
	global_store_dword v0, v1, s[14:15]
	s_cbranch_scc0 .LBB41_78
.LBB41_72:                              ; =>This Loop Header: Depth=1
                                        ;     Child Loop BB41_74 Depth 2
	s_lshl_b64 s[14:15], s[10:11], 2
	s_and_b32 s15, s15, 3
	s_add_u32 s16, s46, s14
	s_addc_u32 s17, s47, s15
	s_add_u32 s14, s48, s14
	s_addc_u32 s15, s49, s15
	global_load_dword v2, v0, s[16:17]
	global_load_dword v1, v0, s[14:15]
	s_mov_b64 s[16:17], s[12:13]
	s_mov_b64 s[18:19], s[8:9]
	;; [unrolled: 1-line block ×3, first 2 shown]
	s_branch .LBB41_74
.LBB41_73:                              ;   in Loop: Header=BB41_74 Depth=2
	global_load_dword v4, v0, s[18:19] offset:-92
	s_add_u32 s30, s18, 0xffffffa4
	s_addc_u32 s31, s19, -1
	s_add_u32 s22, s14, 0xffffffe9
	s_addc_u32 s23, s15, -1
	global_store_dword v0, v3, s[16:17] offset:92
	s_add_u32 s16, s16, 0xffffffa4
	s_addc_u32 s17, s17, -1
	s_cmp_lt_i32 s14, 46
	s_mov_b64 s[20:21], 0
	s_mov_b64 s[14:15], s[22:23]
	s_cselect_b64 s[24:25], -1, 0
	s_waitcnt vmcnt(1)
	global_store_dword v0, v4, s[18:19]
	s_mov_b64 s[18:19], s[30:31]
	s_andn2_b64 vcc, exec, s[24:25]
	s_cbranch_vccz .LBB41_76
.LBB41_74:                              ;   Parent Loop BB41_72 Depth=1
                                        ; =>  This Inner Loop Header: Depth=2
	global_load_dword v3, v0, s[16:17]
	s_mov_b64 s[20:21], -1
	s_waitcnt vmcnt(0)
	v_cmp_nlt_f32_e32 vcc, v3, v2
	s_cbranch_vccz .LBB41_73
; %bb.75:                               ;   in Loop: Header=BB41_72 Depth=1
                                        ; implicit-def: $sgpr18_sgpr19
                                        ; implicit-def: $sgpr16_sgpr17
                                        ; implicit-def: $sgpr22_sgpr23
.LBB41_76:                              ;   in Loop: Header=BB41_72 Depth=1
	s_andn2_b64 vcc, exec, s[20:21]
	s_cbranch_vccz .LBB41_71
; %bb.77:                               ;   in Loop: Header=BB41_72 Depth=1
	s_bfe_i64 s[14:15], s[22:23], 0x200000
	s_branch .LBB41_71
.LBB41_78:
	s_cmp_lt_i32 s52, 11
	s_cbranch_scc1 .LBB41_87
; %bb.79:
	s_add_u32 s8, s48, 40
	s_addc_u32 s9, s49, 0
	s_mov_b64 s[10:11], 10
	v_mov_b32_e32 v0, 0
	s_mov_b64 s[12:13], s[46:47]
	s_branch .LBB41_81
.LBB41_80:                              ;   in Loop: Header=BB41_81 Depth=1
	s_lshl_b64 s[14:15], s[14:15], 2
	s_add_u32 s16, s46, s14
	s_addc_u32 s17, s47, s15
	s_add_u32 s14, s48, s14
	s_addc_u32 s15, s49, s15
	;; [unrolled: 2-line block ×5, first 2 shown]
	s_cmp_lg_u32 s10, s52
	global_store_dword v0, v2, s[16:17]
	global_store_dword v0, v1, s[14:15]
	s_cbranch_scc0 .LBB41_87
.LBB41_81:                              ; =>This Loop Header: Depth=1
                                        ;     Child Loop BB41_83 Depth 2
	s_lshl_b64 s[14:15], s[10:11], 2
	s_and_b32 s15, s15, 3
	s_add_u32 s16, s46, s14
	s_addc_u32 s17, s47, s15
	s_add_u32 s14, s48, s14
	s_addc_u32 s15, s49, s15
	global_load_dword v2, v0, s[16:17]
	global_load_dword v1, v0, s[14:15]
	s_mov_b64 s[16:17], s[12:13]
	s_mov_b64 s[18:19], s[8:9]
	;; [unrolled: 1-line block ×3, first 2 shown]
	s_branch .LBB41_83
.LBB41_82:                              ;   in Loop: Header=BB41_83 Depth=2
	global_load_dword v4, v0, s[18:19] offset:-40
	s_add_u32 s30, s18, 0xffffffd8
	s_addc_u32 s31, s19, -1
	s_add_u32 s22, s14, -10
	s_addc_u32 s23, s15, -1
	global_store_dword v0, v3, s[16:17] offset:40
	s_add_u32 s16, s16, 0xffffffd8
	s_addc_u32 s17, s17, -1
	s_cmp_lt_i32 s14, 20
	s_mov_b64 s[20:21], 0
	s_mov_b64 s[14:15], s[22:23]
	s_cselect_b64 s[24:25], -1, 0
	s_waitcnt vmcnt(1)
	global_store_dword v0, v4, s[18:19]
	s_mov_b64 s[18:19], s[30:31]
	s_andn2_b64 vcc, exec, s[24:25]
	s_cbranch_vccz .LBB41_85
.LBB41_83:                              ;   Parent Loop BB41_81 Depth=1
                                        ; =>  This Inner Loop Header: Depth=2
	global_load_dword v3, v0, s[16:17]
	s_mov_b64 s[20:21], -1
	s_waitcnt vmcnt(0)
	v_cmp_nlt_f32_e32 vcc, v3, v2
	s_cbranch_vccz .LBB41_82
; %bb.84:                               ;   in Loop: Header=BB41_81 Depth=1
                                        ; implicit-def: $sgpr18_sgpr19
                                        ; implicit-def: $sgpr16_sgpr17
                                        ; implicit-def: $sgpr22_sgpr23
.LBB41_85:                              ;   in Loop: Header=BB41_81 Depth=1
	s_andn2_b64 vcc, exec, s[20:21]
	s_cbranch_vccz .LBB41_80
; %bb.86:                               ;   in Loop: Header=BB41_81 Depth=1
	s_bfe_i64 s[14:15], s[22:23], 0x200000
	s_branch .LBB41_80
.LBB41_87:
	s_cmp_lt_i32 s52, 5
	s_cbranch_scc1 .LBB41_96
; %bb.88:
	s_add_u32 s8, s48, 16
	s_addc_u32 s9, s49, 0
	s_add_u32 s10, s56, s44
	s_addc_u32 s11, s57, s45
	s_add_u32 s10, s10, 16
	s_addc_u32 s11, s11, 0
	s_mov_b64 s[12:13], 4
	v_mov_b32_e32 v0, 0
	s_branch .LBB41_90
.LBB41_89:                              ;   in Loop: Header=BB41_90 Depth=1
	s_lshl_b64 s[14:15], s[14:15], 2
	s_add_u32 s16, s46, s14
	s_addc_u32 s17, s47, s15
	s_add_u32 s14, s48, s14
	s_addc_u32 s15, s49, s15
	;; [unrolled: 2-line block ×5, first 2 shown]
	s_cmp_lg_u32 s12, s52
	global_store_dword v0, v2, s[16:17]
	global_store_dword v0, v1, s[14:15]
	s_cbranch_scc0 .LBB41_96
.LBB41_90:                              ; =>This Loop Header: Depth=1
                                        ;     Child Loop BB41_92 Depth 2
	s_lshl_b64 s[14:15], s[12:13], 2
	s_and_b32 s15, s15, 3
	s_add_u32 s16, s46, s14
	s_addc_u32 s17, s47, s15
	s_add_u32 s14, s48, s14
	s_addc_u32 s15, s49, s15
	global_load_dword v2, v0, s[16:17]
	global_load_dword v1, v0, s[14:15]
	s_mov_b64 s[18:19], s[10:11]
	s_mov_b64 s[16:17], s[8:9]
	;; [unrolled: 1-line block ×3, first 2 shown]
	s_branch .LBB41_92
.LBB41_91:                              ;   in Loop: Header=BB41_92 Depth=2
	global_load_dword v4, v0, s[16:17] offset:-16
	s_mov_b64 s[20:21], 0
	global_store_dword v0, v3, s[18:19]
	s_add_u32 s18, s16, -16
	s_addc_u32 s19, s17, -1
	s_add_u32 s22, s14, -4
	s_addc_u32 s23, s15, -1
	s_cmp_lt_i32 s14, 8
	s_mov_b64 s[14:15], s[22:23]
	s_cselect_b64 s[30:31], -1, 0
	s_waitcnt vmcnt(1)
	global_store_dword v0, v4, s[16:17]
	s_mov_b64 s[16:17], s[18:19]
	s_mov_b64 s[18:19], s[24:25]
	s_andn2_b64 vcc, exec, s[30:31]
	s_cbranch_vccz .LBB41_94
.LBB41_92:                              ;   Parent Loop BB41_90 Depth=1
                                        ; =>  This Inner Loop Header: Depth=2
	global_load_dword v3, v0, s[18:19] offset:-16
	s_add_u32 s24, s18, -16
	s_addc_u32 s25, s19, -1
	s_mov_b64 s[20:21], -1
	s_waitcnt vmcnt(0)
	v_cmp_nlt_f32_e32 vcc, v3, v2
	s_cbranch_vccz .LBB41_91
; %bb.93:                               ;   in Loop: Header=BB41_90 Depth=1
                                        ; implicit-def: $sgpr16_sgpr17
                                        ; implicit-def: $sgpr18_sgpr19
                                        ; implicit-def: $sgpr22_sgpr23
.LBB41_94:                              ;   in Loop: Header=BB41_90 Depth=1
	s_andn2_b64 vcc, exec, s[20:21]
	s_cbranch_vccz .LBB41_89
; %bb.95:                               ;   in Loop: Header=BB41_90 Depth=1
	s_bfe_i64 s[14:15], s[22:23], 0x200000
	s_branch .LBB41_89
.LBB41_96:
	s_cmp_lt_i32 s52, 2
	s_cbranch_scc1 .LBB41_103
; %bb.97:
	s_add_u32 s8, s48, 4
	s_addc_u32 s9, s49, 0
	s_add_u32 s10, s56, s44
	s_addc_u32 s11, s57, s45
	;; [unrolled: 2-line block ×3, first 2 shown]
	s_mov_b64 s[12:13], 1
	v_mov_b32_e32 v0, 0
	s_branch .LBB41_99
.LBB41_98:                              ;   in Loop: Header=BB41_99 Depth=1
	s_lshl_b64 s[14:15], s[22:23], 2
	s_add_u32 s16, s46, s14
	s_addc_u32 s17, s47, s15
	s_add_u32 s14, s48, s14
	s_addc_u32 s15, s49, s15
	;; [unrolled: 2-line block ×5, first 2 shown]
	s_cmp_eq_u32 s12, s52
	global_store_dword v0, v2, s[16:17]
	global_store_dword v0, v1, s[14:15]
	s_cbranch_scc1 .LBB41_103
.LBB41_99:                              ; =>This Loop Header: Depth=1
                                        ;     Child Loop BB41_101 Depth 2
	s_lshl_b64 s[14:15], s[12:13], 2
	s_and_b32 s15, s15, 3
	s_add_u32 s16, s46, s14
	s_addc_u32 s17, s47, s15
	s_add_u32 s14, s48, s14
	s_addc_u32 s15, s49, s15
	global_load_dword v2, v0, s[16:17]
	global_load_dword v1, v0, s[14:15]
	s_mov_b64 s[18:19], s[10:11]
	s_mov_b64 s[14:15], s[8:9]
	;; [unrolled: 1-line block ×3, first 2 shown]
	s_branch .LBB41_101
.LBB41_100:                             ;   in Loop: Header=BB41_101 Depth=2
	global_load_dword v4, v0, s[14:15] offset:-4
	s_mov_b64 s[22:23], 0
	global_store_dword v0, v3, s[18:19]
	s_add_u32 s18, s14, -4
	s_addc_u32 s19, s15, -1
	s_add_u32 s24, s16, -1
	s_addc_u32 s25, s17, -1
	s_cmp_lt_i32 s16, 2
	s_mov_b64 s[16:17], s[24:25]
	s_cselect_b64 s[24:25], -1, 0
	s_waitcnt vmcnt(1)
	global_store_dword v0, v4, s[14:15]
	s_mov_b64 s[14:15], s[18:19]
	s_mov_b64 s[18:19], s[20:21]
	s_andn2_b64 vcc, exec, s[24:25]
	s_cbranch_vccz .LBB41_98
.LBB41_101:                             ;   Parent Loop BB41_99 Depth=1
                                        ; =>  This Inner Loop Header: Depth=2
	global_load_dword v3, v0, s[18:19] offset:-4
	s_add_u32 s20, s18, -4
	s_addc_u32 s21, s19, -1
	s_mov_b64 s[24:25], -1
	s_waitcnt vmcnt(0)
	v_cmp_nlt_f32_e32 vcc, v3, v2
	s_cbranch_vccz .LBB41_100
; %bb.102:                              ;   in Loop: Header=BB41_101 Depth=2
                                        ; implicit-def: $sgpr14_sgpr15
                                        ; implicit-def: $sgpr18_sgpr19
	s_mov_b64 s[22:23], s[16:17]
	s_andn2_b64 vcc, exec, s[24:25]
	s_cbranch_vccnz .LBB41_101
	s_branch .LBB41_98
.LBB41_103:
	s_or_b64 exec, exec, s[6:7]
	s_cmp_lt_i32 s52, 2
	s_cselect_b64 s[10:11], -1, 0
	s_mov_b64 s[66:67], 0
	s_and_b64 vcc, exec, s[10:11]
	s_barrier
	s_cbranch_vccnz .LBB41_111
; %bb.104:
	s_add_i32 s20, s52, -1
	v_cmp_gt_u32_e32 vcc, s20, v41
	s_mov_b64 s[10:11], -1
	s_mov_b64 s[6:7], 0
	s_and_saveexec_b64 s[8:9], vcc
	s_cbranch_execz .LBB41_113
; %bb.105:
	s_add_u32 s21, s46, 4
	s_addc_u32 s22, s47, 0
	s_mov_b64 s[10:11], 0
	v_mov_b32_e32 v1, 0
	v_mov_b32_e32 v2, s47
	;; [unrolled: 1-line block ×3, first 2 shown]
                                        ; implicit-def: $sgpr12_sgpr13
	s_branch .LBB41_107
.LBB41_106:                             ;   in Loop: Header=BB41_107 Depth=1
	s_or_b64 exec, exec, s[18:19]
	s_xor_b64 s[14:15], s[14:15], -1
	s_and_b64 s[6:7], exec, s[6:7]
	s_or_b64 s[10:11], s[6:7], s[10:11]
	s_andn2_b64 s[6:7], s[12:13], exec
	s_and_b64 s[12:13], s[14:15], exec
	s_or_b64 s[12:13], s[6:7], s[12:13]
	s_andn2_b64 exec, exec, s[10:11]
	s_cbranch_execz .LBB41_112
.LBB41_107:                             ; =>This Inner Loop Header: Depth=1
	v_lshlrev_b64 v[4:5], 2, v[0:1]
	v_add_co_u32_e32 v4, vcc, s46, v4
	v_addc_co_u32_e32 v5, vcc, v2, v5, vcc
	global_load_dword v3, v[4:5], off
                                        ; implicit-def: $sgpr14_sgpr15
	s_waitcnt vmcnt(0)
	v_cmp_u_f32_e64 s[16:17], v3, v3
	v_cmp_o_f32_e32 vcc, v3, v3
	s_and_saveexec_b64 s[18:19], vcc
	s_cbranch_execz .LBB41_109
; %bb.108:                              ;   in Loop: Header=BB41_107 Depth=1
	v_ashrrev_i32_e32 v5, 31, v0
	v_mov_b32_e32 v4, v0
	v_lshlrev_b64 v[4:5], 2, v[4:5]
	v_mov_b32_e32 v6, s22
	v_add_co_u32_e32 v4, vcc, s21, v4
	v_addc_co_u32_e32 v5, vcc, v6, v5, vcc
	global_load_dword v4, v[4:5], off
	s_andn2_b64 s[16:17], s[16:17], exec
	s_mov_b64 s[14:15], -1
	s_waitcnt vmcnt(0)
	v_cmp_u_f32_e32 vcc, v4, v4
	v_cmp_ge_f32_e64 s[6:7], v3, v4
	s_or_b64 s[6:7], vcc, s[6:7]
	s_and_b64 s[6:7], s[6:7], exec
	s_or_b64 s[16:17], s[16:17], s[6:7]
.LBB41_109:                             ;   in Loop: Header=BB41_107 Depth=1
	s_or_b64 exec, exec, s[18:19]
	s_mov_b64 s[6:7], -1
	s_and_saveexec_b64 s[18:19], s[16:17]
	s_cbranch_execz .LBB41_106
; %bb.110:                              ;   in Loop: Header=BB41_107 Depth=1
	v_add_u32_e32 v0, s58, v0
	v_cmp_le_u32_e32 vcc, s20, v0
	s_andn2_b64 s[14:15], s[14:15], exec
	s_orn2_b64 s[6:7], vcc, exec
	s_branch .LBB41_106
.LBB41_111:
	s_mov_b64 s[6:7], 0
	s_branch .LBB41_114
.LBB41_112:
	s_or_b64 exec, exec, s[10:11]
	s_mov_b64 s[6:7], exec
	s_orn2_b64 s[10:11], s[12:13], exec
.LBB41_113:
	s_or_b64 exec, exec, s[8:9]
.LBB41_114:
	s_and_saveexec_b64 s[8:9], s[10:11]
	s_cbranch_execz .LBB41_116
; %bb.115:
	s_mov_b64 s[66:67], exec
	s_barrier
	s_andn2_b64 s[6:7], s[6:7], exec
.LBB41_116:
	s_or_b64 exec, exec, s[8:9]
	s_mov_b64 s[62:63], 0
	s_and_saveexec_b64 s[68:69], s[6:7]
	s_cbranch_execz .LBB41_118
; %bb.117:
	s_add_u32 s8, s4, 0x90
	s_addc_u32 s9, s5, 0
	s_getpc_b64 s[6:7]
	s_add_u32 s6, s6, __PRETTY_FUNCTION__._ZN9rocsolver6v33100L21shell_sort_descendingIfiEEvT0_PT_PS2_@rel32@lo+4
	s_addc_u32 s7, s7, __PRETTY_FUNCTION__._ZN9rocsolver6v33100L21shell_sort_descendingIfiEEvT0_PT_PS2_@rel32@hi+12
	v_mov_b32_e32 v0, s6
	v_mov_b32_e32 v1, s7
	s_getpc_b64 s[10:11]
	s_add_u32 s10, s10, __assert_fail@rel32@lo+4
	s_addc_u32 s11, s11, __assert_fail@rel32@hi+12
	s_mov_b64 s[62:63], s[4:5]
	s_swappc_b64 s[30:31], s[10:11]
	s_mov_b64 s[4:5], s[62:63]
	s_mov_b64 s[62:63], exec
.LBB41_118:
	s_or_b64 exec, exec, s[68:69]
.LBB41_119:
	s_and_saveexec_b64 s[20:21], s[66:67]
	s_cbranch_execz .LBB41_143
; %bb.120:
	s_andn2_b64 vcc, exec, s[64:65]
	s_barrier
	s_cbranch_vccnz .LBB41_142
; %bb.121:
	s_cmp_gt_i32 s53, 0
	s_cselect_b64 s[14:15], -1, 0
	s_ashr_i32 s33, s39, 31
	s_cmp_gt_i32 s54, 0
	s_cselect_b64 s[16:17], -1, 0
	s_cmp_gt_i32 s55, 0
	v_cndmask_b32_e64 v0, 0, 1, s[14:15]
	s_cselect_b64 s[18:19], -1, 0
	v_cmp_ne_u32_e64 s[14:15], 1, v0
	v_cndmask_b32_e64 v0, 0, 1, s[16:17]
	s_mov_b32 s23, 0
	v_cmp_ne_u32_e64 s[16:17], 1, v0
	v_cndmask_b32_e64 v0, 0, 1, s[18:19]
	v_cmp_eq_u32_e64 s[6:7], 0, v41
	v_cmp_gt_u32_e64 s[8:9], s53, v41
	s_mov_b32 s72, s39
	v_cmp_gt_u32_e64 s[10:11], s54, v41
	s_mov_b32 s73, s37
	v_cmp_gt_u32_e64 s[12:13], s55, v41
	s_ashr_i32 s74, s59, 31
	s_mov_b32 s75, s59
	v_mov_b32_e32 v1, 0
	v_cmp_ne_u32_e64 s[18:19], 1, v0
	s_mov_b32 s22, s23
	s_branch .LBB41_123
.LBB41_122:                             ;   in Loop: Header=BB41_123 Depth=1
	s_add_i32 s22, s22, 1
	s_cmp_eq_u32 s22, s52
	s_cbranch_scc1 .LBB41_142
.LBB41_123:                             ; =>This Loop Header: Depth=1
                                        ;     Child Loop BB41_126 Depth 2
                                        ;       Child Loop BB41_131 Depth 3
                                        ;       Child Loop BB41_136 Depth 3
	;; [unrolled: 1-line block ×3, first 2 shown]
	s_lshl_b64 s[24:25], s[22:23], 2
	s_add_u32 s24, s48, s24
	s_addc_u32 s25, s49, s25
	global_load_dword v0, v1, s[24:25]
	s_waitcnt vmcnt(0)
	v_cmp_eq_u32_e32 vcc, s22, v0
	v_readfirstlane_b32 s64, v0
	s_cbranch_vccz .LBB41_126
	s_branch .LBB41_122
.LBB41_124:                             ;   in Loop: Header=BB41_126 Depth=2
	s_or_b64 exec, exec, s[64:65]
	s_waitcnt lgkmcnt(0)
	s_barrier
.LBB41_125:                             ;   in Loop: Header=BB41_126 Depth=2
	global_load_dword v0, v1, s[24:25]
	s_waitcnt vmcnt(0)
	v_cmp_ne_u32_e32 vcc, s22, v0
	v_readfirstlane_b32 s64, v0
	s_cbranch_vccz .LBB41_122
.LBB41_126:                             ;   Parent Loop BB41_123 Depth=1
                                        ; =>  This Loop Header: Depth=2
                                        ;       Child Loop BB41_131 Depth 3
                                        ;       Child Loop BB41_136 Depth 3
	;; [unrolled: 1-line block ×3, first 2 shown]
	s_ashr_i32 s65, s64, 31
	s_lshl_b64 s[30:31], s[64:65], 2
	s_add_u32 s66, s48, s30
	s_addc_u32 s67, s49, s31
	global_load_dword v0, v1, s[66:67]
	s_barrier
	s_waitcnt vmcnt(0)
	v_readfirstlane_b32 s50, v0
	s_and_saveexec_b64 s[68:69], s[6:7]
	s_cbranch_execz .LBB41_128
; %bb.127:                              ;   in Loop: Header=BB41_126 Depth=2
	v_mov_b32_e32 v0, s64
	global_store_dword v1, v0, s[66:67]
	v_mov_b32_e32 v0, s50
	global_store_dword v1, v0, s[24:25]
.LBB41_128:                             ;   in Loop: Header=BB41_126 Depth=2
	s_or_b64 exec, exec, s[68:69]
	s_and_b64 vcc, exec, s[14:15]
	s_barrier
	s_cbranch_vccnz .LBB41_133
; %bb.129:                              ;   in Loop: Header=BB41_126 Depth=2
	s_and_saveexec_b64 s[66:67], s[8:9]
	s_cbranch_execz .LBB41_132
; %bb.130:                              ;   in Loop: Header=BB41_126 Depth=2
	s_ashr_i32 s51, s50, 31
	s_mov_b64 s[68:69], 0
	s_lshl_b64 s[70:71], s[50:51], 2
	v_mov_b32_e32 v0, v41
.LBB41_131:                             ;   Parent Loop BB41_123 Depth=1
                                        ;     Parent Loop BB41_126 Depth=2
                                        ; =>    This Inner Loop Header: Depth=3
	v_mad_u64_u32 v[2:3], s[76:77], v0, s72, 0
	v_mov_b32_e32 v4, v3
	v_mad_u64_u32 v[4:5], s[76:77], v0, s33, v[4:5]
	v_mov_b32_e32 v3, v4
	v_lshlrev_b64 v[2:3], 2, v[2:3]
	v_mov_b32_e32 v6, s35
	v_add_co_u32_e32 v4, vcc, s34, v2
	v_addc_co_u32_e32 v5, vcc, v6, v3, vcc
	v_mov_b32_e32 v7, s31
	v_add_co_u32_e32 v2, vcc, s30, v4
	v_addc_co_u32_e32 v3, vcc, v5, v7, vcc
	;; [unrolled: 3-line block ×3, first 2 shown]
	flat_load_dword v6, v[4:5]
	flat_load_dword v7, v[2:3]
	v_add_u32_e32 v0, s58, v0
	v_cmp_le_u32_e32 vcc, s53, v0
	s_or_b64 s[68:69], vcc, s[68:69]
	s_waitcnt vmcnt(0) lgkmcnt(0)
	flat_store_dword v[2:3], v6
	flat_store_dword v[4:5], v7
	s_andn2_b64 exec, exec, s[68:69]
	s_cbranch_execnz .LBB41_131
.LBB41_132:                             ;   in Loop: Header=BB41_126 Depth=2
	s_or_b64 exec, exec, s[66:67]
	s_waitcnt lgkmcnt(0)
	s_barrier
.LBB41_133:                             ;   in Loop: Header=BB41_126 Depth=2
	s_and_b64 vcc, exec, s[16:17]
	s_cbranch_vccnz .LBB41_138
; %bb.134:                              ;   in Loop: Header=BB41_126 Depth=2
	s_and_saveexec_b64 s[66:67], s[10:11]
	s_cbranch_execz .LBB41_137
; %bb.135:                              ;   in Loop: Header=BB41_126 Depth=2
	s_mul_hi_i32 s65, s64, s73
	s_mul_i32 s64, s64, s73
	s_lshl_b64 s[64:65], s[64:65], 2
	s_add_u32 s51, s28, s64
	s_addc_u32 s69, s29, s65
	s_mul_hi_i32 s65, s50, s73
	s_mul_i32 s64, s50, s73
	s_lshl_b64 s[64:65], s[64:65], 2
	s_add_u32 s68, s28, s64
	s_addc_u32 s70, s29, s65
	s_mov_b64 s[64:65], 0
	v_mov_b32_e32 v2, s69
	v_mov_b32_e32 v3, s70
	;; [unrolled: 1-line block ×3, first 2 shown]
.LBB41_136:                             ;   Parent Loop BB41_123 Depth=1
                                        ;     Parent Loop BB41_126 Depth=2
                                        ; =>    This Inner Loop Header: Depth=3
	v_lshlrev_b64 v[4:5], 2, v[0:1]
	v_add_co_u32_e32 v6, vcc, s51, v4
	v_addc_co_u32_e32 v7, vcc, v2, v5, vcc
	v_add_co_u32_e32 v4, vcc, s68, v4
	v_addc_co_u32_e32 v5, vcc, v3, v5, vcc
	flat_load_dword v8, v[4:5]
	flat_load_dword v9, v[6:7]
	v_add_u32_e32 v0, s58, v0
	v_cmp_le_u32_e32 vcc, s54, v0
	s_or_b64 s[64:65], vcc, s[64:65]
	s_waitcnt vmcnt(0) lgkmcnt(0)
	flat_store_dword v[6:7], v8
	flat_store_dword v[4:5], v9
	s_andn2_b64 exec, exec, s[64:65]
	s_cbranch_execnz .LBB41_136
.LBB41_137:                             ;   in Loop: Header=BB41_126 Depth=2
	s_or_b64 exec, exec, s[66:67]
	s_waitcnt lgkmcnt(0)
	s_barrier
.LBB41_138:                             ;   in Loop: Header=BB41_126 Depth=2
	s_and_b64 vcc, exec, s[18:19]
	s_cbranch_vccnz .LBB41_125
; %bb.139:                              ;   in Loop: Header=BB41_126 Depth=2
	s_and_saveexec_b64 s[64:65], s[12:13]
	s_cbranch_execz .LBB41_124
; %bb.140:                              ;   in Loop: Header=BB41_126 Depth=2
	s_ashr_i32 s51, s50, 31
	s_mov_b64 s[66:67], 0
	s_lshl_b64 s[50:51], s[50:51], 2
	v_mov_b32_e32 v0, v41
.LBB41_141:                             ;   Parent Loop BB41_123 Depth=1
                                        ;     Parent Loop BB41_126 Depth=2
                                        ; =>    This Inner Loop Header: Depth=3
	v_mad_u64_u32 v[2:3], s[68:69], v0, s75, 0
	v_mov_b32_e32 v4, v3
	v_mad_u64_u32 v[4:5], s[68:69], v0, s74, v[4:5]
	v_mov_b32_e32 v3, v4
	v_lshlrev_b64 v[2:3], 2, v[2:3]
	v_mov_b32_e32 v6, s61
	v_add_co_u32_e32 v4, vcc, s60, v2
	v_addc_co_u32_e32 v5, vcc, v6, v3, vcc
	v_mov_b32_e32 v7, s31
	v_add_co_u32_e32 v2, vcc, s30, v4
	v_addc_co_u32_e32 v3, vcc, v5, v7, vcc
	;; [unrolled: 3-line block ×3, first 2 shown]
	flat_load_dword v6, v[4:5]
	flat_load_dword v7, v[2:3]
	v_add_u32_e32 v0, s58, v0
	v_cmp_le_u32_e32 vcc, s55, v0
	s_or_b64 s[66:67], vcc, s[66:67]
	s_waitcnt vmcnt(0) lgkmcnt(0)
	flat_store_dword v[2:3], v6
	flat_store_dword v[4:5], v7
	s_andn2_b64 exec, exec, s[66:67]
	s_cbranch_execnz .LBB41_141
	s_branch .LBB41_124
.LBB41_142:
	s_mov_b64 s[50:51], exec
.LBB41_143:
	s_or_b64 exec, exec, s[20:21]
	s_branch .LBB41_232
.LBB41_144:
	s_mov_b64 s[50:51], -1
	s_and_b64 vcc, exec, s[42:43]
	s_cbranch_vccz .LBB41_232
; %bb.145:
	v_or3_b32 v0, v43, v44, v42
	v_cmp_eq_u32_e32 vcc, 0, v0
	s_barrier
	s_barrier
	s_and_saveexec_b64 s[6:7], vcc
	s_cbranch_execz .LBB41_216
; %bb.146:
	s_cmpk_lt_u32 s52, 0x2be
	s_cbranch_scc1 .LBB41_155
; %bb.147:
	s_mov_b64 s[8:9], 0x2bd
	s_mov_b32 s11, 0
	v_mov_b32_e32 v0, 0
	s_mov_b64 s[12:13], s[46:47]
	s_branch .LBB41_149
.LBB41_148:                             ;   in Loop: Header=BB41_149 Depth=1
	s_lshl_b64 s[14:15], s[14:15], 2
	s_add_u32 s14, s46, s14
	s_addc_u32 s15, s47, s15
	s_add_u32 s8, s8, 1
	s_addc_u32 s9, s9, 0
	s_add_u32 s12, s12, 4
	s_addc_u32 s13, s13, 0
	s_cmp_eq_u32 s8, s52
	global_store_dword v0, v1, s[14:15]
	s_cbranch_scc1 .LBB41_155
.LBB41_149:                             ; =>This Loop Header: Depth=1
                                        ;     Child Loop BB41_151 Depth 2
	s_mov_b32 s10, s8
	s_lshl_b64 s[14:15], s[10:11], 2
	s_add_u32 s14, s46, s14
	s_addc_u32 s15, s47, s15
	global_load_dword v1, v0, s[14:15]
	s_mov_b64 s[16:17], s[12:13]
	s_mov_b64 s[14:15], s[8:9]
	s_branch .LBB41_151
.LBB41_150:                             ;   in Loop: Header=BB41_151 Depth=2
	s_add_u32 s18, s14, 0xfffffd43
	s_addc_u32 s19, s15, -1
	global_store_dword v0, v2, s[16:17] offset:2804
	s_add_u32 s16, s16, 0xfffff50c
	s_addc_u32 s17, s17, -1
	s_cmpk_lt_i32 s14, 0x57a
	s_mov_b64 s[20:21], 0
	s_cselect_b64 s[22:23], -1, 0
	s_mov_b64 s[14:15], s[18:19]
	s_andn2_b64 vcc, exec, s[22:23]
	s_cbranch_vccz .LBB41_153
.LBB41_151:                             ;   Parent Loop BB41_149 Depth=1
                                        ; =>  This Inner Loop Header: Depth=2
	global_load_dword v2, v0, s[16:17]
	s_mov_b64 s[20:21], -1
	s_waitcnt vmcnt(0)
	v_cmp_nlt_f32_e32 vcc, v2, v1
	s_cbranch_vccz .LBB41_150
; %bb.152:                              ;   in Loop: Header=BB41_149 Depth=1
                                        ; implicit-def: $sgpr16_sgpr17
                                        ; implicit-def: $sgpr18_sgpr19
.LBB41_153:                             ;   in Loop: Header=BB41_149 Depth=1
	s_andn2_b64 vcc, exec, s[20:21]
	s_cbranch_vccz .LBB41_148
; %bb.154:                              ;   in Loop: Header=BB41_149 Depth=1
	s_bfe_i64 s[14:15], s[18:19], 0x200000
	s_branch .LBB41_148
.LBB41_155:
	s_cmpk_lt_i32 s52, 0x12e
	s_cbranch_scc1 .LBB41_164
; %bb.156:
	s_mov_b64 s[8:9], 0x12d
	s_mov_b32 s11, 0
	v_mov_b32_e32 v0, 0
	s_mov_b64 s[12:13], s[46:47]
	s_branch .LBB41_158
.LBB41_157:                             ;   in Loop: Header=BB41_158 Depth=1
	s_lshl_b64 s[14:15], s[14:15], 2
	s_add_u32 s14, s46, s14
	s_addc_u32 s15, s47, s15
	s_add_u32 s8, s8, 1
	s_addc_u32 s9, s9, 0
	;; [unrolled: 2-line block ×3, first 2 shown]
	s_cmp_lg_u32 s8, s52
	global_store_dword v0, v1, s[14:15]
	s_cbranch_scc0 .LBB41_164
.LBB41_158:                             ; =>This Loop Header: Depth=1
                                        ;     Child Loop BB41_160 Depth 2
	s_mov_b32 s10, s8
	s_lshl_b64 s[14:15], s[10:11], 2
	s_add_u32 s14, s46, s14
	s_addc_u32 s15, s47, s15
	global_load_dword v1, v0, s[14:15]
	s_mov_b64 s[16:17], s[12:13]
	s_mov_b64 s[14:15], s[8:9]
	s_branch .LBB41_160
.LBB41_159:                             ;   in Loop: Header=BB41_160 Depth=2
	s_add_u32 s18, s14, 0xfffffed3
	s_addc_u32 s19, s15, -1
	global_store_dword v0, v2, s[16:17] offset:1204
	s_add_u32 s16, s16, 0xfffffb4c
	s_addc_u32 s17, s17, -1
	s_cmpk_lt_i32 s14, 0x25a
	s_mov_b64 s[20:21], 0
	s_cselect_b64 s[22:23], -1, 0
	s_mov_b64 s[14:15], s[18:19]
	s_andn2_b64 vcc, exec, s[22:23]
	s_cbranch_vccz .LBB41_162
.LBB41_160:                             ;   Parent Loop BB41_158 Depth=1
                                        ; =>  This Inner Loop Header: Depth=2
	global_load_dword v2, v0, s[16:17]
	s_mov_b64 s[20:21], -1
	s_waitcnt vmcnt(0)
	v_cmp_nlt_f32_e32 vcc, v2, v1
	s_cbranch_vccz .LBB41_159
; %bb.161:                              ;   in Loop: Header=BB41_158 Depth=1
                                        ; implicit-def: $sgpr16_sgpr17
                                        ; implicit-def: $sgpr18_sgpr19
.LBB41_162:                             ;   in Loop: Header=BB41_158 Depth=1
	s_andn2_b64 vcc, exec, s[20:21]
	s_cbranch_vccz .LBB41_157
; %bb.163:                              ;   in Loop: Header=BB41_158 Depth=1
	s_bfe_i64 s[14:15], s[18:19], 0x200000
	s_branch .LBB41_157
.LBB41_164:
	s_cmpk_lt_i32 s52, 0x85
	s_cbranch_scc1 .LBB41_173
; %bb.165:
	s_mov_b64 s[8:9], 0x84
	s_mov_b32 s11, 0
	v_mov_b32_e32 v0, 0
	s_mov_b64 s[12:13], s[46:47]
	s_branch .LBB41_167
.LBB41_166:                             ;   in Loop: Header=BB41_167 Depth=1
	s_lshl_b64 s[14:15], s[14:15], 2
	s_add_u32 s14, s46, s14
	s_addc_u32 s15, s47, s15
	s_add_u32 s8, s8, 1
	s_addc_u32 s9, s9, 0
	;; [unrolled: 2-line block ×3, first 2 shown]
	s_cmp_lg_u32 s8, s52
	global_store_dword v0, v1, s[14:15]
	s_cbranch_scc0 .LBB41_173
.LBB41_167:                             ; =>This Loop Header: Depth=1
                                        ;     Child Loop BB41_169 Depth 2
	s_mov_b32 s10, s8
	s_lshl_b64 s[14:15], s[10:11], 2
	s_add_u32 s14, s46, s14
	s_addc_u32 s15, s47, s15
	global_load_dword v1, v0, s[14:15]
	s_mov_b64 s[16:17], s[12:13]
	s_mov_b64 s[14:15], s[8:9]
	s_branch .LBB41_169
.LBB41_168:                             ;   in Loop: Header=BB41_169 Depth=2
	s_add_u32 s18, s14, 0xffffff7c
	s_addc_u32 s19, s15, -1
	global_store_dword v0, v2, s[16:17] offset:528
	s_add_u32 s16, s16, 0xfffffdf0
	s_addc_u32 s17, s17, -1
	s_cmpk_lt_i32 s14, 0x108
	s_mov_b64 s[20:21], 0
	s_cselect_b64 s[22:23], -1, 0
	s_mov_b64 s[14:15], s[18:19]
	s_andn2_b64 vcc, exec, s[22:23]
	s_cbranch_vccz .LBB41_171
.LBB41_169:                             ;   Parent Loop BB41_167 Depth=1
                                        ; =>  This Inner Loop Header: Depth=2
	global_load_dword v2, v0, s[16:17]
	s_mov_b64 s[20:21], -1
	s_waitcnt vmcnt(0)
	v_cmp_nlt_f32_e32 vcc, v2, v1
	s_cbranch_vccz .LBB41_168
; %bb.170:                              ;   in Loop: Header=BB41_167 Depth=1
                                        ; implicit-def: $sgpr16_sgpr17
                                        ; implicit-def: $sgpr18_sgpr19
.LBB41_171:                             ;   in Loop: Header=BB41_167 Depth=1
	s_andn2_b64 vcc, exec, s[20:21]
	s_cbranch_vccz .LBB41_166
; %bb.172:                              ;   in Loop: Header=BB41_167 Depth=1
	s_bfe_i64 s[14:15], s[18:19], 0x200000
	s_branch .LBB41_166
.LBB41_173:
	s_cmp_lt_i32 s52, 58
	s_cbranch_scc1 .LBB41_182
; %bb.174:
	s_mov_b64 s[8:9], 57
	s_mov_b32 s11, 0
	v_mov_b32_e32 v0, 0
	s_mov_b64 s[12:13], s[46:47]
	s_branch .LBB41_176
.LBB41_175:                             ;   in Loop: Header=BB41_176 Depth=1
	s_lshl_b64 s[14:15], s[14:15], 2
	s_add_u32 s14, s46, s14
	s_addc_u32 s15, s47, s15
	s_add_u32 s8, s8, 1
	s_addc_u32 s9, s9, 0
	;; [unrolled: 2-line block ×3, first 2 shown]
	s_cmp_lg_u32 s8, s52
	global_store_dword v0, v1, s[14:15]
	s_cbranch_scc0 .LBB41_182
.LBB41_176:                             ; =>This Loop Header: Depth=1
                                        ;     Child Loop BB41_178 Depth 2
	s_mov_b32 s10, s8
	s_lshl_b64 s[14:15], s[10:11], 2
	s_add_u32 s14, s46, s14
	s_addc_u32 s15, s47, s15
	global_load_dword v1, v0, s[14:15]
	s_mov_b64 s[16:17], s[12:13]
	s_mov_b64 s[14:15], s[8:9]
	s_branch .LBB41_178
.LBB41_177:                             ;   in Loop: Header=BB41_178 Depth=2
	s_add_u32 s18, s14, 0xffffffc7
	s_addc_u32 s19, s15, -1
	global_store_dword v0, v2, s[16:17] offset:228
	s_add_u32 s16, s16, 0xffffff1c
	s_addc_u32 s17, s17, -1
	s_cmpk_lt_i32 s14, 0x72
	s_mov_b64 s[20:21], 0
	s_cselect_b64 s[22:23], -1, 0
	s_mov_b64 s[14:15], s[18:19]
	s_andn2_b64 vcc, exec, s[22:23]
	s_cbranch_vccz .LBB41_180
.LBB41_178:                             ;   Parent Loop BB41_176 Depth=1
                                        ; =>  This Inner Loop Header: Depth=2
	global_load_dword v2, v0, s[16:17]
	s_mov_b64 s[20:21], -1
	s_waitcnt vmcnt(0)
	v_cmp_nlt_f32_e32 vcc, v2, v1
	s_cbranch_vccz .LBB41_177
; %bb.179:                              ;   in Loop: Header=BB41_176 Depth=1
                                        ; implicit-def: $sgpr16_sgpr17
                                        ; implicit-def: $sgpr18_sgpr19
.LBB41_180:                             ;   in Loop: Header=BB41_176 Depth=1
	s_andn2_b64 vcc, exec, s[20:21]
	s_cbranch_vccz .LBB41_175
; %bb.181:                              ;   in Loop: Header=BB41_176 Depth=1
	s_bfe_i64 s[14:15], s[18:19], 0x200000
	s_branch .LBB41_175
.LBB41_182:
	s_cmp_lt_i32 s52, 24
	s_cbranch_scc1 .LBB41_191
; %bb.183:
	s_mov_b64 s[8:9], 23
	s_mov_b32 s11, 0
	v_mov_b32_e32 v0, 0
	s_mov_b64 s[12:13], s[46:47]
	s_branch .LBB41_185
.LBB41_184:                             ;   in Loop: Header=BB41_185 Depth=1
	s_lshl_b64 s[14:15], s[14:15], 2
	s_add_u32 s14, s46, s14
	s_addc_u32 s15, s47, s15
	s_add_u32 s8, s8, 1
	s_addc_u32 s9, s9, 0
	;; [unrolled: 2-line block ×3, first 2 shown]
	s_cmp_lg_u32 s8, s52
	global_store_dword v0, v1, s[14:15]
	s_cbranch_scc0 .LBB41_191
.LBB41_185:                             ; =>This Loop Header: Depth=1
                                        ;     Child Loop BB41_187 Depth 2
	s_mov_b32 s10, s8
	s_lshl_b64 s[14:15], s[10:11], 2
	s_add_u32 s14, s46, s14
	s_addc_u32 s15, s47, s15
	global_load_dword v1, v0, s[14:15]
	s_mov_b64 s[16:17], s[12:13]
	s_mov_b64 s[14:15], s[8:9]
	s_branch .LBB41_187
.LBB41_186:                             ;   in Loop: Header=BB41_187 Depth=2
	s_add_u32 s18, s14, 0xffffffe9
	s_addc_u32 s19, s15, -1
	global_store_dword v0, v2, s[16:17] offset:92
	s_add_u32 s16, s16, 0xffffffa4
	s_addc_u32 s17, s17, -1
	s_cmp_lt_i32 s14, 46
	s_mov_b64 s[20:21], 0
	s_cselect_b64 s[22:23], -1, 0
	s_mov_b64 s[14:15], s[18:19]
	s_andn2_b64 vcc, exec, s[22:23]
	s_cbranch_vccz .LBB41_189
.LBB41_187:                             ;   Parent Loop BB41_185 Depth=1
                                        ; =>  This Inner Loop Header: Depth=2
	global_load_dword v2, v0, s[16:17]
	s_mov_b64 s[20:21], -1
	s_waitcnt vmcnt(0)
	v_cmp_nlt_f32_e32 vcc, v2, v1
	s_cbranch_vccz .LBB41_186
; %bb.188:                              ;   in Loop: Header=BB41_185 Depth=1
                                        ; implicit-def: $sgpr16_sgpr17
                                        ; implicit-def: $sgpr18_sgpr19
.LBB41_189:                             ;   in Loop: Header=BB41_185 Depth=1
	s_andn2_b64 vcc, exec, s[20:21]
	s_cbranch_vccz .LBB41_184
; %bb.190:                              ;   in Loop: Header=BB41_185 Depth=1
	s_bfe_i64 s[14:15], s[18:19], 0x200000
	s_branch .LBB41_184
.LBB41_191:
	s_cmp_lt_i32 s52, 11
	s_cbranch_scc1 .LBB41_200
; %bb.192:
	s_mov_b64 s[8:9], 10
	s_mov_b32 s11, 0
	v_mov_b32_e32 v0, 0
	s_mov_b64 s[12:13], s[46:47]
	s_branch .LBB41_194
.LBB41_193:                             ;   in Loop: Header=BB41_194 Depth=1
	s_lshl_b64 s[14:15], s[14:15], 2
	s_add_u32 s14, s46, s14
	s_addc_u32 s15, s47, s15
	s_add_u32 s8, s8, 1
	s_addc_u32 s9, s9, 0
	;; [unrolled: 2-line block ×3, first 2 shown]
	s_cmp_lg_u32 s8, s52
	global_store_dword v0, v1, s[14:15]
	s_cbranch_scc0 .LBB41_200
.LBB41_194:                             ; =>This Loop Header: Depth=1
                                        ;     Child Loop BB41_196 Depth 2
	s_mov_b32 s10, s8
	s_lshl_b64 s[14:15], s[10:11], 2
	s_add_u32 s14, s46, s14
	s_addc_u32 s15, s47, s15
	global_load_dword v1, v0, s[14:15]
	s_mov_b64 s[16:17], s[12:13]
	s_mov_b64 s[14:15], s[8:9]
	s_branch .LBB41_196
.LBB41_195:                             ;   in Loop: Header=BB41_196 Depth=2
	s_add_u32 s18, s14, -10
	s_addc_u32 s19, s15, -1
	global_store_dword v0, v2, s[16:17] offset:40
	s_add_u32 s16, s16, 0xffffffd8
	s_addc_u32 s17, s17, -1
	s_cmp_lt_i32 s14, 20
	s_mov_b64 s[20:21], 0
	s_cselect_b64 s[22:23], -1, 0
	s_mov_b64 s[14:15], s[18:19]
	s_andn2_b64 vcc, exec, s[22:23]
	s_cbranch_vccz .LBB41_198
.LBB41_196:                             ;   Parent Loop BB41_194 Depth=1
                                        ; =>  This Inner Loop Header: Depth=2
	global_load_dword v2, v0, s[16:17]
	s_mov_b64 s[20:21], -1
	s_waitcnt vmcnt(0)
	v_cmp_nlt_f32_e32 vcc, v2, v1
	s_cbranch_vccz .LBB41_195
; %bb.197:                              ;   in Loop: Header=BB41_194 Depth=1
                                        ; implicit-def: $sgpr16_sgpr17
                                        ; implicit-def: $sgpr18_sgpr19
.LBB41_198:                             ;   in Loop: Header=BB41_194 Depth=1
	s_andn2_b64 vcc, exec, s[20:21]
	s_cbranch_vccz .LBB41_193
; %bb.199:                              ;   in Loop: Header=BB41_194 Depth=1
	s_bfe_i64 s[14:15], s[18:19], 0x200000
	s_branch .LBB41_193
.LBB41_200:
	s_cmp_lt_i32 s52, 5
	s_cbranch_scc1 .LBB41_209
; %bb.201:
	s_add_u32 s8, s56, s44
	s_addc_u32 s9, s57, s45
	s_add_u32 s8, s8, 16
	s_addc_u32 s9, s9, 0
	s_mov_b64 s[10:11], 4
	s_mov_b32 s13, 0
	v_mov_b32_e32 v0, 0
	s_branch .LBB41_203
.LBB41_202:                             ;   in Loop: Header=BB41_203 Depth=1
	s_lshl_b64 s[14:15], s[14:15], 2
	s_add_u32 s14, s46, s14
	s_addc_u32 s15, s47, s15
	s_add_u32 s10, s10, 1
	s_addc_u32 s11, s11, 0
	;; [unrolled: 2-line block ×3, first 2 shown]
	s_cmp_lg_u32 s10, s52
	global_store_dword v0, v1, s[14:15]
	s_cbranch_scc0 .LBB41_209
.LBB41_203:                             ; =>This Loop Header: Depth=1
                                        ;     Child Loop BB41_205 Depth 2
	s_mov_b32 s12, s10
	s_lshl_b64 s[14:15], s[12:13], 2
	s_add_u32 s14, s46, s14
	s_addc_u32 s15, s47, s15
	global_load_dword v1, v0, s[14:15]
	s_mov_b64 s[16:17], s[8:9]
	s_mov_b64 s[14:15], s[10:11]
	s_branch .LBB41_205
.LBB41_204:                             ;   in Loop: Header=BB41_205 Depth=2
	s_add_u32 s20, s14, -4
	s_addc_u32 s21, s15, -1
	s_cmp_lt_i32 s14, 8
	global_store_dword v0, v2, s[16:17]
	s_mov_b64 s[18:19], 0
	s_cselect_b64 s[24:25], -1, 0
	s_mov_b64 s[14:15], s[20:21]
	s_mov_b64 s[16:17], s[22:23]
	s_andn2_b64 vcc, exec, s[24:25]
	s_cbranch_vccz .LBB41_207
.LBB41_205:                             ;   Parent Loop BB41_203 Depth=1
                                        ; =>  This Inner Loop Header: Depth=2
	global_load_dword v2, v0, s[16:17] offset:-16
	s_add_u32 s22, s16, -16
	s_addc_u32 s23, s17, -1
	s_mov_b64 s[18:19], -1
	s_waitcnt vmcnt(0)
	v_cmp_nlt_f32_e32 vcc, v2, v1
	s_cbranch_vccz .LBB41_204
; %bb.206:                              ;   in Loop: Header=BB41_203 Depth=1
                                        ; implicit-def: $sgpr16_sgpr17
                                        ; implicit-def: $sgpr20_sgpr21
.LBB41_207:                             ;   in Loop: Header=BB41_203 Depth=1
	s_andn2_b64 vcc, exec, s[18:19]
	s_cbranch_vccz .LBB41_202
; %bb.208:                              ;   in Loop: Header=BB41_203 Depth=1
	s_bfe_i64 s[14:15], s[20:21], 0x200000
	s_branch .LBB41_202
.LBB41_209:
	s_cmp_lt_i32 s52, 2
	s_cbranch_scc1 .LBB41_216
; %bb.210:
	s_add_u32 s8, s56, s44
	s_addc_u32 s9, s57, s45
	s_add_u32 s8, s8, 4
	s_addc_u32 s9, s9, 0
	s_mov_b64 s[10:11], 1
	s_mov_b32 s13, 0
	v_mov_b32_e32 v0, 0
	s_branch .LBB41_212
.LBB41_211:                             ;   in Loop: Header=BB41_212 Depth=1
	s_lshl_b64 s[14:15], s[18:19], 2
	s_add_u32 s14, s46, s14
	s_addc_u32 s15, s47, s15
	s_add_u32 s10, s10, 1
	s_addc_u32 s11, s11, 0
	s_add_u32 s8, s8, 4
	s_addc_u32 s9, s9, 0
	s_cmp_eq_u32 s10, s52
	global_store_dword v0, v1, s[14:15]
	s_cbranch_scc1 .LBB41_216
.LBB41_212:                             ; =>This Loop Header: Depth=1
                                        ;     Child Loop BB41_214 Depth 2
	s_mov_b32 s12, s10
	s_lshl_b64 s[14:15], s[12:13], 2
	s_add_u32 s14, s46, s14
	s_addc_u32 s15, s47, s15
	global_load_dword v1, v0, s[14:15]
	s_mov_b64 s[16:17], s[8:9]
	s_mov_b64 s[14:15], s[10:11]
	s_branch .LBB41_214
.LBB41_213:                             ;   in Loop: Header=BB41_214 Depth=2
	global_store_dword v0, v2, s[16:17]
	s_add_u32 s16, s14, -1
	s_addc_u32 s17, s15, -1
	s_cmp_lt_i32 s14, 2
	s_mov_b64 s[18:19], 0
	s_cselect_b64 s[20:21], -1, 0
	s_mov_b64 s[14:15], s[16:17]
	s_mov_b64 s[16:17], s[22:23]
	s_andn2_b64 vcc, exec, s[20:21]
	s_cbranch_vccz .LBB41_211
.LBB41_214:                             ;   Parent Loop BB41_212 Depth=1
                                        ; =>  This Inner Loop Header: Depth=2
	global_load_dword v2, v0, s[16:17] offset:-4
	s_add_u32 s22, s16, -4
	s_addc_u32 s23, s17, -1
	s_mov_b64 s[20:21], -1
	s_waitcnt vmcnt(0)
	v_cmp_nlt_f32_e32 vcc, v2, v1
	s_cbranch_vccz .LBB41_213
; %bb.215:                              ;   in Loop: Header=BB41_214 Depth=2
                                        ; implicit-def: $sgpr16_sgpr17
	s_mov_b64 s[18:19], s[14:15]
	s_andn2_b64 vcc, exec, s[20:21]
	s_cbranch_vccnz .LBB41_214
	s_branch .LBB41_211
.LBB41_216:
	s_or_b64 exec, exec, s[6:7]
	s_cmp_lt_i32 s52, 2
	s_cselect_b64 s[10:11], -1, 0
	s_mov_b64 s[50:51], 0
	s_and_b64 vcc, exec, s[10:11]
	s_barrier
	s_cbranch_vccnz .LBB41_224
; %bb.217:
	s_add_i32 s20, s52, -1
	v_cmp_gt_u32_e32 vcc, s20, v41
	s_mov_b64 s[10:11], -1
	s_mov_b64 s[6:7], 0
	s_and_saveexec_b64 s[8:9], vcc
	s_cbranch_execz .LBB41_226
; %bb.218:
	s_add_u32 s21, s46, 4
	s_addc_u32 s22, s47, 0
	s_mov_b64 s[10:11], 0
	v_mov_b32_e32 v1, 0
	v_mov_b32_e32 v2, s47
	v_mov_b32_e32 v0, v41
                                        ; implicit-def: $sgpr12_sgpr13
	s_branch .LBB41_220
.LBB41_219:                             ;   in Loop: Header=BB41_220 Depth=1
	s_or_b64 exec, exec, s[18:19]
	s_xor_b64 s[14:15], s[14:15], -1
	s_and_b64 s[6:7], exec, s[6:7]
	s_or_b64 s[10:11], s[6:7], s[10:11]
	s_andn2_b64 s[6:7], s[12:13], exec
	s_and_b64 s[12:13], s[14:15], exec
	s_or_b64 s[12:13], s[6:7], s[12:13]
	s_andn2_b64 exec, exec, s[10:11]
	s_cbranch_execz .LBB41_225
.LBB41_220:                             ; =>This Inner Loop Header: Depth=1
	v_lshlrev_b64 v[4:5], 2, v[0:1]
	v_add_co_u32_e32 v4, vcc, s46, v4
	v_addc_co_u32_e32 v5, vcc, v2, v5, vcc
	global_load_dword v3, v[4:5], off
                                        ; implicit-def: $sgpr14_sgpr15
	s_waitcnt vmcnt(0)
	v_cmp_u_f32_e64 s[16:17], v3, v3
	v_cmp_o_f32_e32 vcc, v3, v3
	s_and_saveexec_b64 s[18:19], vcc
	s_cbranch_execz .LBB41_222
; %bb.221:                              ;   in Loop: Header=BB41_220 Depth=1
	v_ashrrev_i32_e32 v5, 31, v0
	v_mov_b32_e32 v4, v0
	v_lshlrev_b64 v[4:5], 2, v[4:5]
	v_mov_b32_e32 v6, s22
	v_add_co_u32_e32 v4, vcc, s21, v4
	v_addc_co_u32_e32 v5, vcc, v6, v5, vcc
	global_load_dword v4, v[4:5], off
	s_andn2_b64 s[16:17], s[16:17], exec
	s_mov_b64 s[14:15], -1
	s_waitcnt vmcnt(0)
	v_cmp_u_f32_e32 vcc, v4, v4
	v_cmp_ge_f32_e64 s[6:7], v3, v4
	s_or_b64 s[6:7], vcc, s[6:7]
	s_and_b64 s[6:7], s[6:7], exec
	s_or_b64 s[16:17], s[16:17], s[6:7]
.LBB41_222:                             ;   in Loop: Header=BB41_220 Depth=1
	s_or_b64 exec, exec, s[18:19]
	s_mov_b64 s[6:7], -1
	s_and_saveexec_b64 s[18:19], s[16:17]
	s_cbranch_execz .LBB41_219
; %bb.223:                              ;   in Loop: Header=BB41_220 Depth=1
	v_add_u32_e32 v0, s58, v0
	v_cmp_le_u32_e32 vcc, s20, v0
	s_andn2_b64 s[14:15], s[14:15], exec
	s_orn2_b64 s[6:7], vcc, exec
	s_branch .LBB41_219
.LBB41_224:
	s_mov_b64 s[6:7], 0
	s_branch .LBB41_227
.LBB41_225:
	s_or_b64 exec, exec, s[10:11]
	s_mov_b64 s[6:7], exec
	s_orn2_b64 s[10:11], s[12:13], exec
.LBB41_226:
	s_or_b64 exec, exec, s[8:9]
.LBB41_227:
	s_and_saveexec_b64 s[8:9], s[10:11]
	s_cbranch_execz .LBB41_229
; %bb.228:
	s_mov_b64 s[50:51], exec
	s_barrier
	s_andn2_b64 s[6:7], s[6:7], exec
.LBB41_229:
	s_or_b64 exec, exec, s[8:9]
	s_and_saveexec_b64 s[42:43], s[6:7]
	s_cbranch_execz .LBB41_231
; %bb.230:
	s_add_u32 s8, s4, 0x90
	s_addc_u32 s9, s5, 0
	s_getpc_b64 s[4:5]
	s_add_u32 s4, s4, __PRETTY_FUNCTION__._ZN9rocsolver6v33100L21shell_sort_descendingIfiEEvT0_PT_PS2_@rel32@lo+4
	s_addc_u32 s5, s5, __PRETTY_FUNCTION__._ZN9rocsolver6v33100L21shell_sort_descendingIfiEEvT0_PT_PS2_@rel32@hi+12
	v_mov_b32_e32 v0, s4
	v_mov_b32_e32 v1, s5
	s_getpc_b64 s[6:7]
	s_add_u32 s6, s6, __assert_fail@rel32@lo+4
	s_addc_u32 s7, s7, __assert_fail@rel32@hi+12
	s_swappc_b64 s[30:31], s[6:7]
	s_or_b64 s[62:63], s[62:63], exec
.LBB41_231:
	s_or_b64 exec, exec, s[42:43]
.LBB41_232:
	s_and_saveexec_b64 s[4:5], s[62:63]
; %bb.233:
	; divergent unreachable
; %bb.234:
	s_or_b64 exec, exec, s[4:5]
	s_and_saveexec_b64 s[4:5], s[50:51]
	s_cbranch_execz .LBB41_236
; %bb.235:
	s_barrier
.LBB41_236:
	s_or_b64 exec, exec, s[4:5]
	s_cbranch_execnz .LBB41_260
.LBB41_237:
	s_cmp_lt_i32 s52, 2
	s_cbranch_scc1 .LBB41_260
; %bb.238:
	s_cmp_lg_u32 s53, 0
	s_cselect_b64 s[12:13], -1, 0
	s_cmp_lg_u32 s54, 0
	s_cselect_b64 s[14:15], -1, 0
	s_cmp_lg_u32 s55, 0
	s_cselect_b64 s[16:17], -1, 0
	s_add_i32 s33, s52, -2
	s_add_u32 s18, s56, s44
	v_cndmask_b32_e64 v3, 0, 1, s[12:13]
	s_addc_u32 s21, s57, s45
	v_cmp_ne_u32_e64 s[12:13], 1, v3
	v_cndmask_b32_e64 v3, 0, 1, s[14:15]
	s_add_u32 s20, s18, 4
	v_cmp_ne_u32_e64 s[14:15], 1, v3
	v_cndmask_b32_e64 v3, 0, 1, s[16:17]
	s_mov_b32 s19, 0
	v_cmp_eq_u32_e64 s[4:5], 0, v41
	v_cmp_gt_i32_e64 s[6:7], s53, v41
	v_cmp_gt_i32_e64 s[8:9], s54, v41
	;; [unrolled: 1-line block ×3, first 2 shown]
	s_addc_u32 s21, s21, 0
	v_mul_lo_u32 v0, s39, v41
	s_mul_i32 s39, s39, s36
	v_mul_lo_u32 v1, s59, v41
	s_mul_i32 s42, s59, s36
	v_mov_b32_e32 v2, 0
	v_cmp_ne_u32_e64 s[16:17], 1, v3
	s_mov_b32 s43, 0
	s_mov_b32 s44, 0
	s_branch .LBB41_241
.LBB41_239:                             ;   in Loop: Header=BB41_241 Depth=1
	s_or_b64 exec, exec, s[24:25]
	s_waitcnt lgkmcnt(0)
	s_barrier
.LBB41_240:                             ;   in Loop: Header=BB41_241 Depth=1
	s_add_u32 s20, s20, 4
	s_addc_u32 s21, s21, 0
	s_add_i32 s43, s43, s37
	s_cmp_eq_u32 s18, s33
	s_cbranch_scc1 .LBB41_260
.LBB41_241:                             ; =>This Loop Header: Depth=1
                                        ;     Child Loop BB41_242 Depth 2
                                        ;     Child Loop BB41_249 Depth 2
	;; [unrolled: 1-line block ×4, first 2 shown]
	s_mov_b32 s18, s44
	s_lshl_b64 s[22:23], s[18:19], 2
	s_add_u32 s24, s46, s22
	s_addc_u32 s25, s47, s23
	global_load_dword v3, v2, s[24:25]
	s_add_i32 s44, s44, 1
	s_mov_b64 s[30:31], s[20:21]
	s_mov_b32 s23, s44
	s_mov_b32 s22, s18
.LBB41_242:                             ;   Parent Loop BB41_241 Depth=1
                                        ; =>  This Inner Loop Header: Depth=2
	global_load_dword v4, v2, s[30:31]
	s_waitcnt vmcnt(0)
	v_cmp_gt_f32_e32 vcc, v4, v3
	s_and_b64 s[48:49], vcc, exec
	s_cselect_b32 s22, s23, s22
	s_add_i32 s23, s23, 1
	s_add_u32 s30, s30, 4
	s_addc_u32 s31, s31, 0
	v_cndmask_b32_e32 v3, v3, v4, vcc
	s_cmp_lt_i32 s23, s52
	s_cbranch_scc1 .LBB41_242
; %bb.243:                              ;   in Loop: Header=BB41_241 Depth=1
	s_cmp_eq_u32 s22, s18
	s_barrier
	s_cbranch_scc1 .LBB41_240
; %bb.244:                              ;   in Loop: Header=BB41_241 Depth=1
	s_and_saveexec_b64 s[30:31], s[4:5]
	s_cbranch_execz .LBB41_246
; %bb.245:                              ;   in Loop: Header=BB41_241 Depth=1
	global_load_dword v4, v2, s[24:25]
	s_ashr_i32 s23, s22, 31
	s_lshl_b64 s[48:49], s[22:23], 2
	s_add_u32 s48, s46, s48
	s_addc_u32 s49, s47, s49
	s_waitcnt vmcnt(0)
	global_store_dword v2, v4, s[48:49]
	global_store_dword v2, v3, s[24:25]
.LBB41_246:                             ;   in Loop: Header=BB41_241 Depth=1
	s_or_b64 exec, exec, s[30:31]
	s_and_b64 vcc, exec, s[12:13]
	s_cbranch_vccnz .LBB41_251
; %bb.247:                              ;   in Loop: Header=BB41_241 Depth=1
	s_and_saveexec_b64 s[24:25], s[6:7]
	s_cbranch_execz .LBB41_250
; %bb.248:                              ;   in Loop: Header=BB41_241 Depth=1
	s_mov_b64 s[30:31], 0
	v_mov_b32_e32 v3, v0
	v_mov_b32_e32 v4, v41
.LBB41_249:                             ;   Parent Loop BB41_241 Depth=1
                                        ; =>  This Inner Loop Header: Depth=2
	v_add_u32_e32 v6, s22, v3
	v_ashrrev_i32_e32 v7, 31, v6
	v_add_u32_e32 v8, s18, v3
	v_lshlrev_b64 v[6:7], 2, v[6:7]
	v_mov_b32_e32 v5, s35
	v_ashrrev_i32_e32 v9, 31, v8
	v_add_co_u32_e32 v6, vcc, s34, v6
	v_lshlrev_b64 v[8:9], 2, v[8:9]
	v_addc_co_u32_e32 v7, vcc, v5, v7, vcc
	v_add_co_u32_e32 v8, vcc, s34, v8
	v_addc_co_u32_e32 v9, vcc, v5, v9, vcc
	flat_load_dword v5, v[8:9]
	flat_load_dword v10, v[6:7]
	v_add_u32_e32 v4, s36, v4
	v_cmp_le_i32_e32 vcc, s53, v4
	v_add_u32_e32 v3, s39, v3
	s_or_b64 s[30:31], vcc, s[30:31]
	s_waitcnt vmcnt(0) lgkmcnt(0)
	flat_store_dword v[6:7], v5
	flat_store_dword v[8:9], v10
	s_andn2_b64 exec, exec, s[30:31]
	s_cbranch_execnz .LBB41_249
.LBB41_250:                             ;   in Loop: Header=BB41_241 Depth=1
	s_or_b64 exec, exec, s[24:25]
	s_waitcnt lgkmcnt(0)
	s_barrier
.LBB41_251:                             ;   in Loop: Header=BB41_241 Depth=1
	s_and_b64 vcc, exec, s[14:15]
	s_cbranch_vccnz .LBB41_256
; %bb.252:                              ;   in Loop: Header=BB41_241 Depth=1
	s_and_saveexec_b64 s[24:25], s[8:9]
	s_cbranch_execz .LBB41_255
; %bb.253:                              ;   in Loop: Header=BB41_241 Depth=1
	s_mul_i32 s23, s22, s37
	s_mov_b64 s[30:31], 0
	v_mov_b32_e32 v3, v41
.LBB41_254:                             ;   Parent Loop BB41_241 Depth=1
                                        ; =>  This Inner Loop Header: Depth=2
	v_add_u32_e32 v4, s23, v3
	v_ashrrev_i32_e32 v5, 31, v4
	v_add_u32_e32 v6, s43, v3
	v_lshlrev_b64 v[4:5], 2, v[4:5]
	v_mov_b32_e32 v8, s29
	v_ashrrev_i32_e32 v7, 31, v6
	v_add_co_u32_e32 v4, vcc, s28, v4
	v_lshlrev_b64 v[6:7], 2, v[6:7]
	v_addc_co_u32_e32 v5, vcc, v8, v5, vcc
	v_add_co_u32_e32 v6, vcc, s28, v6
	v_addc_co_u32_e32 v7, vcc, v8, v7, vcc
	flat_load_dword v8, v[6:7]
	flat_load_dword v9, v[4:5]
	v_add_u32_e32 v3, s36, v3
	v_cmp_le_i32_e32 vcc, s54, v3
	s_or_b64 s[30:31], vcc, s[30:31]
	s_waitcnt vmcnt(0) lgkmcnt(0)
	flat_store_dword v[4:5], v8
	flat_store_dword v[6:7], v9
	s_andn2_b64 exec, exec, s[30:31]
	s_cbranch_execnz .LBB41_254
.LBB41_255:                             ;   in Loop: Header=BB41_241 Depth=1
	s_or_b64 exec, exec, s[24:25]
	s_waitcnt lgkmcnt(0)
	s_barrier
.LBB41_256:                             ;   in Loop: Header=BB41_241 Depth=1
	s_and_b64 vcc, exec, s[16:17]
	s_cbranch_vccnz .LBB41_240
; %bb.257:                              ;   in Loop: Header=BB41_241 Depth=1
	s_and_saveexec_b64 s[24:25], s[10:11]
	s_cbranch_execz .LBB41_239
; %bb.258:                              ;   in Loop: Header=BB41_241 Depth=1
	s_mov_b64 s[30:31], 0
	v_mov_b32_e32 v3, v1
	v_mov_b32_e32 v4, v41
.LBB41_259:                             ;   Parent Loop BB41_241 Depth=1
                                        ; =>  This Inner Loop Header: Depth=2
	v_add_u32_e32 v6, s22, v3
	v_ashrrev_i32_e32 v7, 31, v6
	v_add_u32_e32 v8, s18, v3
	v_lshlrev_b64 v[6:7], 2, v[6:7]
	v_mov_b32_e32 v5, s61
	v_ashrrev_i32_e32 v9, 31, v8
	v_add_co_u32_e32 v6, vcc, s60, v6
	v_lshlrev_b64 v[8:9], 2, v[8:9]
	v_addc_co_u32_e32 v7, vcc, v5, v7, vcc
	v_add_co_u32_e32 v8, vcc, s60, v8
	v_addc_co_u32_e32 v9, vcc, v5, v9, vcc
	flat_load_dword v5, v[8:9]
	flat_load_dword v10, v[6:7]
	v_add_u32_e32 v4, s36, v4
	v_cmp_le_i32_e32 vcc, s55, v4
	v_add_u32_e32 v3, s42, v3
	s_or_b64 s[30:31], vcc, s[30:31]
	s_waitcnt vmcnt(0) lgkmcnt(0)
	flat_store_dword v[6:7], v5
	flat_store_dword v[8:9], v10
	s_andn2_b64 exec, exec, s[30:31]
	s_cbranch_execnz .LBB41_259
	s_branch .LBB41_239
.LBB41_260:
	s_mov_b64 s[6:7], 0
.LBB41_261:
	s_andn2_b64 vcc, exec, s[6:7]
	s_cbranch_vccnz .LBB41_264
; %bb.262:
	v_cmp_eq_u32_e32 vcc, 0, v41
	s_and_saveexec_b64 s[4:5], vcc
	s_cbranch_execz .LBB41_264
; %bb.263:
	s_add_u32 s4, s40, s26
	s_addc_u32 s5, s41, s27
	v_mov_b32_e32 v0, 0
	v_mov_b32_e32 v1, s38
	global_store_dword v0, v1, s[4:5]
.LBB41_264:
	s_endpgm
	.section	.rodata,"a",@progbits
	.p2align	6, 0x0
	.amdhsa_kernel _ZN9rocsolver6v33100L14bdsqr_finalizeIffPfPKS2_S4_EEviiiiPT0_lS6_lT1_iilT2_iilT3_iilPiSA_SA_
		.amdhsa_group_segment_fixed_size 0
		.amdhsa_private_segment_fixed_size 64
		.amdhsa_kernarg_size 400
		.amdhsa_user_sgpr_count 8
		.amdhsa_user_sgpr_private_segment_buffer 1
		.amdhsa_user_sgpr_dispatch_ptr 0
		.amdhsa_user_sgpr_queue_ptr 0
		.amdhsa_user_sgpr_kernarg_segment_ptr 1
		.amdhsa_user_sgpr_dispatch_id 0
		.amdhsa_user_sgpr_flat_scratch_init 1
		.amdhsa_user_sgpr_kernarg_preload_length 0
		.amdhsa_user_sgpr_kernarg_preload_offset 0
		.amdhsa_user_sgpr_private_segment_size 0
		.amdhsa_uses_dynamic_stack 0
		.amdhsa_system_sgpr_private_segment_wavefront_offset 1
		.amdhsa_system_sgpr_workgroup_id_x 1
		.amdhsa_system_sgpr_workgroup_id_y 1
		.amdhsa_system_sgpr_workgroup_id_z 0
		.amdhsa_system_sgpr_workgroup_info 0
		.amdhsa_system_vgpr_workitem_id 2
		.amdhsa_next_free_vgpr 45
		.amdhsa_next_free_sgpr 78
		.amdhsa_accum_offset 48
		.amdhsa_reserve_vcc 1
		.amdhsa_reserve_flat_scratch 1
		.amdhsa_float_round_mode_32 0
		.amdhsa_float_round_mode_16_64 0
		.amdhsa_float_denorm_mode_32 3
		.amdhsa_float_denorm_mode_16_64 3
		.amdhsa_dx10_clamp 1
		.amdhsa_ieee_mode 1
		.amdhsa_fp16_overflow 0
		.amdhsa_tg_split 0
		.amdhsa_exception_fp_ieee_invalid_op 0
		.amdhsa_exception_fp_denorm_src 0
		.amdhsa_exception_fp_ieee_div_zero 0
		.amdhsa_exception_fp_ieee_overflow 0
		.amdhsa_exception_fp_ieee_underflow 0
		.amdhsa_exception_fp_ieee_inexact 0
		.amdhsa_exception_int_div_zero 0
	.end_amdhsa_kernel
	.section	.text._ZN9rocsolver6v33100L14bdsqr_finalizeIffPfPKS2_S4_EEviiiiPT0_lS6_lT1_iilT2_iilT3_iilPiSA_SA_,"axG",@progbits,_ZN9rocsolver6v33100L14bdsqr_finalizeIffPfPKS2_S4_EEviiiiPT0_lS6_lT1_iilT2_iilT3_iilPiSA_SA_,comdat
.Lfunc_end41:
	.size	_ZN9rocsolver6v33100L14bdsqr_finalizeIffPfPKS2_S4_EEviiiiPT0_lS6_lT1_iilT2_iilT3_iilPiSA_SA_, .Lfunc_end41-_ZN9rocsolver6v33100L14bdsqr_finalizeIffPfPKS2_S4_EEviiiiPT0_lS6_lT1_iilT2_iilT3_iilPiSA_SA_
                                        ; -- End function
	.section	.AMDGPU.csdata,"",@progbits
; Kernel info:
; codeLenInByte = 7680
; NumSgprs: 84
; NumVgprs: 45
; NumAgprs: 0
; TotalNumVgprs: 45
; ScratchSize: 64
; MemoryBound: 0
; FloatMode: 240
; IeeeMode: 1
; LDSByteSize: 0 bytes/workgroup (compile time only)
; SGPRBlocks: 10
; VGPRBlocks: 5
; NumSGPRsForWavesPerEU: 84
; NumVGPRsForWavesPerEU: 45
; AccumOffset: 48
; Occupancy: 8
; WaveLimiterHint : 1
; COMPUTE_PGM_RSRC2:SCRATCH_EN: 1
; COMPUTE_PGM_RSRC2:USER_SGPR: 8
; COMPUTE_PGM_RSRC2:TRAP_HANDLER: 0
; COMPUTE_PGM_RSRC2:TGID_X_EN: 1
; COMPUTE_PGM_RSRC2:TGID_Y_EN: 1
; COMPUTE_PGM_RSRC2:TGID_Z_EN: 0
; COMPUTE_PGM_RSRC2:TIDIG_COMP_CNT: 2
; COMPUTE_PGM_RSRC3_GFX90A:ACCUM_OFFSET: 11
; COMPUTE_PGM_RSRC3_GFX90A:TG_SPLIT: 0
	.section	.text._ZN9rocsolver6v33100L8copy_matIfPKPfS2_NS0_7no_maskEEEviiT0_iilT1_iilT2_13rocblas_fill_17rocblas_diagonal_,"axG",@progbits,_ZN9rocsolver6v33100L8copy_matIfPKPfS2_NS0_7no_maskEEEviiT0_iilT1_iilT2_13rocblas_fill_17rocblas_diagonal_,comdat
	.globl	_ZN9rocsolver6v33100L8copy_matIfPKPfS2_NS0_7no_maskEEEviiT0_iilT1_iilT2_13rocblas_fill_17rocblas_diagonal_ ; -- Begin function _ZN9rocsolver6v33100L8copy_matIfPKPfS2_NS0_7no_maskEEEviiT0_iilT1_iilT2_13rocblas_fill_17rocblas_diagonal_
	.p2align	8
	.type	_ZN9rocsolver6v33100L8copy_matIfPKPfS2_NS0_7no_maskEEEviiT0_iilT1_iilT2_13rocblas_fill_17rocblas_diagonal_,@function
_ZN9rocsolver6v33100L8copy_matIfPKPfS2_NS0_7no_maskEEEviiT0_iilT1_iilT2_13rocblas_fill_17rocblas_diagonal_: ; @_ZN9rocsolver6v33100L8copy_matIfPKPfS2_NS0_7no_maskEEEviiT0_iilT1_iilT2_13rocblas_fill_17rocblas_diagonal_
; %bb.0:
	s_load_dword s2, s[4:5], 0x54
	s_load_dwordx2 s[0:1], s[4:5], 0x0
	v_bfe_u32 v1, v0, 10, 10
	v_and_b32_e32 v0, 0x3ff, v0
	s_waitcnt lgkmcnt(0)
	s_lshr_b32 s3, s2, 16
	s_and_b32 s2, s2, 0xffff
	s_mul_i32 s7, s7, s3
	s_mul_i32 s6, s6, s2
	v_add_u32_e32 v1, s7, v1
	v_add_u32_e32 v0, s6, v0
	v_cmp_gt_u32_e32 vcc, s0, v0
	v_cmp_gt_u32_e64 s[0:1], s1, v1
	s_and_b64 s[0:1], s[0:1], vcc
	s_and_saveexec_b64 s[2:3], s[0:1]
	s_cbranch_execz .LBB42_14
; %bb.1:
	s_load_dwordx2 s[2:3], s[4:5], 0x3c
	s_waitcnt lgkmcnt(0)
	s_cmpk_lt_i32 s2, 0x7a
	s_cbranch_scc1 .LBB42_4
; %bb.2:
	s_cmpk_gt_i32 s2, 0x7a
	s_cbranch_scc0 .LBB42_5
; %bb.3:
	s_cmpk_lg_i32 s2, 0x7b
	s_mov_b64 s[6:7], -1
	s_cselect_b64 s[10:11], -1, 0
	s_cbranch_execz .LBB42_6
	s_branch .LBB42_7
.LBB42_4:
	s_mov_b64 s[10:11], 0
	s_mov_b64 s[6:7], 0
	s_cbranch_execnz .LBB42_8
	s_branch .LBB42_10
.LBB42_5:
	s_mov_b64 s[6:7], 0
	s_mov_b64 s[10:11], 0
.LBB42_6:
	v_cmp_gt_u32_e32 vcc, v0, v1
	v_cmp_le_u32_e64 s[0:1], v0, v1
	s_andn2_b64 s[6:7], s[6:7], exec
	s_and_b64 s[12:13], vcc, exec
	s_andn2_b64 s[10:11], s[10:11], exec
	s_and_b64 s[0:1], s[0:1], exec
	s_or_b64 s[6:7], s[6:7], s[12:13]
	s_or_b64 s[10:11], s[10:11], s[0:1]
.LBB42_7:
	s_branch .LBB42_10
.LBB42_8:
	s_cmpk_eq_i32 s2, 0x79
	s_mov_b64 s[10:11], -1
	s_cbranch_scc0 .LBB42_10
; %bb.9:
	v_cmp_gt_u32_e32 vcc, v1, v0
	v_cmp_le_u32_e64 s[0:1], v1, v0
	s_andn2_b64 s[6:7], s[6:7], exec
	s_and_b64 s[10:11], vcc, exec
	s_or_b64 s[6:7], s[6:7], s[10:11]
	s_orn2_b64 s[10:11], s[0:1], exec
.LBB42_10:
	s_and_saveexec_b64 s[0:1], s[10:11]
; %bb.11:
	s_cmpk_eq_i32 s3, 0x83
	s_cselect_b64 s[2:3], -1, 0
	v_cmp_eq_u32_e32 vcc, v0, v1
	s_and_b64 s[2:3], s[2:3], vcc
	s_andn2_b64 s[6:7], s[6:7], exec
	s_and_b64 s[2:3], s[2:3], exec
	s_or_b64 s[6:7], s[6:7], s[2:3]
; %bb.12:
	s_or_b64 exec, exec, s[0:1]
	s_and_b64 exec, exec, s[6:7]
	s_cbranch_execz .LBB42_14
; %bb.13:
	s_load_dwordx4 s[12:15], s[4:5], 0x8
	s_load_dwordx4 s[0:3], s[4:5], 0x20
	s_mov_b32 s9, 0
	s_lshl_b64 s[6:7], s[8:9], 3
	s_load_dwordx2 s[4:5], s[4:5], 0x30
	s_waitcnt lgkmcnt(0)
	s_ashr_i32 s11, s14, 31
	s_add_u32 s6, s12, s6
	s_addc_u32 s7, s13, s7
	s_load_dwordx2 s[6:7], s[6:7], 0x0
	s_mov_b32 s10, s14
	v_mad_u64_u32 v[2:3], s[12:13], v1, s15, v[0:1]
	s_lshl_b64 s[10:11], s[10:11], 2
	v_mov_b32_e32 v3, 0
	s_waitcnt lgkmcnt(0)
	s_add_u32 s6, s6, s10
	s_addc_u32 s7, s7, s11
	v_lshlrev_b64 v[4:5], 2, v[2:3]
	v_mov_b32_e32 v2, s7
	v_add_co_u32_e32 v4, vcc, s6, v4
	v_addc_co_u32_e32 v5, vcc, v2, v5, vcc
	global_load_dword v2, v[4:5], off
	s_ashr_i32 s7, s2, 31
	s_mov_b32 s6, s2
	s_mul_i32 s2, s8, s5
	s_mul_hi_u32 s5, s8, s4
	s_add_i32 s5, s5, s2
	s_mul_i32 s4, s8, s4
	s_lshl_b64 s[4:5], s[4:5], 2
	s_add_u32 s2, s0, s4
	s_addc_u32 s4, s1, s5
	s_lshl_b64 s[0:1], s[6:7], 2
	s_add_u32 s2, s2, s0
	s_addc_u32 s4, s4, s1
	v_mad_u64_u32 v[0:1], s[0:1], v1, s3, v[0:1]
	v_mov_b32_e32 v1, v3
	v_lshlrev_b64 v[0:1], 2, v[0:1]
	v_mov_b32_e32 v3, s4
	v_add_co_u32_e32 v0, vcc, s2, v0
	v_addc_co_u32_e32 v1, vcc, v3, v1, vcc
	s_waitcnt vmcnt(0)
	global_store_dword v[0:1], v2, off
.LBB42_14:
	s_endpgm
	.section	.rodata,"a",@progbits
	.p2align	6, 0x0
	.amdhsa_kernel _ZN9rocsolver6v33100L8copy_matIfPKPfS2_NS0_7no_maskEEEviiT0_iilT1_iilT2_13rocblas_fill_17rocblas_diagonal_
		.amdhsa_group_segment_fixed_size 0
		.amdhsa_private_segment_fixed_size 0
		.amdhsa_kernarg_size 328
		.amdhsa_user_sgpr_count 6
		.amdhsa_user_sgpr_private_segment_buffer 1
		.amdhsa_user_sgpr_dispatch_ptr 0
		.amdhsa_user_sgpr_queue_ptr 0
		.amdhsa_user_sgpr_kernarg_segment_ptr 1
		.amdhsa_user_sgpr_dispatch_id 0
		.amdhsa_user_sgpr_flat_scratch_init 0
		.amdhsa_user_sgpr_kernarg_preload_length 0
		.amdhsa_user_sgpr_kernarg_preload_offset 0
		.amdhsa_user_sgpr_private_segment_size 0
		.amdhsa_uses_dynamic_stack 0
		.amdhsa_system_sgpr_private_segment_wavefront_offset 0
		.amdhsa_system_sgpr_workgroup_id_x 1
		.amdhsa_system_sgpr_workgroup_id_y 1
		.amdhsa_system_sgpr_workgroup_id_z 1
		.amdhsa_system_sgpr_workgroup_info 0
		.amdhsa_system_vgpr_workitem_id 1
		.amdhsa_next_free_vgpr 6
		.amdhsa_next_free_sgpr 16
		.amdhsa_accum_offset 8
		.amdhsa_reserve_vcc 1
		.amdhsa_reserve_flat_scratch 0
		.amdhsa_float_round_mode_32 0
		.amdhsa_float_round_mode_16_64 0
		.amdhsa_float_denorm_mode_32 3
		.amdhsa_float_denorm_mode_16_64 3
		.amdhsa_dx10_clamp 1
		.amdhsa_ieee_mode 1
		.amdhsa_fp16_overflow 0
		.amdhsa_tg_split 0
		.amdhsa_exception_fp_ieee_invalid_op 0
		.amdhsa_exception_fp_denorm_src 0
		.amdhsa_exception_fp_ieee_div_zero 0
		.amdhsa_exception_fp_ieee_overflow 0
		.amdhsa_exception_fp_ieee_underflow 0
		.amdhsa_exception_fp_ieee_inexact 0
		.amdhsa_exception_int_div_zero 0
	.end_amdhsa_kernel
	.section	.text._ZN9rocsolver6v33100L8copy_matIfPKPfS2_NS0_7no_maskEEEviiT0_iilT1_iilT2_13rocblas_fill_17rocblas_diagonal_,"axG",@progbits,_ZN9rocsolver6v33100L8copy_matIfPKPfS2_NS0_7no_maskEEEviiT0_iilT1_iilT2_13rocblas_fill_17rocblas_diagonal_,comdat
.Lfunc_end42:
	.size	_ZN9rocsolver6v33100L8copy_matIfPKPfS2_NS0_7no_maskEEEviiT0_iilT1_iilT2_13rocblas_fill_17rocblas_diagonal_, .Lfunc_end42-_ZN9rocsolver6v33100L8copy_matIfPKPfS2_NS0_7no_maskEEEviiT0_iilT1_iilT2_13rocblas_fill_17rocblas_diagonal_
                                        ; -- End function
	.section	.AMDGPU.csdata,"",@progbits
; Kernel info:
; codeLenInByte = 496
; NumSgprs: 20
; NumVgprs: 6
; NumAgprs: 0
; TotalNumVgprs: 6
; ScratchSize: 0
; MemoryBound: 0
; FloatMode: 240
; IeeeMode: 1
; LDSByteSize: 0 bytes/workgroup (compile time only)
; SGPRBlocks: 2
; VGPRBlocks: 0
; NumSGPRsForWavesPerEU: 20
; NumVGPRsForWavesPerEU: 6
; AccumOffset: 8
; Occupancy: 8
; WaveLimiterHint : 1
; COMPUTE_PGM_RSRC2:SCRATCH_EN: 0
; COMPUTE_PGM_RSRC2:USER_SGPR: 6
; COMPUTE_PGM_RSRC2:TRAP_HANDLER: 0
; COMPUTE_PGM_RSRC2:TGID_X_EN: 1
; COMPUTE_PGM_RSRC2:TGID_Y_EN: 1
; COMPUTE_PGM_RSRC2:TGID_Z_EN: 1
; COMPUTE_PGM_RSRC2:TIDIG_COMP_CNT: 1
; COMPUTE_PGM_RSRC3_GFX90A:ACCUM_OFFSET: 1
; COMPUTE_PGM_RSRC3_GFX90A:TG_SPLIT: 0
	.section	.text._ZN9rocsolver6v33100L16org2r_init_identIfPfEEviiiT0_iil,"axG",@progbits,_ZN9rocsolver6v33100L16org2r_init_identIfPfEEviiiT0_iil,comdat
	.globl	_ZN9rocsolver6v33100L16org2r_init_identIfPfEEviiiT0_iil ; -- Begin function _ZN9rocsolver6v33100L16org2r_init_identIfPfEEviiiT0_iil
	.p2align	8
	.type	_ZN9rocsolver6v33100L16org2r_init_identIfPfEEviiiT0_iil,@function
_ZN9rocsolver6v33100L16org2r_init_identIfPfEEviiiT0_iil: ; @_ZN9rocsolver6v33100L16org2r_init_identIfPfEEviiiT0_iil
; %bb.0:
	s_load_dword s9, s[4:5], 0x34
	s_load_dwordx4 s[0:3], s[4:5], 0x0
	v_bfe_u32 v1, v0, 10, 10
	v_and_b32_e32 v0, 0x3ff, v0
	s_waitcnt lgkmcnt(0)
	s_lshr_b32 s3, s9, 16
	s_and_b32 s9, s9, 0xffff
	s_mul_i32 s7, s7, s3
	s_mul_i32 s6, s6, s9
	v_add_u32_e32 v2, s7, v1
	v_add_u32_e32 v4, s6, v0
	v_cmp_gt_u32_e32 vcc, s0, v4
	v_cmp_gt_u32_e64 s[0:1], s1, v2
	s_and_b64 s[0:1], vcc, s[0:1]
	s_and_saveexec_b64 s[6:7], s[0:1]
	s_cbranch_execz .LBB43_5
; %bb.1:
	s_load_dwordx2 s[0:1], s[4:5], 0x18
	v_cmp_ne_u32_e32 vcc, v4, v2
	s_mov_b64 s[10:11], 0
                                        ; implicit-def: $vgpr3
                                        ; implicit-def: $vgpr0
	s_and_saveexec_b64 s[6:7], vcc
	s_xor_b64 s[6:7], exec, s[6:7]
	s_cbranch_execnz .LBB43_6
; %bb.2:
	s_andn2_saveexec_b64 s[2:3], s[6:7]
	s_cbranch_execnz .LBB43_13
.LBB43_3:
	s_or_b64 exec, exec, s[2:3]
	s_and_b64 exec, exec, s[10:11]
	s_cbranch_execz .LBB43_5
.LBB43_4:
	s_load_dwordx2 s[2:3], s[4:5], 0x20
	s_load_dwordx2 s[6:7], s[4:5], 0x10
	s_waitcnt lgkmcnt(0)
	s_ashr_i32 s1, s0, 31
	v_mov_b32_e32 v1, 0
	v_lshlrev_b64 v[0:1], 2, v[0:1]
	s_mul_i32 s3, s8, s3
	s_mul_hi_u32 s4, s8, s2
	s_mul_i32 s2, s8, s2
	s_add_i32 s3, s4, s3
	s_lshl_b64 s[2:3], s[2:3], 2
	s_add_u32 s2, s6, s2
	s_addc_u32 s3, s7, s3
	s_lshl_b64 s[0:1], s[0:1], 2
	s_add_u32 s0, s2, s0
	s_addc_u32 s1, s3, s1
	v_mov_b32_e32 v2, s1
	v_add_co_u32_e32 v0, vcc, s0, v0
	v_addc_co_u32_e32 v1, vcc, v2, v1, vcc
	global_store_dword v[0:1], v3, off
.LBB43_5:
	s_endpgm
.LBB43_6:
	v_cmp_le_u32_e32 vcc, v2, v4
                                        ; implicit-def: $sgpr9
                                        ; implicit-def: $vgpr0
	s_and_saveexec_b64 s[12:13], vcc
	s_xor_b64 s[12:13], exec, s[12:13]
	s_cbranch_execz .LBB43_10
; %bb.7:
	v_cmp_le_u32_e32 vcc, s2, v2
	s_mov_b64 s[2:3], 0
                                        ; implicit-def: $sgpr9
                                        ; implicit-def: $vgpr0
	s_and_saveexec_b64 s[10:11], vcc
	s_xor_b64 s[10:11], exec, s[10:11]
	s_cbranch_execz .LBB43_9
; %bb.8:
	s_mov_b64 s[2:3], exec
	s_waitcnt lgkmcnt(0)
	v_mad_u64_u32 v[0:1], s[14:15], v2, s1, v[4:5]
	s_mov_b32 s9, 0
.LBB43_9:
	s_or_b64 exec, exec, s[10:11]
	s_and_b64 s[10:11], s[2:3], exec
                                        ; implicit-def: $vgpr4
                                        ; implicit-def: $vgpr2
.LBB43_10:
	s_or_saveexec_b64 s[2:3], s[12:13]
	v_mov_b32_e32 v3, s9
	s_xor_b64 exec, exec, s[2:3]
	s_cbranch_execz .LBB43_12
; %bb.11:
	s_waitcnt lgkmcnt(0)
	v_mad_u64_u32 v[0:1], s[12:13], v2, s1, v[4:5]
	v_mov_b32_e32 v3, 0
	s_or_b64 s[10:11], s[10:11], exec
.LBB43_12:
	s_or_b64 exec, exec, s[2:3]
	s_and_b64 s[10:11], s[10:11], exec
                                        ; implicit-def: $vgpr2
	s_andn2_saveexec_b64 s[2:3], s[6:7]
	s_cbranch_execz .LBB43_3
.LBB43_13:
	s_waitcnt lgkmcnt(0)
	v_mad_u64_u32 v[0:1], s[6:7], v2, s1, v[2:3]
	v_mov_b32_e32 v3, 1.0
	s_or_b64 s[10:11], s[10:11], exec
	s_or_b64 exec, exec, s[2:3]
	s_and_b64 exec, exec, s[10:11]
	s_cbranch_execnz .LBB43_4
	s_branch .LBB43_5
	.section	.rodata,"a",@progbits
	.p2align	6, 0x0
	.amdhsa_kernel _ZN9rocsolver6v33100L16org2r_init_identIfPfEEviiiT0_iil
		.amdhsa_group_segment_fixed_size 0
		.amdhsa_private_segment_fixed_size 0
		.amdhsa_kernarg_size 296
		.amdhsa_user_sgpr_count 6
		.amdhsa_user_sgpr_private_segment_buffer 1
		.amdhsa_user_sgpr_dispatch_ptr 0
		.amdhsa_user_sgpr_queue_ptr 0
		.amdhsa_user_sgpr_kernarg_segment_ptr 1
		.amdhsa_user_sgpr_dispatch_id 0
		.amdhsa_user_sgpr_flat_scratch_init 0
		.amdhsa_user_sgpr_kernarg_preload_length 0
		.amdhsa_user_sgpr_kernarg_preload_offset 0
		.amdhsa_user_sgpr_private_segment_size 0
		.amdhsa_uses_dynamic_stack 0
		.amdhsa_system_sgpr_private_segment_wavefront_offset 0
		.amdhsa_system_sgpr_workgroup_id_x 1
		.amdhsa_system_sgpr_workgroup_id_y 1
		.amdhsa_system_sgpr_workgroup_id_z 1
		.amdhsa_system_sgpr_workgroup_info 0
		.amdhsa_system_vgpr_workitem_id 1
		.amdhsa_next_free_vgpr 6
		.amdhsa_next_free_sgpr 16
		.amdhsa_accum_offset 8
		.amdhsa_reserve_vcc 1
		.amdhsa_reserve_flat_scratch 0
		.amdhsa_float_round_mode_32 0
		.amdhsa_float_round_mode_16_64 0
		.amdhsa_float_denorm_mode_32 3
		.amdhsa_float_denorm_mode_16_64 3
		.amdhsa_dx10_clamp 1
		.amdhsa_ieee_mode 1
		.amdhsa_fp16_overflow 0
		.amdhsa_tg_split 0
		.amdhsa_exception_fp_ieee_invalid_op 0
		.amdhsa_exception_fp_denorm_src 0
		.amdhsa_exception_fp_ieee_div_zero 0
		.amdhsa_exception_fp_ieee_overflow 0
		.amdhsa_exception_fp_ieee_underflow 0
		.amdhsa_exception_fp_ieee_inexact 0
		.amdhsa_exception_int_div_zero 0
	.end_amdhsa_kernel
	.section	.text._ZN9rocsolver6v33100L16org2r_init_identIfPfEEviiiT0_iil,"axG",@progbits,_ZN9rocsolver6v33100L16org2r_init_identIfPfEEviiiT0_iil,comdat
.Lfunc_end43:
	.size	_ZN9rocsolver6v33100L16org2r_init_identIfPfEEviiiT0_iil, .Lfunc_end43-_ZN9rocsolver6v33100L16org2r_init_identIfPfEEviiiT0_iil
                                        ; -- End function
	.section	.AMDGPU.csdata,"",@progbits
; Kernel info:
; codeLenInByte = 388
; NumSgprs: 20
; NumVgprs: 6
; NumAgprs: 0
; TotalNumVgprs: 6
; ScratchSize: 0
; MemoryBound: 0
; FloatMode: 240
; IeeeMode: 1
; LDSByteSize: 0 bytes/workgroup (compile time only)
; SGPRBlocks: 2
; VGPRBlocks: 0
; NumSGPRsForWavesPerEU: 20
; NumVGPRsForWavesPerEU: 6
; AccumOffset: 8
; Occupancy: 8
; WaveLimiterHint : 0
; COMPUTE_PGM_RSRC2:SCRATCH_EN: 0
; COMPUTE_PGM_RSRC2:USER_SGPR: 6
; COMPUTE_PGM_RSRC2:TRAP_HANDLER: 0
; COMPUTE_PGM_RSRC2:TGID_X_EN: 1
; COMPUTE_PGM_RSRC2:TGID_Y_EN: 1
; COMPUTE_PGM_RSRC2:TGID_Z_EN: 1
; COMPUTE_PGM_RSRC2:TIDIG_COMP_CNT: 1
; COMPUTE_PGM_RSRC3_GFX90A:ACCUM_OFFSET: 1
; COMPUTE_PGM_RSRC3_GFX90A:TG_SPLIT: 0
	.section	.text._ZN9rocsolver6v33100L16larf_left_kernelILi1024EfiPfEEvT1_S3_T2_lS3_lPKT0_lS4_lS3_l,"axG",@progbits,_ZN9rocsolver6v33100L16larf_left_kernelILi1024EfiPfEEvT1_S3_T2_lS3_lPKT0_lS4_lS3_l,comdat
	.globl	_ZN9rocsolver6v33100L16larf_left_kernelILi1024EfiPfEEvT1_S3_T2_lS3_lPKT0_lS4_lS3_l ; -- Begin function _ZN9rocsolver6v33100L16larf_left_kernelILi1024EfiPfEEvT1_S3_T2_lS3_lPKT0_lS4_lS3_l
	.p2align	8
	.type	_ZN9rocsolver6v33100L16larf_left_kernelILi1024EfiPfEEvT1_S3_T2_lS3_lPKT0_lS4_lS3_l,@function
_ZN9rocsolver6v33100L16larf_left_kernelILi1024EfiPfEEvT1_S3_T2_lS3_lPKT0_lS4_lS3_l: ; @_ZN9rocsolver6v33100L16larf_left_kernelILi1024EfiPfEEvT1_S3_T2_lS3_lPKT0_lS4_lS3_l
; %bb.0:
	s_load_dwordx2 s[0:1], s[4:5], 0x50
	s_load_dwordx2 s[2:3], s[4:5], 0x40
	s_load_dword s6, s[4:5], 0x48
	s_load_dword s9, s[4:5], 0x0
	s_load_dwordx8 s[12:19], s[4:5], 0x20
	s_ashr_i32 s33, s8, 31
	s_waitcnt lgkmcnt(0)
	s_mul_i32 s1, s8, s1
	s_mul_hi_u32 s10, s8, s0
	s_add_i32 s1, s10, s1
	s_mul_i32 s10, s33, s0
	s_add_i32 s11, s1, s10
	s_mul_i32 s10, s8, s0
	s_mul_hi_i32 s25, s6, s7
	s_mul_i32 s24, s6, s7
	v_cmp_gt_i32_e64 s[0:1], s9, v0
	v_mov_b32_e32 v1, 0
	v_xad_u32 v4, v0, -1, s9
	s_and_saveexec_b64 s[6:7], s[0:1]
	s_cbranch_execz .LBB44_11
; %bb.1:
	s_load_dword s26, s[4:5], 0x18
	s_load_dwordx4 s[20:23], s[4:5], 0x8
	s_sub_i32 s4, 1, s9
	s_mul_i32 s13, s8, s13
	s_mov_b64 s[30:31], -1
	s_waitcnt lgkmcnt(0)
	s_ashr_i32 s27, s26, 31
	s_mul_i32 s28, s4, s26
	v_cmp_lt_i64_e64 s[4:5], s[26:27], 1
	s_and_b64 s[4:5], s[4:5], exec
	s_cselect_b32 s4, s28, 0
	s_mul_hi_u32 s28, s8, s12
	s_add_i32 s13, s28, s13
	s_mul_i32 s28, s33, s12
	s_add_i32 s13, s13, s28
	s_movk_i32 s28, 0x3ff
	s_ashr_i32 s5, s4, 31
	s_mul_i32 s12, s8, s12
	v_cmp_lt_u32_e32 vcc, s28, v4
	v_mov_b32_e32 v1, v0
	s_and_saveexec_b64 s[28:29], vcc
	s_cbranch_execz .LBB44_5
; %bb.2:
	s_lshl_b64 s[30:31], s[12:13], 2
	s_add_u32 s34, s20, s30
	s_addc_u32 s35, s21, s31
	s_lshl_b64 s[30:31], s[22:23], 2
	s_add_u32 s34, s34, s30
	s_addc_u32 s35, s35, s31
	s_lshl_b64 s[30:31], s[4:5], 2
	v_lshrrev_b32_e32 v1, 10, v4
	s_add_u32 s34, s34, s30
	v_add_u32_e32 v5, 1, v1
	s_addc_u32 s37, s35, s31
	v_and_b32_e32 v6, 0x7ffffe, v5
	v_or_b32_e32 v1, 0x400, v0
	v_lshlrev_b32_e32 v2, 2, v0
	s_mov_b32 s35, s26
	s_mov_b32 s36, s27
	v_add3_u32 v7, v2, 0, 64
	s_mov_b64 s[30:31], 0
	v_mov_b32_e32 v8, s37
	v_mov_b32_e32 v9, v6
	v_pk_mov_b32 v[2:3], v[0:1], v[0:1] op_sel:[0,1]
.LBB44_3:                               ; =>This Inner Loop Header: Depth=1
	v_mad_u64_u32 v[12:13], s[38:39], s26, v2, 0
	v_mov_b32_e32 v16, v13
	v_mad_u64_u32 v[10:11], s[38:39], s35, v3, 0
	v_mad_u64_u32 v[16:17], s[38:39], s27, v2, v[16:17]
	v_mov_b32_e32 v14, v11
	v_mov_b32_e32 v13, v16
	v_mad_u64_u32 v[14:15], s[38:39], s36, v3, v[14:15]
	v_lshlrev_b64 v[12:13], 2, v[12:13]
	v_mov_b32_e32 v11, v14
	v_add_co_u32_e32 v12, vcc, s34, v12
	v_lshlrev_b64 v[10:11], 2, v[10:11]
	v_addc_co_u32_e32 v13, vcc, v8, v13, vcc
	v_add_co_u32_e32 v10, vcc, s34, v10
	v_addc_co_u32_e32 v11, vcc, v8, v11, vcc
	global_load_dword v1, v[12:13], off
	global_load_dword v14, v[10:11], off
	v_add_u32_e32 v9, -2, v9
	v_cmp_eq_u32_e32 vcc, 0, v9
	v_add_u32_e32 v3, 0x800, v3
	v_add_u32_e32 v2, 0x800, v2
	s_or_b64 s[30:31], vcc, s[30:31]
	s_waitcnt vmcnt(0)
	ds_write2st64_b32 v7, v1, v14 offset1:16
	v_add_u32_e32 v7, 0x2000, v7
	s_andn2_b64 exec, exec, s[30:31]
	s_cbranch_execnz .LBB44_3
; %bb.4:
	s_or_b64 exec, exec, s[30:31]
	v_cmp_ne_u32_e32 vcc, v5, v6
	v_lshl_or_b32 v1, v6, 10, v0
	s_orn2_b64 s[30:31], vcc, exec
.LBB44_5:
	s_or_b64 exec, exec, s[28:29]
	s_and_saveexec_b64 s[28:29], s[30:31]
	s_cbranch_execz .LBB44_8
; %bb.6:
	s_lshl_b64 s[12:13], s[12:13], 2
	s_lshl_b64 s[22:23], s[22:23], 2
	s_lshl_b64 s[4:5], s[4:5], 2
	v_lshlrev_b32_e32 v2, 2, v1
	s_add_u32 s4, s20, s4
	v_add3_u32 v5, v2, 0, 64
	v_mad_u64_u32 v[2:3], s[30:31], s26, v1, 0
	s_addc_u32 s5, s21, s5
	v_mov_b32_e32 v6, v3
	s_add_u32 s4, s4, s22
	v_mad_u64_u32 v[6:7], s[30:31], s27, v1, v[6:7]
	s_addc_u32 s5, s5, s23
	v_mov_b32_e32 v3, v6
	s_add_u32 s4, s4, s12
	v_lshlrev_b64 v[2:3], 2, v[2:3]
	s_addc_u32 s5, s5, s13
	v_mov_b32_e32 v6, s5
	v_add_co_u32_e32 v2, vcc, s4, v2
	s_lshl_b64 s[4:5], s[26:27], 12
	v_addc_co_u32_e32 v3, vcc, v6, v3, vcc
	s_mov_b64 s[12:13], 0
	v_mov_b32_e32 v6, s5
.LBB44_7:                               ; =>This Inner Loop Header: Depth=1
	global_load_dword v7, v[2:3], off
	v_add_co_u32_e32 v2, vcc, s4, v2
	v_add_u32_e32 v1, 0x400, v1
	v_addc_co_u32_e32 v3, vcc, v3, v6, vcc
	v_cmp_le_i32_e32 vcc, s9, v1
	s_or_b64 s[12:13], vcc, s[12:13]
	s_waitcnt vmcnt(0)
	ds_write_b32 v5, v7
	v_add_u32_e32 v5, 0x1000, v5
	s_andn2_b64 exec, exec, s[12:13]
	s_cbranch_execnz .LBB44_7
.LBB44_8:
	s_or_b64 exec, exec, s[28:29]
	s_lshl_b64 s[4:5], s[10:11], 2
	s_lshl_b64 s[12:13], s[24:25], 2
	s_add_u32 s12, s4, s12
	s_addc_u32 s13, s5, s13
	s_lshl_b64 s[4:5], s[2:3], 2
	s_add_u32 s4, s12, s4
	s_addc_u32 s5, s13, s5
	s_add_u32 s4, s18, s4
	v_lshlrev_b32_e32 v2, 2, v0
	s_addc_u32 s5, s19, s5
	v_add3_u32 v5, v2, 0, 64
	v_mov_b32_e32 v3, s5
	v_add_co_u32_e32 v2, vcc, s4, v2
	v_mov_b32_e32 v1, 0
	v_addc_co_u32_e32 v3, vcc, 0, v3, vcc
	s_mov_b64 s[4:5], 0
	v_mov_b32_e32 v6, v0
.LBB44_9:                               ; =>This Inner Loop Header: Depth=1
	global_load_dword v7, v[2:3], off
	ds_read_b32 v8, v5
	v_add_co_u32_e32 v2, vcc, 0x1000, v2
	v_add_u32_e32 v6, 0x400, v6
	v_addc_co_u32_e32 v3, vcc, 0, v3, vcc
	v_cmp_le_i32_e32 vcc, s9, v6
	v_add_u32_e32 v5, 0x1000, v5
	s_or_b64 s[4:5], vcc, s[4:5]
	s_waitcnt vmcnt(0) lgkmcnt(0)
	v_mul_f32_e32 v7, v7, v8
	v_add_f32_e32 v1, v1, v7
	s_andn2_b64 exec, exec, s[4:5]
	s_cbranch_execnz .LBB44_9
; %bb.10:
	s_or_b64 exec, exec, s[4:5]
.LBB44_11:
	s_or_b64 exec, exec, s[6:7]
	v_mbcnt_lo_u32_b32 v2, -1, 0
	v_mbcnt_hi_u32_b32 v2, -1, v2
	v_and_b32_e32 v3, 63, v2
	v_cmp_ne_u32_e32 vcc, 63, v3
	v_addc_co_u32_e32 v5, vcc, 0, v2, vcc
	v_lshlrev_b32_e32 v5, 2, v5
	ds_bpermute_b32 v5, v5, v1
	v_cmp_gt_u32_e32 vcc, 62, v3
	v_cndmask_b32_e64 v6, 0, 1, vcc
	v_cmp_gt_u32_e32 vcc, 60, v3
	s_waitcnt lgkmcnt(0)
	v_add_f32_e32 v1, v1, v5
	v_lshlrev_b32_e32 v5, 1, v6
	v_add_lshl_u32 v5, v5, v2, 2
	ds_bpermute_b32 v5, v5, v1
	v_cndmask_b32_e64 v6, 0, 1, vcc
	v_cmp_gt_u32_e32 vcc, 56, v3
	s_waitcnt lgkmcnt(0)
	v_add_f32_e32 v1, v1, v5
	v_lshlrev_b32_e32 v5, 2, v6
	v_add_lshl_u32 v5, v5, v2, 2
	ds_bpermute_b32 v5, v5, v1
	;; [unrolled: 7-line block ×3, first 2 shown]
	v_cndmask_b32_e64 v6, 0, 1, vcc
	v_cmp_gt_u32_e32 vcc, 32, v3
	v_cndmask_b32_e64 v3, 0, 1, vcc
	v_lshlrev_b32_e32 v3, 5, v3
	s_waitcnt lgkmcnt(0)
	v_add_f32_e32 v1, v1, v5
	v_lshlrev_b32_e32 v5, 4, v6
	v_add_lshl_u32 v5, v5, v2, 2
	ds_bpermute_b32 v5, v5, v1
	v_add_lshl_u32 v2, v3, v2, 2
	v_and_b32_e32 v3, 63, v0
	v_cmp_eq_u32_e32 vcc, 0, v3
	s_waitcnt lgkmcnt(0)
	v_add_f32_e32 v1, v1, v5
	ds_bpermute_b32 v2, v2, v1
	s_waitcnt lgkmcnt(0)
	v_add_f32_e32 v1, v1, v2
	s_and_saveexec_b64 s[4:5], vcc
	s_cbranch_execz .LBB44_13
; %bb.12:
	v_lshrrev_b32_e32 v2, 4, v0
	v_add_u32_e32 v2, 0, v2
	ds_write_b32 v2, v1
.LBB44_13:
	s_or_b64 exec, exec, s[4:5]
	v_cmp_eq_u32_e32 vcc, 0, v0
	s_waitcnt lgkmcnt(0)
	s_barrier
	s_and_saveexec_b64 s[4:5], vcc
	s_cbranch_execz .LBB44_15
; %bb.14:
	v_mov_b32_e32 v5, 0
	ds_read2_b32 v[2:3], v5 offset0:1 offset1:2
	ds_read2_b32 v[6:7], v5 offset0:3 offset1:4
	;; [unrolled: 1-line block ×4, first 2 shown]
	s_waitcnt lgkmcnt(3)
	v_add_f32_e32 v1, v1, v2
	v_add_f32_e32 v1, v1, v3
	s_waitcnt lgkmcnt(2)
	v_add_f32_e32 v1, v1, v6
	v_add_f32_e32 v1, v1, v7
	ds_read2_b32 v[2:3], v5 offset0:9 offset1:10
	s_waitcnt lgkmcnt(2)
	v_add_f32_e32 v1, v1, v8
	v_add_f32_e32 v1, v1, v9
	s_waitcnt lgkmcnt(1)
	v_add_f32_e32 v1, v1, v10
	v_add_f32_e32 v1, v1, v11
	ds_read2_b32 v[6:7], v5 offset0:11 offset1:12
	ds_read2_b32 v[8:9], v5 offset0:13 offset1:14
	ds_read_b32 v10, v5 offset:60
	s_waitcnt lgkmcnt(3)
	v_add_f32_e32 v1, v1, v2
	v_add_f32_e32 v1, v1, v3
	s_waitcnt lgkmcnt(2)
	v_add_f32_e32 v1, v1, v6
	v_add_f32_e32 v1, v1, v7
	s_waitcnt lgkmcnt(1)
	v_add_f32_e32 v1, v1, v8
	v_add_f32_e32 v1, v1, v9
	s_waitcnt lgkmcnt(0)
	v_add_f32_e32 v1, v1, v10
	ds_write_b32 v5, v1
.LBB44_15:
	s_or_b64 exec, exec, s[4:5]
	s_waitcnt lgkmcnt(0)
	s_barrier
	s_and_saveexec_b64 s[4:5], s[0:1]
	s_cbranch_execz .LBB44_23
; %bb.16:
	s_mul_i32 s0, s8, s17
	s_mul_hi_u32 s1, s8, s16
	s_add_i32 s0, s1, s0
	s_mul_i32 s1, s33, s16
	s_add_i32 s1, s0, s1
	s_mul_i32 s0, s8, s16
	s_lshl_b64 s[0:1], s[0:1], 2
	s_add_u32 s0, s14, s0
	s_addc_u32 s1, s15, s1
	v_mov_b32_e32 v5, 0
	s_load_dword s0, s[0:1], 0x0
	ds_read_b32 v1, v5
	s_mov_b64 s[4:5], -1
	s_waitcnt lgkmcnt(0)
	v_mul_f32_e64 v2, v1, -s0
	s_movk_i32 s0, 0x3ff
	v_cmp_lt_u32_e32 vcc, s0, v4
	s_and_saveexec_b64 s[0:1], vcc
	s_cbranch_execz .LBB44_20
; %bb.17:
	s_lshl_b64 s[4:5], s[10:11], 2
	s_add_u32 s6, s18, s4
	s_addc_u32 s7, s19, s5
	s_lshl_b64 s[4:5], s[2:3], 2
	s_add_u32 s6, s6, s4
	v_lshrrev_b32_e32 v1, 10, v4
	s_addc_u32 s7, s7, s5
	s_lshl_b64 s[4:5], s[24:25], 2
	v_add_u32_e32 v8, 1, v1
	s_add_u32 s6, s6, s4
	s_addc_u32 s7, s7, s5
	v_and_b32_e32 v9, 0x7ffffe, v8
	v_or_b32_e32 v1, 0x400, v0
	v_lshlrev_b32_e32 v4, 2, v0
	v_mov_b32_e32 v3, v2
	v_add3_u32 v10, v4, 0, 64
	s_mov_b64 s[4:5], 0
	v_mov_b32_e32 v11, s7
	v_mov_b32_e32 v12, v9
	v_pk_mov_b32 v[6:7], v[0:1], v[0:1] op_sel:[0,1]
.LBB44_18:                              ; =>This Inner Loop Header: Depth=1
	v_mov_b32_e32 v4, v6
	v_lshlrev_b64 v[14:15], 2, v[4:5]
	v_mov_b32_e32 v4, v7
	v_add_co_u32_e32 v14, vcc, s6, v14
	v_addc_co_u32_e32 v15, vcc, v11, v15, vcc
	v_lshlrev_b64 v[16:17], 2, v[4:5]
	v_add_co_u32_e32 v16, vcc, s6, v16
	v_addc_co_u32_e32 v17, vcc, v11, v17, vcc
	global_load_dword v18, v[14:15], off
	global_load_dword v19, v[16:17], off
	ds_read2st64_b32 v[20:21], v10 offset1:16
	v_add_u32_e32 v12, -2, v12
	v_cmp_eq_u32_e32 vcc, 0, v12
	v_add_u32_e32 v6, 0x800, v6
	v_add_u32_e32 v10, 0x2000, v10
	;; [unrolled: 1-line block ×3, first 2 shown]
	s_or_b64 s[4:5], vcc, s[4:5]
	s_waitcnt vmcnt(0) lgkmcnt(0)
	v_pk_fma_f32 v[18:19], v[2:3], v[20:21], v[18:19]
	global_store_dword v[14:15], v18, off
	global_store_dword v[16:17], v19, off
	s_andn2_b64 exec, exec, s[4:5]
	s_cbranch_execnz .LBB44_18
; %bb.19:
	s_or_b64 exec, exec, s[4:5]
	v_cmp_ne_u32_e32 vcc, v8, v9
	v_lshl_or_b32 v0, v9, 10, v0
	s_orn2_b64 s[4:5], vcc, exec
.LBB44_20:
	s_or_b64 exec, exec, s[0:1]
	s_and_b64 exec, exec, s[4:5]
	s_cbranch_execz .LBB44_23
; %bb.21:
	s_lshl_b64 s[0:1], s[10:11], 2
	s_lshl_b64 s[4:5], s[24:25], 2
	s_add_u32 s4, s0, s4
	s_addc_u32 s5, s1, s5
	s_lshl_b64 s[0:1], s[2:3], 2
	s_add_u32 s0, s4, s0
	v_lshlrev_b32_e32 v1, 2, v0
	s_addc_u32 s1, s5, s1
	v_add3_u32 v3, v1, 0, 64
	v_mov_b32_e32 v1, 0
	s_add_u32 s0, s18, s0
	v_lshlrev_b64 v[4:5], 2, v[0:1]
	s_addc_u32 s1, s19, s1
	v_mov_b32_e32 v1, s1
	v_add_co_u32_e32 v4, vcc, s0, v4
	v_addc_co_u32_e32 v5, vcc, v1, v5, vcc
	s_mov_b64 s[0:1], 0
.LBB44_22:                              ; =>This Inner Loop Header: Depth=1
	global_load_dword v1, v[4:5], off
	ds_read_b32 v6, v3
	v_add_u32_e32 v0, 0x400, v0
	v_cmp_le_i32_e32 vcc, s9, v0
	s_or_b64 s[0:1], vcc, s[0:1]
	v_add_u32_e32 v3, 0x1000, v3
	s_waitcnt vmcnt(0) lgkmcnt(0)
	v_fmac_f32_e32 v1, v2, v6
	global_store_dword v[4:5], v1, off
	v_add_co_u32_e32 v4, vcc, 0x1000, v4
	v_addc_co_u32_e32 v5, vcc, 0, v5, vcc
	s_andn2_b64 exec, exec, s[0:1]
	s_cbranch_execnz .LBB44_22
.LBB44_23:
	s_endpgm
	.section	.rodata,"a",@progbits
	.p2align	6, 0x0
	.amdhsa_kernel _ZN9rocsolver6v33100L16larf_left_kernelILi1024EfiPfEEvT1_S3_T2_lS3_lPKT0_lS4_lS3_l
		.amdhsa_group_segment_fixed_size 0
		.amdhsa_private_segment_fixed_size 0
		.amdhsa_kernarg_size 88
		.amdhsa_user_sgpr_count 6
		.amdhsa_user_sgpr_private_segment_buffer 1
		.amdhsa_user_sgpr_dispatch_ptr 0
		.amdhsa_user_sgpr_queue_ptr 0
		.amdhsa_user_sgpr_kernarg_segment_ptr 1
		.amdhsa_user_sgpr_dispatch_id 0
		.amdhsa_user_sgpr_flat_scratch_init 0
		.amdhsa_user_sgpr_kernarg_preload_length 0
		.amdhsa_user_sgpr_kernarg_preload_offset 0
		.amdhsa_user_sgpr_private_segment_size 0
		.amdhsa_uses_dynamic_stack 0
		.amdhsa_system_sgpr_private_segment_wavefront_offset 0
		.amdhsa_system_sgpr_workgroup_id_x 1
		.amdhsa_system_sgpr_workgroup_id_y 1
		.amdhsa_system_sgpr_workgroup_id_z 1
		.amdhsa_system_sgpr_workgroup_info 0
		.amdhsa_system_vgpr_workitem_id 0
		.amdhsa_next_free_vgpr 22
		.amdhsa_next_free_sgpr 40
		.amdhsa_accum_offset 24
		.amdhsa_reserve_vcc 1
		.amdhsa_reserve_flat_scratch 0
		.amdhsa_float_round_mode_32 0
		.amdhsa_float_round_mode_16_64 0
		.amdhsa_float_denorm_mode_32 3
		.amdhsa_float_denorm_mode_16_64 3
		.amdhsa_dx10_clamp 1
		.amdhsa_ieee_mode 1
		.amdhsa_fp16_overflow 0
		.amdhsa_tg_split 0
		.amdhsa_exception_fp_ieee_invalid_op 0
		.amdhsa_exception_fp_denorm_src 0
		.amdhsa_exception_fp_ieee_div_zero 0
		.amdhsa_exception_fp_ieee_overflow 0
		.amdhsa_exception_fp_ieee_underflow 0
		.amdhsa_exception_fp_ieee_inexact 0
		.amdhsa_exception_int_div_zero 0
	.end_amdhsa_kernel
	.section	.text._ZN9rocsolver6v33100L16larf_left_kernelILi1024EfiPfEEvT1_S3_T2_lS3_lPKT0_lS4_lS3_l,"axG",@progbits,_ZN9rocsolver6v33100L16larf_left_kernelILi1024EfiPfEEvT1_S3_T2_lS3_lPKT0_lS4_lS3_l,comdat
.Lfunc_end44:
	.size	_ZN9rocsolver6v33100L16larf_left_kernelILi1024EfiPfEEvT1_S3_T2_lS3_lPKT0_lS4_lS3_l, .Lfunc_end44-_ZN9rocsolver6v33100L16larf_left_kernelILi1024EfiPfEEvT1_S3_T2_lS3_lPKT0_lS4_lS3_l
                                        ; -- End function
	.section	.AMDGPU.csdata,"",@progbits
; Kernel info:
; codeLenInByte = 1812
; NumSgprs: 44
; NumVgprs: 22
; NumAgprs: 0
; TotalNumVgprs: 22
; ScratchSize: 0
; MemoryBound: 0
; FloatMode: 240
; IeeeMode: 1
; LDSByteSize: 0 bytes/workgroup (compile time only)
; SGPRBlocks: 5
; VGPRBlocks: 2
; NumSGPRsForWavesPerEU: 44
; NumVGPRsForWavesPerEU: 22
; AccumOffset: 24
; Occupancy: 8
; WaveLimiterHint : 0
; COMPUTE_PGM_RSRC2:SCRATCH_EN: 0
; COMPUTE_PGM_RSRC2:USER_SGPR: 6
; COMPUTE_PGM_RSRC2:TRAP_HANDLER: 0
; COMPUTE_PGM_RSRC2:TGID_X_EN: 1
; COMPUTE_PGM_RSRC2:TGID_Y_EN: 1
; COMPUTE_PGM_RSRC2:TGID_Z_EN: 1
; COMPUTE_PGM_RSRC2:TIDIG_COMP_CNT: 0
; COMPUTE_PGM_RSRC3_GFX90A:ACCUM_OFFSET: 5
; COMPUTE_PGM_RSRC3_GFX90A:TG_SPLIT: 0
	.section	.text._ZN9rocsolver6v33100L17larf_right_kernelILi1024EfiPfEEvT1_S3_T2_lS3_lPKT0_lS4_lS3_l,"axG",@progbits,_ZN9rocsolver6v33100L17larf_right_kernelILi1024EfiPfEEvT1_S3_T2_lS3_lPKT0_lS4_lS3_l,comdat
	.globl	_ZN9rocsolver6v33100L17larf_right_kernelILi1024EfiPfEEvT1_S3_T2_lS3_lPKT0_lS4_lS3_l ; -- Begin function _ZN9rocsolver6v33100L17larf_right_kernelILi1024EfiPfEEvT1_S3_T2_lS3_lPKT0_lS4_lS3_l
	.p2align	8
	.type	_ZN9rocsolver6v33100L17larf_right_kernelILi1024EfiPfEEvT1_S3_T2_lS3_lPKT0_lS4_lS3_l,@function
_ZN9rocsolver6v33100L17larf_right_kernelILi1024EfiPfEEvT1_S3_T2_lS3_lPKT0_lS4_lS3_l: ; @_ZN9rocsolver6v33100L17larf_right_kernelILi1024EfiPfEEvT1_S3_T2_lS3_lPKT0_lS4_lS3_l
; %bb.0:
	s_load_dword s9, s[4:5], 0x4
	s_load_dwordx8 s[12:19], s[4:5], 0x20
	s_load_dwordx2 s[10:11], s[4:5], 0x40
	s_load_dword s2, s[4:5], 0x48
	s_load_dwordx2 s[0:1], s[4:5], 0x50
	s_ashr_i32 s38, s8, 31
	s_mov_b32 s6, s7
	s_ashr_i32 s7, s7, 31
	s_waitcnt lgkmcnt(0)
	v_cmp_gt_i32_e32 vcc, s9, v0
	v_mov_b32_e32 v1, 0
	s_mul_i32 s33, s0, s38
	s_mul_hi_u32 s36, s0, s8
	s_mul_i32 s37, s1, s8
	s_mul_i32 s24, s0, s8
	s_and_saveexec_b64 s[26:27], vcc
	s_cbranch_execz .LBB45_11
; %bb.1:
	s_load_dword s28, s[4:5], 0x18
	s_load_dwordx4 s[20:23], s[4:5], 0x8
	s_sub_i32 s0, 1, s9
	s_mul_i32 s3, s8, s13
	v_xad_u32 v2, v0, -1, s9
	s_waitcnt lgkmcnt(0)
	s_ashr_i32 s29, s28, 31
	s_mul_i32 s4, s0, s28
	v_cmp_lt_i64_e64 s[0:1], s[28:29], 1
	s_and_b64 s[0:1], s[0:1], exec
	s_mul_hi_u32 s0, s8, s12
	s_cselect_b32 s4, s4, 0
	s_add_i32 s0, s0, s3
	s_mul_i32 s1, s38, s12
	s_add_i32 s13, s0, s1
	s_movk_i32 s0, 0x3ff
	s_ashr_i32 s5, s4, 31
	s_mul_i32 s12, s8, s12
	v_cmp_lt_u32_e64 s[0:1], s0, v2
	s_mov_b64 s[34:35], -1
	v_mov_b32_e32 v1, v0
	s_and_saveexec_b64 s[30:31], s[0:1]
	s_cbranch_execz .LBB45_5
; %bb.2:
	s_lshl_b64 s[0:1], s[12:13], 2
	s_add_u32 s3, s20, s0
	s_addc_u32 s25, s21, s1
	s_lshl_b64 s[0:1], s[22:23], 2
	s_add_u32 s3, s3, s0
	s_addc_u32 s25, s25, s1
	s_lshl_b64 s[0:1], s[4:5], 2
	v_lshrrev_b32_e32 v1, 10, v2
	s_add_u32 s3, s3, s0
	v_add_u32_e32 v4, 1, v1
	s_addc_u32 s0, s25, s1
	v_and_b32_e32 v5, 0x7ffffe, v4
	v_or_b32_e32 v1, 0x400, v0
	v_lshlrev_b32_e32 v2, 2, v0
	s_mov_b32 s25, s28
	s_mov_b32 s39, s29
	v_add3_u32 v6, v2, 0, 64
	s_mov_b64 s[34:35], 0
	v_mov_b32_e32 v7, s0
	v_mov_b32_e32 v8, v5
	v_pk_mov_b32 v[2:3], v[0:1], v[0:1] op_sel:[0,1]
.LBB45_3:                               ; =>This Inner Loop Header: Depth=1
	v_mad_u64_u32 v[12:13], s[0:1], s28, v2, 0
	v_mov_b32_e32 v16, v13
	v_mad_u64_u32 v[10:11], s[0:1], s25, v3, 0
	v_mad_u64_u32 v[16:17], s[0:1], s29, v2, v[16:17]
	v_mov_b32_e32 v14, v11
	v_mov_b32_e32 v13, v16
	v_mad_u64_u32 v[14:15], s[0:1], s39, v3, v[14:15]
	v_lshlrev_b64 v[12:13], 2, v[12:13]
	v_mov_b32_e32 v11, v14
	v_add_co_u32_e64 v12, s[0:1], s3, v12
	v_lshlrev_b64 v[10:11], 2, v[10:11]
	v_addc_co_u32_e64 v13, s[0:1], v7, v13, s[0:1]
	v_add_co_u32_e64 v10, s[0:1], s3, v10
	v_addc_co_u32_e64 v11, s[0:1], v7, v11, s[0:1]
	global_load_dword v1, v[12:13], off
	global_load_dword v9, v[10:11], off
	v_add_u32_e32 v8, -2, v8
	v_cmp_eq_u32_e64 s[0:1], 0, v8
	v_add_u32_e32 v3, 0x800, v3
	v_add_u32_e32 v2, 0x800, v2
	s_or_b64 s[34:35], s[0:1], s[34:35]
	s_waitcnt vmcnt(0)
	ds_write2st64_b32 v6, v1, v9 offset1:16
	v_add_u32_e32 v6, 0x2000, v6
	s_andn2_b64 exec, exec, s[34:35]
	s_cbranch_execnz .LBB45_3
; %bb.4:
	s_or_b64 exec, exec, s[34:35]
	v_cmp_ne_u32_e64 s[0:1], v4, v5
	v_lshl_or_b32 v1, v5, 10, v0
	s_orn2_b64 s[34:35], s[0:1], exec
.LBB45_5:
	s_or_b64 exec, exec, s[30:31]
	s_and_saveexec_b64 s[30:31], s[34:35]
	s_cbranch_execz .LBB45_8
; %bb.6:
	v_lshlrev_b32_e32 v2, 2, v1
	v_add3_u32 v4, v2, 0, 64
	s_lshl_b64 s[0:1], s[12:13], 2
	v_mad_u64_u32 v[2:3], s[12:13], s28, v1, 0
	v_mov_b32_e32 v6, v3
	v_mad_u64_u32 v[6:7], s[12:13], s29, v1, v[6:7]
	s_lshl_b64 s[12:13], s[22:23], 2
	s_lshl_b64 s[4:5], s[4:5], 2
	s_add_u32 s3, s20, s4
	s_addc_u32 s4, s21, s5
	s_add_u32 s3, s3, s12
	s_addc_u32 s4, s4, s13
	v_mov_b32_e32 v3, v6
	s_add_u32 s0, s3, s0
	v_lshlrev_b64 v[2:3], 2, v[2:3]
	s_addc_u32 s1, s4, s1
	v_mov_b32_e32 v5, s1
	v_add_co_u32_e64 v2, s[0:1], s0, v2
	s_lshl_b64 s[4:5], s[28:29], 12
	v_addc_co_u32_e64 v3, s[0:1], v5, v3, s[0:1]
	s_mov_b64 s[12:13], 0
	v_mov_b32_e32 v5, s5
.LBB45_7:                               ; =>This Inner Loop Header: Depth=1
	global_load_dword v6, v[2:3], off
	v_add_co_u32_e64 v2, s[0:1], s4, v2
	v_add_u32_e32 v1, 0x400, v1
	v_addc_co_u32_e64 v3, s[0:1], v3, v5, s[0:1]
	v_cmp_le_i32_e64 s[0:1], s9, v1
	s_or_b64 s[12:13], s[0:1], s[12:13]
	s_waitcnt vmcnt(0)
	ds_write_b32 v4, v6
	v_add_u32_e32 v4, 0x1000, v4
	s_andn2_b64 exec, exec, s[12:13]
	s_cbranch_execnz .LBB45_7
.LBB45_8:
	s_or_b64 exec, exec, s[30:31]
	s_add_i32 s0, s36, s33
	s_add_i32 s25, s0, s37
	v_mad_i64_i32 v[2:3], s[4:5], s2, v0, 0
	s_ashr_i32 s3, s2, 31
	s_lshl_b64 s[0:1], s[24:25], 2
	s_lshl_b64 s[4:5], s[10:11], 2
	;; [unrolled: 1-line block ×3, first 2 shown]
	s_add_u32 s12, s18, s12
	s_addc_u32 s13, s19, s13
	s_add_u32 s4, s12, s4
	s_addc_u32 s5, s13, s5
	s_add_u32 s0, s4, s0
	v_lshlrev_b32_e32 v1, 2, v0
	v_lshlrev_b64 v[2:3], 2, v[2:3]
	s_addc_u32 s1, s5, s1
	v_add3_u32 v4, v1, 0, 64
	v_mov_b32_e32 v1, s1
	v_add_co_u32_e64 v2, s[0:1], s0, v2
	s_lshl_b64 s[12:13], s[2:3], 12
	v_addc_co_u32_e64 v3, s[0:1], v1, v3, s[0:1]
	s_mov_b64 s[4:5], 0
	v_mov_b32_e32 v1, 0
	v_mov_b32_e32 v5, s13
	;; [unrolled: 1-line block ×3, first 2 shown]
.LBB45_9:                               ; =>This Inner Loop Header: Depth=1
	global_load_dword v7, v[2:3], off
	ds_read_b32 v8, v4
	v_add_co_u32_e64 v2, s[0:1], s12, v2
	v_add_u32_e32 v6, 0x400, v6
	v_addc_co_u32_e64 v3, s[0:1], v3, v5, s[0:1]
	v_cmp_le_i32_e64 s[0:1], s9, v6
	v_add_u32_e32 v4, 0x1000, v4
	s_or_b64 s[4:5], s[0:1], s[4:5]
	s_waitcnt vmcnt(0) lgkmcnt(0)
	v_mul_f32_e32 v7, v7, v8
	v_add_f32_e32 v1, v1, v7
	s_andn2_b64 exec, exec, s[4:5]
	s_cbranch_execnz .LBB45_9
; %bb.10:
	s_or_b64 exec, exec, s[4:5]
.LBB45_11:
	s_or_b64 exec, exec, s[26:27]
	v_mbcnt_lo_u32_b32 v2, -1, 0
	v_mbcnt_hi_u32_b32 v2, -1, v2
	v_and_b32_e32 v3, 63, v2
	v_cmp_ne_u32_e64 s[0:1], 63, v3
	v_addc_co_u32_e64 v4, s[0:1], 0, v2, s[0:1]
	v_lshlrev_b32_e32 v4, 2, v4
	ds_bpermute_b32 v4, v4, v1
	v_cmp_gt_u32_e64 s[0:1], 62, v3
	v_cndmask_b32_e64 v5, 0, 1, s[0:1]
	v_cmp_gt_u32_e64 s[0:1], 60, v3
	s_waitcnt lgkmcnt(0)
	v_add_f32_e32 v1, v1, v4
	v_lshlrev_b32_e32 v4, 1, v5
	v_add_lshl_u32 v4, v4, v2, 2
	ds_bpermute_b32 v4, v4, v1
	v_cndmask_b32_e64 v5, 0, 1, s[0:1]
	v_cmp_gt_u32_e64 s[0:1], 56, v3
	s_waitcnt lgkmcnt(0)
	v_add_f32_e32 v1, v1, v4
	v_lshlrev_b32_e32 v4, 2, v5
	v_add_lshl_u32 v4, v4, v2, 2
	ds_bpermute_b32 v4, v4, v1
	;; [unrolled: 7-line block ×3, first 2 shown]
	v_cndmask_b32_e64 v5, 0, 1, s[0:1]
	v_cmp_gt_u32_e64 s[0:1], 32, v3
	v_cndmask_b32_e64 v3, 0, 1, s[0:1]
	v_lshlrev_b32_e32 v3, 5, v3
	s_waitcnt lgkmcnt(0)
	v_add_f32_e32 v1, v1, v4
	v_lshlrev_b32_e32 v4, 4, v5
	v_add_lshl_u32 v4, v4, v2, 2
	ds_bpermute_b32 v4, v4, v1
	v_add_lshl_u32 v2, v3, v2, 2
	v_and_b32_e32 v3, 63, v0
	v_cmp_eq_u32_e64 s[0:1], 0, v3
	s_waitcnt lgkmcnt(0)
	v_add_f32_e32 v1, v1, v4
	ds_bpermute_b32 v2, v2, v1
	s_waitcnt lgkmcnt(0)
	v_add_f32_e32 v1, v1, v2
	s_and_saveexec_b64 s[4:5], s[0:1]
	s_cbranch_execz .LBB45_13
; %bb.12:
	v_lshrrev_b32_e32 v2, 4, v0
	v_add_u32_e32 v2, 0, v2
	ds_write_b32 v2, v1
.LBB45_13:
	s_or_b64 exec, exec, s[4:5]
	v_cmp_eq_u32_e64 s[0:1], 0, v0
	s_waitcnt lgkmcnt(0)
	s_barrier
	s_and_saveexec_b64 s[4:5], s[0:1]
	s_cbranch_execz .LBB45_15
; %bb.14:
	v_mov_b32_e32 v10, 0
	ds_read2_b32 v[2:3], v10 offset0:1 offset1:2
	ds_read2_b32 v[4:5], v10 offset0:3 offset1:4
	;; [unrolled: 1-line block ×4, first 2 shown]
	s_waitcnt lgkmcnt(3)
	v_add_f32_e32 v1, v1, v2
	v_add_f32_e32 v1, v1, v3
	s_waitcnt lgkmcnt(2)
	v_add_f32_e32 v1, v1, v4
	v_add_f32_e32 v1, v1, v5
	ds_read2_b32 v[2:3], v10 offset0:9 offset1:10
	s_waitcnt lgkmcnt(2)
	v_add_f32_e32 v1, v1, v6
	v_add_f32_e32 v1, v1, v7
	s_waitcnt lgkmcnt(1)
	v_add_f32_e32 v1, v1, v8
	v_add_f32_e32 v1, v1, v9
	ds_read2_b32 v[4:5], v10 offset0:11 offset1:12
	ds_read2_b32 v[6:7], v10 offset0:13 offset1:14
	ds_read_b32 v8, v10 offset:60
	s_waitcnt lgkmcnt(3)
	v_add_f32_e32 v1, v1, v2
	v_add_f32_e32 v1, v1, v3
	s_waitcnt lgkmcnt(2)
	v_add_f32_e32 v1, v1, v4
	v_add_f32_e32 v1, v1, v5
	;; [unrolled: 3-line block ×3, first 2 shown]
	s_waitcnt lgkmcnt(0)
	v_add_f32_e32 v1, v1, v8
	ds_write_b32 v10, v1
.LBB45_15:
	s_or_b64 exec, exec, s[4:5]
	s_waitcnt lgkmcnt(0)
	s_barrier
	s_and_saveexec_b64 s[0:1], vcc
	s_cbranch_execz .LBB45_18
; %bb.16:
	s_mul_i32 s0, s8, s17
	s_mul_hi_u32 s1, s8, s16
	s_add_i32 s0, s1, s0
	s_mul_i32 s1, s38, s16
	s_add_i32 s1, s0, s1
	s_mul_i32 s0, s8, s16
	s_lshl_b64 s[0:1], s[0:1], 2
	s_add_u32 s0, s14, s0
	s_addc_u32 s1, s15, s1
	v_mov_b32_e32 v1, 0
	s_load_dword s0, s[0:1], 0x0
	ds_read_b32 v1, v1
	v_lshlrev_b32_e32 v2, 2, v0
	v_add3_u32 v4, v2, 0, 64
	v_mad_i64_i32 v[2:3], s[4:5], s2, v0, 0
	s_waitcnt lgkmcnt(0)
	v_mul_f32_e64 v1, v1, -s0
	s_add_i32 s0, s36, s33
	s_add_i32 s25, s0, s37
	s_ashr_i32 s3, s2, 31
	s_lshl_b64 s[0:1], s[24:25], 2
	s_lshl_b64 s[4:5], s[10:11], 2
	;; [unrolled: 1-line block ×3, first 2 shown]
	s_add_u32 s6, s18, s6
	s_addc_u32 s7, s19, s7
	s_add_u32 s4, s6, s4
	s_addc_u32 s5, s7, s5
	s_add_u32 s0, s4, s0
	v_lshlrev_b64 v[2:3], 2, v[2:3]
	s_addc_u32 s1, s5, s1
	v_mov_b32_e32 v5, s1
	v_add_co_u32_e32 v2, vcc, s0, v2
	s_lshl_b64 s[0:1], s[2:3], 12
	v_addc_co_u32_e32 v3, vcc, v5, v3, vcc
	s_mov_b64 s[2:3], 0
	v_mov_b32_e32 v5, s1
.LBB45_17:                              ; =>This Inner Loop Header: Depth=1
	global_load_dword v6, v[2:3], off
	ds_read_b32 v7, v4
	v_add_u32_e32 v0, 0x400, v0
	v_cmp_le_i32_e32 vcc, s9, v0
	s_or_b64 s[2:3], vcc, s[2:3]
	v_add_u32_e32 v4, 0x1000, v4
	s_waitcnt vmcnt(0) lgkmcnt(0)
	v_fmac_f32_e32 v6, v1, v7
	global_store_dword v[2:3], v6, off
	v_add_co_u32_e32 v2, vcc, s0, v2
	v_addc_co_u32_e32 v3, vcc, v3, v5, vcc
	s_andn2_b64 exec, exec, s[2:3]
	s_cbranch_execnz .LBB45_17
.LBB45_18:
	s_endpgm
	.section	.rodata,"a",@progbits
	.p2align	6, 0x0
	.amdhsa_kernel _ZN9rocsolver6v33100L17larf_right_kernelILi1024EfiPfEEvT1_S3_T2_lS3_lPKT0_lS4_lS3_l
		.amdhsa_group_segment_fixed_size 0
		.amdhsa_private_segment_fixed_size 0
		.amdhsa_kernarg_size 88
		.amdhsa_user_sgpr_count 6
		.amdhsa_user_sgpr_private_segment_buffer 1
		.amdhsa_user_sgpr_dispatch_ptr 0
		.amdhsa_user_sgpr_queue_ptr 0
		.amdhsa_user_sgpr_kernarg_segment_ptr 1
		.amdhsa_user_sgpr_dispatch_id 0
		.amdhsa_user_sgpr_flat_scratch_init 0
		.amdhsa_user_sgpr_kernarg_preload_length 0
		.amdhsa_user_sgpr_kernarg_preload_offset 0
		.amdhsa_user_sgpr_private_segment_size 0
		.amdhsa_uses_dynamic_stack 0
		.amdhsa_system_sgpr_private_segment_wavefront_offset 0
		.amdhsa_system_sgpr_workgroup_id_x 1
		.amdhsa_system_sgpr_workgroup_id_y 1
		.amdhsa_system_sgpr_workgroup_id_z 1
		.amdhsa_system_sgpr_workgroup_info 0
		.amdhsa_system_vgpr_workitem_id 0
		.amdhsa_next_free_vgpr 18
		.amdhsa_next_free_sgpr 40
		.amdhsa_accum_offset 20
		.amdhsa_reserve_vcc 1
		.amdhsa_reserve_flat_scratch 0
		.amdhsa_float_round_mode_32 0
		.amdhsa_float_round_mode_16_64 0
		.amdhsa_float_denorm_mode_32 3
		.amdhsa_float_denorm_mode_16_64 3
		.amdhsa_dx10_clamp 1
		.amdhsa_ieee_mode 1
		.amdhsa_fp16_overflow 0
		.amdhsa_tg_split 0
		.amdhsa_exception_fp_ieee_invalid_op 0
		.amdhsa_exception_fp_denorm_src 0
		.amdhsa_exception_fp_ieee_div_zero 0
		.amdhsa_exception_fp_ieee_overflow 0
		.amdhsa_exception_fp_ieee_underflow 0
		.amdhsa_exception_fp_ieee_inexact 0
		.amdhsa_exception_int_div_zero 0
	.end_amdhsa_kernel
	.section	.text._ZN9rocsolver6v33100L17larf_right_kernelILi1024EfiPfEEvT1_S3_T2_lS3_lPKT0_lS4_lS3_l,"axG",@progbits,_ZN9rocsolver6v33100L17larf_right_kernelILi1024EfiPfEEvT1_S3_T2_lS3_lPKT0_lS4_lS3_l,comdat
.Lfunc_end45:
	.size	_ZN9rocsolver6v33100L17larf_right_kernelILi1024EfiPfEEvT1_S3_T2_lS3_lPKT0_lS4_lS3_l, .Lfunc_end45-_ZN9rocsolver6v33100L17larf_right_kernelILi1024EfiPfEEvT1_S3_T2_lS3_lPKT0_lS4_lS3_l
                                        ; -- End function
	.section	.AMDGPU.csdata,"",@progbits
; Kernel info:
; codeLenInByte = 1672
; NumSgprs: 44
; NumVgprs: 18
; NumAgprs: 0
; TotalNumVgprs: 18
; ScratchSize: 0
; MemoryBound: 0
; FloatMode: 240
; IeeeMode: 1
; LDSByteSize: 0 bytes/workgroup (compile time only)
; SGPRBlocks: 5
; VGPRBlocks: 2
; NumSGPRsForWavesPerEU: 44
; NumVGPRsForWavesPerEU: 18
; AccumOffset: 20
; Occupancy: 8
; WaveLimiterHint : 0
; COMPUTE_PGM_RSRC2:SCRATCH_EN: 0
; COMPUTE_PGM_RSRC2:USER_SGPR: 6
; COMPUTE_PGM_RSRC2:TRAP_HANDLER: 0
; COMPUTE_PGM_RSRC2:TGID_X_EN: 1
; COMPUTE_PGM_RSRC2:TGID_Y_EN: 1
; COMPUTE_PGM_RSRC2:TGID_Z_EN: 1
; COMPUTE_PGM_RSRC2:TIDIG_COMP_CNT: 0
; COMPUTE_PGM_RSRC3_GFX90A:ACCUM_OFFSET: 4
; COMPUTE_PGM_RSRC3_GFX90A:TG_SPLIT: 0
	.section	.text._ZN9rocsolver6v33100L12subtract_tauIfPfEEviiT0_iilPT_l,"axG",@progbits,_ZN9rocsolver6v33100L12subtract_tauIfPfEEviiT0_iilPT_l,comdat
	.globl	_ZN9rocsolver6v33100L12subtract_tauIfPfEEviiT0_iilPT_l ; -- Begin function _ZN9rocsolver6v33100L12subtract_tauIfPfEEviiT0_iilPT_l
	.p2align	8
	.type	_ZN9rocsolver6v33100L12subtract_tauIfPfEEviiT0_iilPT_l,@function
_ZN9rocsolver6v33100L12subtract_tauIfPfEEviiT0_iilPT_l: ; @_ZN9rocsolver6v33100L12subtract_tauIfPfEEviiT0_iilPT_l
; %bb.0:
	s_load_dwordx2 s[12:13], s[4:5], 0x10
	s_load_dwordx4 s[0:3], s[4:5], 0x18
	s_load_dwordx4 s[8:11], s[4:5], 0x0
	s_load_dwordx2 s[14:15], s[4:5], 0x28
	v_mov_b32_e32 v0, 0
	s_waitcnt lgkmcnt(0)
	s_ashr_i32 s5, s12, 31
	s_mul_i32 s1, s6, s1
	s_mul_hi_u32 s7, s6, s0
	s_add_i32 s1, s7, s1
	s_mul_i32 s0, s6, s0
	s_lshl_b64 s[0:1], s[0:1], 2
	s_mov_b32 s4, s12
	s_add_u32 s7, s10, s0
	s_addc_u32 s10, s11, s1
	s_lshl_b64 s[0:1], s[4:5], 2
	s_add_u32 s4, s7, s0
	s_addc_u32 s5, s10, s1
	s_mul_i32 s0, s6, s15
	s_mul_hi_u32 s1, s6, s14
	s_add_i32 s1, s1, s0
	s_mul_i32 s0, s6, s14
	s_lshl_b64 s[0:1], s[0:1], 2
	s_add_u32 s0, s2, s0
	s_addc_u32 s1, s3, s1
	s_load_dword s2, s[0:1], 0x0
	s_waitcnt lgkmcnt(0)
	s_xor_b32 s3, s2, 0x80000000
	v_mov_b32_e32 v1, s3
	global_store_dword v0, v1, s[0:1]
	s_mul_i32 s0, s13, s9
	s_add_i32 s0, s0, s8
	s_ashr_i32 s1, s0, 31
	s_lshl_b64 s[0:1], s[0:1], 2
	s_add_u32 s0, s4, s0
	v_sub_f32_e64 v1, 1.0, s2
	s_addc_u32 s1, s5, s1
	global_store_dword v0, v1, s[0:1]
	s_endpgm
	.section	.rodata,"a",@progbits
	.p2align	6, 0x0
	.amdhsa_kernel _ZN9rocsolver6v33100L12subtract_tauIfPfEEviiT0_iilPT_l
		.amdhsa_group_segment_fixed_size 0
		.amdhsa_private_segment_fixed_size 0
		.amdhsa_kernarg_size 48
		.amdhsa_user_sgpr_count 6
		.amdhsa_user_sgpr_private_segment_buffer 1
		.amdhsa_user_sgpr_dispatch_ptr 0
		.amdhsa_user_sgpr_queue_ptr 0
		.amdhsa_user_sgpr_kernarg_segment_ptr 1
		.amdhsa_user_sgpr_dispatch_id 0
		.amdhsa_user_sgpr_flat_scratch_init 0
		.amdhsa_user_sgpr_kernarg_preload_length 0
		.amdhsa_user_sgpr_kernarg_preload_offset 0
		.amdhsa_user_sgpr_private_segment_size 0
		.amdhsa_uses_dynamic_stack 0
		.amdhsa_system_sgpr_private_segment_wavefront_offset 0
		.amdhsa_system_sgpr_workgroup_id_x 1
		.amdhsa_system_sgpr_workgroup_id_y 0
		.amdhsa_system_sgpr_workgroup_id_z 0
		.amdhsa_system_sgpr_workgroup_info 0
		.amdhsa_system_vgpr_workitem_id 0
		.amdhsa_next_free_vgpr 2
		.amdhsa_next_free_sgpr 16
		.amdhsa_accum_offset 4
		.amdhsa_reserve_vcc 0
		.amdhsa_reserve_flat_scratch 0
		.amdhsa_float_round_mode_32 0
		.amdhsa_float_round_mode_16_64 0
		.amdhsa_float_denorm_mode_32 3
		.amdhsa_float_denorm_mode_16_64 3
		.amdhsa_dx10_clamp 1
		.amdhsa_ieee_mode 1
		.amdhsa_fp16_overflow 0
		.amdhsa_tg_split 0
		.amdhsa_exception_fp_ieee_invalid_op 0
		.amdhsa_exception_fp_denorm_src 0
		.amdhsa_exception_fp_ieee_div_zero 0
		.amdhsa_exception_fp_ieee_overflow 0
		.amdhsa_exception_fp_ieee_underflow 0
		.amdhsa_exception_fp_ieee_inexact 0
		.amdhsa_exception_int_div_zero 0
	.end_amdhsa_kernel
	.section	.text._ZN9rocsolver6v33100L12subtract_tauIfPfEEviiT0_iilPT_l,"axG",@progbits,_ZN9rocsolver6v33100L12subtract_tauIfPfEEviiT0_iilPT_l,comdat
.Lfunc_end46:
	.size	_ZN9rocsolver6v33100L12subtract_tauIfPfEEviiT0_iilPT_l, .Lfunc_end46-_ZN9rocsolver6v33100L12subtract_tauIfPfEEviiT0_iilPT_l
                                        ; -- End function
	.section	.AMDGPU.csdata,"",@progbits
; Kernel info:
; codeLenInByte = 192
; NumSgprs: 20
; NumVgprs: 2
; NumAgprs: 0
; TotalNumVgprs: 2
; ScratchSize: 0
; MemoryBound: 0
; FloatMode: 240
; IeeeMode: 1
; LDSByteSize: 0 bytes/workgroup (compile time only)
; SGPRBlocks: 2
; VGPRBlocks: 0
; NumSGPRsForWavesPerEU: 20
; NumVGPRsForWavesPerEU: 2
; AccumOffset: 4
; Occupancy: 8
; WaveLimiterHint : 0
; COMPUTE_PGM_RSRC2:SCRATCH_EN: 0
; COMPUTE_PGM_RSRC2:USER_SGPR: 6
; COMPUTE_PGM_RSRC2:TRAP_HANDLER: 0
; COMPUTE_PGM_RSRC2:TGID_X_EN: 1
; COMPUTE_PGM_RSRC2:TGID_Y_EN: 0
; COMPUTE_PGM_RSRC2:TGID_Z_EN: 0
; COMPUTE_PGM_RSRC2:TIDIG_COMP_CNT: 0
; COMPUTE_PGM_RSRC3_GFX90A:ACCUM_OFFSET: 0
; COMPUTE_PGM_RSRC3_GFX90A:TG_SPLIT: 0
	.section	.text._ZN9rocsolver6v33100L14set_triangularIfPfTnNSt9enable_ifIXnt18rocblas_is_complexIT_EEiE4typeELi0EEEviiT0_iilPS4_lS8_il15rocblas_direct_15rocblas_storev_b,"axG",@progbits,_ZN9rocsolver6v33100L14set_triangularIfPfTnNSt9enable_ifIXnt18rocblas_is_complexIT_EEiE4typeELi0EEEviiT0_iilPS4_lS8_il15rocblas_direct_15rocblas_storev_b,comdat
	.globl	_ZN9rocsolver6v33100L14set_triangularIfPfTnNSt9enable_ifIXnt18rocblas_is_complexIT_EEiE4typeELi0EEEviiT0_iilPS4_lS8_il15rocblas_direct_15rocblas_storev_b ; -- Begin function _ZN9rocsolver6v33100L14set_triangularIfPfTnNSt9enable_ifIXnt18rocblas_is_complexIT_EEiE4typeELi0EEEviiT0_iilPS4_lS8_il15rocblas_direct_15rocblas_storev_b
	.p2align	8
	.type	_ZN9rocsolver6v33100L14set_triangularIfPfTnNSt9enable_ifIXnt18rocblas_is_complexIT_EEiE4typeELi0EEEviiT0_iilPS4_lS8_il15rocblas_direct_15rocblas_storev_b,@function
_ZN9rocsolver6v33100L14set_triangularIfPfTnNSt9enable_ifIXnt18rocblas_is_complexIT_EEiE4typeELi0EEEviiT0_iilPS4_lS8_il15rocblas_direct_15rocblas_storev_b: ; @_ZN9rocsolver6v33100L14set_triangularIfPfTnNSt9enable_ifIXnt18rocblas_is_complexIT_EEiE4typeELi0EEEviiT0_iilPS4_lS8_il15rocblas_direct_15rocblas_storev_b
; %bb.0:
	s_load_dword s0, s[4:5], 0x64
	s_load_dwordx2 s[20:21], s[4:5], 0x0
	v_and_b32_e32 v1, 0x3ff, v0
	v_bfe_u32 v0, v0, 10, 10
	s_waitcnt lgkmcnt(0)
	s_lshr_b32 s1, s0, 16
	s_and_b32 s0, s0, 0xffff
	s_mul_i32 s6, s6, s0
	s_mul_i32 s7, s7, s1
	v_add_u32_e32 v2, s6, v1
	v_add_u32_e32 v0, s7, v0
	v_max_u32_e32 v1, v2, v0
	v_cmp_gt_u32_e32 vcc, s21, v1
	s_and_saveexec_b64 s[0:1], vcc
	s_cbranch_execz .LBB47_36
; %bb.1:
	s_load_dwordx8 s[12:19], s[4:5], 0x18
	s_load_dword s22, s[4:5], 0x38
	s_load_dwordx2 s[0:1], s[4:5], 0x40
	v_cmp_ne_u32_e32 vcc, v0, v2
	s_waitcnt lgkmcnt(0)
	s_mul_i32 s3, s8, s17
	s_mul_hi_u32 s6, s8, s16
	s_mul_i32 s2, s8, s16
	s_add_i32 s3, s6, s3
	s_lshl_b64 s[2:3], s[2:3], 2
	s_add_u32 s16, s14, s2
	s_mul_i32 s1, s8, s1
	s_mul_hi_u32 s2, s8, s0
	s_addc_u32 s17, s15, s3
	s_add_i32 s1, s2, s1
	s_mul_i32 s0, s8, s0
	s_lshl_b64 s[0:1], s[0:1], 2
	s_add_u32 s14, s18, s0
	s_addc_u32 s15, s19, s1
	s_and_saveexec_b64 s[0:1], vcc
	s_xor_b64 s[10:11], exec, s[0:1]
	s_cbranch_execz .LBB47_34
; %bb.2:
	s_load_dwordx4 s[0:3], s[4:5], 0x8
	s_mul_i32 s9, s8, s13
	s_mul_hi_u32 s13, s8, s12
	s_add_i32 s9, s13, s9
	s_mul_i32 s8, s8, s12
	s_load_dwordx4 s[4:7], s[4:5], 0x48
	s_waitcnt lgkmcnt(0)
	s_ashr_i32 s19, s2, 31
	s_lshl_b64 s[8:9], s[8:9], 2
	s_mov_b32 s18, s2
	s_add_u32 s2, s0, s8
	s_addc_u32 s7, s1, s9
	s_lshl_b64 s[0:1], s[18:19], 2
	s_add_u32 s2, s2, s0
	s_addc_u32 s12, s7, s1
	s_bitcmp1_b32 s6, 0
	s_cselect_b64 s[0:1], -1, 0
	s_xor_b64 s[0:1], s[0:1], -1
	s_mov_b64 s[6:7], -1
	s_cmpk_lg_i32 s4, 0xab
	v_mov_b32_e32 v3, 0
	s_cbranch_scc0 .LBB47_18
; %bb.3:
	v_cmp_le_u32_e32 vcc, v0, v2
	s_and_saveexec_b64 s[6:7], vcc
	s_xor_b64 s[6:7], exec, s[6:7]
	s_cbranch_execz .LBB47_5
; %bb.4:
	v_mad_u64_u32 v[4:5], s[8:9], v2, s22, 0
	s_ashr_i32 s4, s22, 31
	v_mov_b32_e32 v6, v5
	v_mad_u64_u32 v[6:7], s[8:9], v2, s4, v[6:7]
	v_mov_b32_e32 v5, v6
	v_lshlrev_b64 v[4:5], 2, v[4:5]
	v_mov_b32_e32 v1, 0
	v_mov_b32_e32 v6, s15
	v_add_co_u32_e32 v7, vcc, s14, v4
	v_addc_co_u32_e32 v6, vcc, v6, v5, vcc
	v_lshlrev_b64 v[4:5], 2, v[0:1]
	v_add_co_u32_e32 v4, vcc, v7, v4
	v_addc_co_u32_e32 v5, vcc, v6, v5, vcc
	global_store_dword v[4:5], v1, off
.LBB47_5:
	s_andn2_saveexec_b64 s[6:7], s[6:7]
	s_cbranch_execz .LBB47_17
; %bb.6:
	v_lshlrev_b64 v[4:5], 2, v[2:3]
	v_mov_b32_e32 v1, s17
	v_add_co_u32_e32 v4, vcc, s16, v4
	v_addc_co_u32_e32 v5, vcc, v1, v5, vcc
	global_load_dword v6, v[4:5], off
	s_cmpk_lg_i32 s5, 0xb5
	s_mov_b64 s[8:9], -1
	s_cbranch_scc0 .LBB47_12
; %bb.7:
	v_mov_b32_e32 v1, 0
	s_andn2_b64 vcc, exec, s[0:1]
	v_lshlrev_b64 v[4:5], 2, v[0:1]
	s_cbranch_vccnz .LBB47_9
; %bb.8:
	s_sub_i32 s4, s20, s21
	v_add_u32_e32 v1, s4, v2
	v_mad_u64_u32 v[8:9], s[8:9], v1, s3, 0
	s_ashr_i32 s4, s3, 31
	v_mov_b32_e32 v10, v9
	v_mad_u64_u32 v[10:11], s[8:9], v1, s4, v[10:11]
	v_mov_b32_e32 v9, v10
	v_lshlrev_b64 v[8:9], 2, v[8:9]
	v_mov_b32_e32 v1, s12
	v_add_co_u32_e32 v7, vcc, s2, v8
	v_addc_co_u32_e32 v1, vcc, v1, v9, vcc
	v_add_co_u32_e32 v8, vcc, v7, v4
	v_addc_co_u32_e32 v9, vcc, v1, v5, vcc
	global_load_dword v1, v[8:9], off
	v_mad_u64_u32 v[8:9], s[8:9], v2, s22, 0
	s_ashr_i32 s4, s22, 31
	v_mov_b32_e32 v10, v9
	v_mad_u64_u32 v[10:11], s[8:9], v2, s4, v[10:11]
	v_mov_b32_e32 v9, v10
	v_lshlrev_b64 v[8:9], 2, v[8:9]
	v_mov_b32_e32 v7, s15
	v_add_co_u32_e32 v8, vcc, s14, v8
	v_addc_co_u32_e32 v7, vcc, v7, v9, vcc
	v_add_co_u32_e32 v8, vcc, v8, v4
	v_addc_co_u32_e32 v9, vcc, v7, v5, vcc
	s_mov_b64 s[8:9], 0
	s_waitcnt vmcnt(0)
	v_mul_f32_e64 v1, v1, -v6
	global_store_dword v[8:9], v1, off
.LBB47_9:
	s_andn2_b64 vcc, exec, s[8:9]
	s_cbranch_vccnz .LBB47_11
; %bb.10:
	v_mad_u64_u32 v[8:9], s[8:9], v2, s22, 0
	s_ashr_i32 s4, s22, 31
	v_mov_b32_e32 v10, v9
	v_mad_u64_u32 v[10:11], s[8:9], v2, s4, v[10:11]
	v_mov_b32_e32 v9, v10
	v_lshlrev_b64 v[8:9], 2, v[8:9]
	v_mov_b32_e32 v1, s15
	v_add_co_u32_e32 v7, vcc, s14, v8
	v_addc_co_u32_e32 v1, vcc, v1, v9, vcc
	s_sub_i32 s4, s20, s21
	v_add_co_u32_e32 v8, vcc, v7, v4
	v_add_u32_e32 v7, s4, v2
	v_mad_u64_u32 v[10:11], s[8:9], v7, s3, 0
	s_ashr_i32 s4, s3, 31
	v_mov_b32_e32 v12, v11
	v_mad_u64_u32 v[12:13], s[8:9], v7, s4, v[12:13]
	v_mov_b32_e32 v11, v12
	v_addc_co_u32_e32 v9, vcc, v1, v5, vcc
	v_lshlrev_b64 v[10:11], 2, v[10:11]
	v_mov_b32_e32 v7, s12
	v_add_co_u32_e32 v10, vcc, s2, v10
	v_addc_co_u32_e32 v7, vcc, v7, v11, vcc
	v_add_co_u32_e32 v4, vcc, v10, v4
	v_addc_co_u32_e32 v5, vcc, v7, v5, vcc
	global_load_dword v1, v[8:9], off
	s_nop 0
	global_load_dword v4, v[4:5], off
	s_waitcnt vmcnt(0)
	v_add_f32_e32 v1, v1, v4
	v_mul_f32_e64 v1, v1, -v6
	global_store_dword v[8:9], v1, off
.LBB47_11:
	s_mov_b64 s[8:9], 0
.LBB47_12:
	s_andn2_b64 vcc, exec, s[8:9]
	s_cbranch_vccnz .LBB47_17
; %bb.13:
	s_andn2_b64 vcc, exec, s[0:1]
	s_mov_b64 s[8:9], -1
	s_cbranch_vccnz .LBB47_15
; %bb.14:
	s_sub_i32 s4, s20, s21
	v_mad_u64_u32 v[8:9], s[8:9], v0, s3, 0
	v_add_u32_e32 v4, s4, v2
	s_ashr_i32 s4, s3, 31
	v_mov_b32_e32 v10, v9
	v_mad_u64_u32 v[10:11], s[8:9], v0, s4, v[10:11]
	v_mov_b32_e32 v9, v10
	v_lshlrev_b64 v[8:9], 2, v[8:9]
	v_mov_b32_e32 v5, 0
	v_mov_b32_e32 v1, s12
	v_add_co_u32_e32 v7, vcc, s2, v8
	v_addc_co_u32_e32 v1, vcc, v1, v9, vcc
	v_lshlrev_b64 v[8:9], 2, v[4:5]
	v_add_co_u32_e32 v8, vcc, v7, v8
	v_addc_co_u32_e32 v9, vcc, v1, v9, vcc
	global_load_dword v7, v[8:9], off
	v_mad_u64_u32 v[8:9], s[8:9], v2, s22, 0
	s_ashr_i32 s4, s22, 31
	v_mov_b32_e32 v4, v9
	v_mov_b32_e32 v1, v5
	v_mad_u64_u32 v[4:5], s[8:9], v2, s4, v[4:5]
	v_mov_b32_e32 v9, v4
	v_lshlrev_b64 v[4:5], 2, v[8:9]
	v_mov_b32_e32 v12, s15
	v_lshlrev_b64 v[10:11], 2, v[0:1]
	v_add_co_u32_e32 v1, vcc, s14, v4
	v_addc_co_u32_e32 v5, vcc, v12, v5, vcc
	v_add_co_u32_e32 v4, vcc, v1, v10
	v_addc_co_u32_e32 v5, vcc, v5, v11, vcc
	s_mov_b64 s[8:9], 0
	s_waitcnt vmcnt(0)
	v_mul_f32_e64 v1, v7, -v6
	global_store_dword v[4:5], v1, off
.LBB47_15:
	s_andn2_b64 vcc, exec, s[8:9]
	s_cbranch_vccnz .LBB47_17
; %bb.16:
	v_mad_u64_u32 v[4:5], s[8:9], v2, s22, 0
	s_ashr_i32 s4, s22, 31
	v_mov_b32_e32 v8, v5
	v_mad_u64_u32 v[8:9], s[8:9], v2, s4, v[8:9]
	v_mov_b32_e32 v5, v8
	v_lshlrev_b64 v[4:5], 2, v[4:5]
	v_mov_b32_e32 v1, 0
	v_mov_b32_e32 v7, s15
	v_add_co_u32_e32 v8, vcc, s14, v4
	v_addc_co_u32_e32 v7, vcc, v7, v5, vcc
	v_lshlrev_b64 v[4:5], 2, v[0:1]
	s_sub_i32 s4, s20, s21
	v_mad_u64_u32 v[10:11], s[8:9], v0, s3, 0
	v_add_co_u32_e32 v4, vcc, v8, v4
	v_add_u32_e32 v8, s4, v2
	s_ashr_i32 s4, s3, 31
	v_mov_b32_e32 v12, v11
	v_mad_u64_u32 v[12:13], s[8:9], v0, s4, v[12:13]
	v_mov_b32_e32 v11, v12
	v_addc_co_u32_e32 v5, vcc, v7, v5, vcc
	v_lshlrev_b64 v[10:11], 2, v[10:11]
	v_mov_b32_e32 v9, v1
	v_mov_b32_e32 v1, s12
	v_add_co_u32_e32 v10, vcc, s2, v10
	v_addc_co_u32_e32 v1, vcc, v1, v11, vcc
	v_lshlrev_b64 v[8:9], 2, v[8:9]
	v_add_co_u32_e32 v8, vcc, v10, v8
	v_addc_co_u32_e32 v9, vcc, v1, v9, vcc
	global_load_dword v7, v[4:5], off
	global_load_dword v1, v[8:9], off
	s_waitcnt vmcnt(0)
	v_add_f32_e32 v1, v7, v1
	v_mul_f32_e64 v1, v1, -v6
	global_store_dword v[4:5], v1, off
.LBB47_17:
	s_or_b64 exec, exec, s[6:7]
	s_mov_b64 s[6:7], 0
.LBB47_18:
	s_andn2_b64 vcc, exec, s[6:7]
	s_cbranch_vccnz .LBB47_34
; %bb.19:
	v_cmp_ge_u32_e32 vcc, v0, v2
	s_and_saveexec_b64 s[6:7], vcc
	s_xor_b64 s[6:7], exec, s[6:7]
	s_cbranch_execz .LBB47_21
; %bb.20:
	v_mad_u64_u32 v[4:5], s[8:9], v2, s22, 0
	s_ashr_i32 s4, s22, 31
	s_waitcnt vmcnt(0)
	v_mov_b32_e32 v6, v5
	v_mad_u64_u32 v[2:3], s[8:9], v2, s4, v[6:7]
	v_mov_b32_e32 v5, v2
	v_lshlrev_b64 v[2:3], 2, v[4:5]
	v_mov_b32_e32 v1, 0
	v_mov_b32_e32 v4, s15
	v_add_co_u32_e32 v5, vcc, s14, v2
	v_addc_co_u32_e32 v4, vcc, v4, v3, vcc
	v_lshlrev_b64 v[2:3], 2, v[0:1]
	v_add_co_u32_e32 v2, vcc, v5, v2
	v_addc_co_u32_e32 v3, vcc, v4, v3, vcc
	global_store_dword v[2:3], v1, off
                                        ; implicit-def: $vgpr2_vgpr3
                                        ; implicit-def: $vgpr0
.LBB47_21:
	s_andn2_saveexec_b64 s[6:7], s[6:7]
	s_cbranch_execz .LBB47_33
; %bb.22:
	v_lshlrev_b64 v[4:5], 2, v[2:3]
	v_mov_b32_e32 v1, s17
	s_waitcnt vmcnt(0)
	v_add_co_u32_e32 v6, vcc, s16, v4
	v_addc_co_u32_e32 v7, vcc, v1, v5, vcc
	global_load_dword v3, v[6:7], off
	v_cndmask_b32_e64 v6, 0, 1, s[0:1]
	s_cmpk_lg_i32 s5, 0xb5
	v_mov_b32_e32 v1, 0
	s_mov_b64 s[4:5], -1
	v_cmp_ne_u32_e64 s[0:1], 1, v6
	s_cbranch_scc0 .LBB47_28
; %bb.23:
	s_and_b64 vcc, exec, s[0:1]
	s_cbranch_vccnz .LBB47_25
; %bb.24:
	v_mad_u64_u32 v[6:7], s[4:5], v2, s3, 0
	s_ashr_i32 s8, s3, 31
	v_mov_b32_e32 v8, v7
	v_mad_u64_u32 v[8:9], s[4:5], v2, s8, v[8:9]
	v_mov_b32_e32 v7, v8
	v_lshlrev_b64 v[6:7], 2, v[6:7]
	v_mov_b32_e32 v8, s12
	v_add_co_u32_e32 v9, vcc, s2, v6
	v_addc_co_u32_e32 v10, vcc, v8, v7, vcc
	v_lshlrev_b64 v[6:7], 2, v[0:1]
	v_add_co_u32_e32 v8, vcc, v9, v6
	v_addc_co_u32_e32 v9, vcc, v10, v7, vcc
	global_load_dword v12, v[8:9], off
	v_mad_u64_u32 v[8:9], s[4:5], v2, s22, 0
	s_ashr_i32 s8, s22, 31
	v_mov_b32_e32 v10, v9
	v_mad_u64_u32 v[10:11], s[4:5], v2, s8, v[10:11]
	v_mov_b32_e32 v9, v10
	v_lshlrev_b64 v[8:9], 2, v[8:9]
	v_mov_b32_e32 v13, s15
	v_add_co_u32_e32 v8, vcc, s14, v8
	v_addc_co_u32_e32 v9, vcc, v13, v9, vcc
	v_add_co_u32_e32 v6, vcc, v8, v6
	v_addc_co_u32_e32 v7, vcc, v9, v7, vcc
	s_mov_b64 s[4:5], 0
	s_waitcnt vmcnt(0)
	v_mul_f32_e64 v8, v12, -v3
	global_store_dword v[6:7], v8, off
.LBB47_25:
	s_andn2_b64 vcc, exec, s[4:5]
	s_cbranch_vccnz .LBB47_27
; %bb.26:
	v_mad_u64_u32 v[6:7], s[4:5], v2, s22, 0
	s_ashr_i32 s8, s22, 31
	v_mov_b32_e32 v8, v7
	v_mad_u64_u32 v[8:9], s[4:5], v2, s8, v[8:9]
	v_mov_b32_e32 v7, v8
	v_lshlrev_b64 v[6:7], 2, v[6:7]
	v_mov_b32_e32 v8, s15
	v_add_co_u32_e32 v9, vcc, s14, v6
	v_addc_co_u32_e32 v10, vcc, v8, v7, vcc
	v_lshlrev_b64 v[6:7], 2, v[0:1]
	v_add_co_u32_e32 v8, vcc, v9, v6
	v_addc_co_u32_e32 v9, vcc, v10, v7, vcc
	v_mad_u64_u32 v[10:11], s[4:5], v2, s3, 0
	s_ashr_i32 s8, s3, 31
	v_mov_b32_e32 v12, v11
	v_mad_u64_u32 v[12:13], s[4:5], v2, s8, v[12:13]
	v_mov_b32_e32 v11, v12
	v_lshlrev_b64 v[10:11], 2, v[10:11]
	v_mov_b32_e32 v12, s12
	v_add_co_u32_e32 v10, vcc, s2, v10
	v_addc_co_u32_e32 v11, vcc, v12, v11, vcc
	v_add_co_u32_e32 v6, vcc, v10, v6
	v_addc_co_u32_e32 v7, vcc, v11, v7, vcc
	global_load_dword v14, v[8:9], off
	s_nop 0
	global_load_dword v6, v[6:7], off
	s_waitcnt vmcnt(0)
	v_add_f32_e32 v6, v14, v6
	v_mul_f32_e64 v6, v6, -v3
	global_store_dword v[8:9], v6, off
.LBB47_27:
	s_mov_b64 s[4:5], 0
.LBB47_28:
	s_andn2_b64 vcc, exec, s[4:5]
	s_cbranch_vccnz .LBB47_33
; %bb.29:
	s_mov_b64 s[4:5], -1
	s_and_b64 vcc, exec, s[0:1]
	v_lshlrev_b64 v[6:7], 2, v[0:1]
	s_cbranch_vccnz .LBB47_31
; %bb.30:
	v_mad_u64_u32 v[8:9], s[0:1], v0, s3, 0
	s_ashr_i32 s4, s3, 31
	v_mov_b32_e32 v10, v9
	v_mad_u64_u32 v[10:11], s[0:1], v0, s4, v[10:11]
	v_mov_b32_e32 v9, v10
	v_lshlrev_b64 v[8:9], 2, v[8:9]
	v_mov_b32_e32 v1, s12
	v_add_co_u32_e32 v8, vcc, s2, v8
	v_addc_co_u32_e32 v1, vcc, v1, v9, vcc
	v_add_co_u32_e32 v8, vcc, v8, v4
	v_addc_co_u32_e32 v9, vcc, v1, v5, vcc
	global_load_dword v1, v[8:9], off
	v_mad_u64_u32 v[8:9], s[0:1], v2, s22, 0
	s_ashr_i32 s4, s22, 31
	v_mov_b32_e32 v10, v9
	v_mad_u64_u32 v[10:11], s[0:1], v2, s4, v[10:11]
	v_mov_b32_e32 v9, v10
	v_lshlrev_b64 v[8:9], 2, v[8:9]
	v_mov_b32_e32 v12, s15
	v_add_co_u32_e32 v8, vcc, s14, v8
	v_addc_co_u32_e32 v9, vcc, v12, v9, vcc
	v_add_co_u32_e32 v8, vcc, v8, v6
	v_addc_co_u32_e32 v9, vcc, v9, v7, vcc
	s_mov_b64 s[4:5], 0
	s_waitcnt vmcnt(0)
	v_mul_f32_e64 v1, v1, -v3
	global_store_dword v[8:9], v1, off
.LBB47_31:
	s_andn2_b64 vcc, exec, s[4:5]
	s_cbranch_vccnz .LBB47_33
; %bb.32:
	v_mad_u64_u32 v[8:9], s[0:1], v2, s22, 0
	s_ashr_i32 s4, s22, 31
	v_mov_b32_e32 v10, v9
	v_mad_u64_u32 v[10:11], s[0:1], v2, s4, v[10:11]
	v_mov_b32_e32 v9, v10
	v_lshlrev_b64 v[8:9], 2, v[8:9]
	v_mov_b32_e32 v1, s15
	v_add_co_u32_e32 v2, vcc, s14, v8
	v_addc_co_u32_e32 v1, vcc, v1, v9, vcc
	v_mad_u64_u32 v[8:9], s[0:1], v0, s3, 0
	v_add_co_u32_e32 v6, vcc, v2, v6
	s_ashr_i32 s4, s3, 31
	v_mov_b32_e32 v2, v9
	v_addc_co_u32_e32 v7, vcc, v1, v7, vcc
	s_waitcnt vmcnt(0)
	v_mad_u64_u32 v[0:1], s[0:1], v0, s4, v[2:3]
	v_mov_b32_e32 v9, v0
	v_lshlrev_b64 v[0:1], 2, v[8:9]
	v_mov_b32_e32 v2, s12
	v_add_co_u32_e32 v0, vcc, s2, v0
	v_addc_co_u32_e32 v1, vcc, v2, v1, vcc
	v_add_co_u32_e32 v0, vcc, v0, v4
	v_addc_co_u32_e32 v1, vcc, v1, v5, vcc
	global_load_dword v10, v[6:7], off
	s_nop 0
	global_load_dword v0, v[0:1], off
	s_waitcnt vmcnt(0)
	v_add_f32_e32 v0, v10, v0
	v_mul_f32_e64 v0, v0, -v3
	global_store_dword v[6:7], v0, off
.LBB47_33:
	s_or_b64 exec, exec, s[6:7]
                                        ; implicit-def: $vgpr2
.LBB47_34:
	s_andn2_saveexec_b64 s[0:1], s[10:11]
	s_cbranch_execz .LBB47_36
; %bb.35:
	s_waitcnt vmcnt(0)
	v_mov_b32_e32 v3, 0
	v_lshlrev_b64 v[0:1], 2, v[2:3]
	v_mov_b32_e32 v3, s17
	v_add_co_u32_e32 v4, vcc, s16, v0
	v_addc_co_u32_e32 v5, vcc, v3, v1, vcc
	global_load_dword v7, v[4:5], off
	v_mad_u64_u32 v[4:5], s[0:1], v2, s22, 0
	s_ashr_i32 s2, s22, 31
	v_mov_b32_e32 v6, v5
	s_waitcnt vmcnt(0)
	v_mad_u64_u32 v[2:3], s[0:1], v2, s2, v[6:7]
	v_mov_b32_e32 v5, v2
	v_lshlrev_b64 v[2:3], 2, v[4:5]
	v_mov_b32_e32 v4, s15
	v_add_co_u32_e32 v2, vcc, s14, v2
	v_addc_co_u32_e32 v3, vcc, v4, v3, vcc
	v_add_co_u32_e32 v0, vcc, v2, v0
	v_addc_co_u32_e32 v1, vcc, v3, v1, vcc
	global_store_dword v[0:1], v7, off
.LBB47_36:
	s_endpgm
	.section	.rodata,"a",@progbits
	.p2align	6, 0x0
	.amdhsa_kernel _ZN9rocsolver6v33100L14set_triangularIfPfTnNSt9enable_ifIXnt18rocblas_is_complexIT_EEiE4typeELi0EEEviiT0_iilPS4_lS8_il15rocblas_direct_15rocblas_storev_b
		.amdhsa_group_segment_fixed_size 0
		.amdhsa_private_segment_fixed_size 0
		.amdhsa_kernarg_size 344
		.amdhsa_user_sgpr_count 6
		.amdhsa_user_sgpr_private_segment_buffer 1
		.amdhsa_user_sgpr_dispatch_ptr 0
		.amdhsa_user_sgpr_queue_ptr 0
		.amdhsa_user_sgpr_kernarg_segment_ptr 1
		.amdhsa_user_sgpr_dispatch_id 0
		.amdhsa_user_sgpr_flat_scratch_init 0
		.amdhsa_user_sgpr_kernarg_preload_length 0
		.amdhsa_user_sgpr_kernarg_preload_offset 0
		.amdhsa_user_sgpr_private_segment_size 0
		.amdhsa_uses_dynamic_stack 0
		.amdhsa_system_sgpr_private_segment_wavefront_offset 0
		.amdhsa_system_sgpr_workgroup_id_x 1
		.amdhsa_system_sgpr_workgroup_id_y 1
		.amdhsa_system_sgpr_workgroup_id_z 1
		.amdhsa_system_sgpr_workgroup_info 0
		.amdhsa_system_vgpr_workitem_id 1
		.amdhsa_next_free_vgpr 15
		.amdhsa_next_free_sgpr 23
		.amdhsa_accum_offset 16
		.amdhsa_reserve_vcc 1
		.amdhsa_reserve_flat_scratch 0
		.amdhsa_float_round_mode_32 0
		.amdhsa_float_round_mode_16_64 0
		.amdhsa_float_denorm_mode_32 3
		.amdhsa_float_denorm_mode_16_64 3
		.amdhsa_dx10_clamp 1
		.amdhsa_ieee_mode 1
		.amdhsa_fp16_overflow 0
		.amdhsa_tg_split 0
		.amdhsa_exception_fp_ieee_invalid_op 0
		.amdhsa_exception_fp_denorm_src 0
		.amdhsa_exception_fp_ieee_div_zero 0
		.amdhsa_exception_fp_ieee_overflow 0
		.amdhsa_exception_fp_ieee_underflow 0
		.amdhsa_exception_fp_ieee_inexact 0
		.amdhsa_exception_int_div_zero 0
	.end_amdhsa_kernel
	.section	.text._ZN9rocsolver6v33100L14set_triangularIfPfTnNSt9enable_ifIXnt18rocblas_is_complexIT_EEiE4typeELi0EEEviiT0_iilPS4_lS8_il15rocblas_direct_15rocblas_storev_b,"axG",@progbits,_ZN9rocsolver6v33100L14set_triangularIfPfTnNSt9enable_ifIXnt18rocblas_is_complexIT_EEiE4typeELi0EEEviiT0_iilPS4_lS8_il15rocblas_direct_15rocblas_storev_b,comdat
.Lfunc_end47:
	.size	_ZN9rocsolver6v33100L14set_triangularIfPfTnNSt9enable_ifIXnt18rocblas_is_complexIT_EEiE4typeELi0EEEviiT0_iilPS4_lS8_il15rocblas_direct_15rocblas_storev_b, .Lfunc_end47-_ZN9rocsolver6v33100L14set_triangularIfPfTnNSt9enable_ifIXnt18rocblas_is_complexIT_EEiE4typeELi0EEEviiT0_iilPS4_lS8_il15rocblas_direct_15rocblas_storev_b
                                        ; -- End function
	.section	.AMDGPU.csdata,"",@progbits
; Kernel info:
; codeLenInByte = 2132
; NumSgprs: 27
; NumVgprs: 15
; NumAgprs: 0
; TotalNumVgprs: 15
; ScratchSize: 0
; MemoryBound: 0
; FloatMode: 240
; IeeeMode: 1
; LDSByteSize: 0 bytes/workgroup (compile time only)
; SGPRBlocks: 3
; VGPRBlocks: 1
; NumSGPRsForWavesPerEU: 27
; NumVGPRsForWavesPerEU: 15
; AccumOffset: 16
; Occupancy: 8
; WaveLimiterHint : 0
; COMPUTE_PGM_RSRC2:SCRATCH_EN: 0
; COMPUTE_PGM_RSRC2:USER_SGPR: 6
; COMPUTE_PGM_RSRC2:TRAP_HANDLER: 0
; COMPUTE_PGM_RSRC2:TGID_X_EN: 1
; COMPUTE_PGM_RSRC2:TGID_Y_EN: 1
; COMPUTE_PGM_RSRC2:TGID_Z_EN: 1
; COMPUTE_PGM_RSRC2:TIDIG_COMP_CNT: 1
; COMPUTE_PGM_RSRC3_GFX90A:ACCUM_OFFSET: 3
; COMPUTE_PGM_RSRC3_GFX90A:TG_SPLIT: 0
	.section	.text._ZN9rocsolver6v33100L20larft_kernel_forwardIfPfEEv15rocblas_storev_iiT0_iilPT_lS6_il,"axG",@progbits,_ZN9rocsolver6v33100L20larft_kernel_forwardIfPfEEv15rocblas_storev_iiT0_iilPT_lS6_il,comdat
	.globl	_ZN9rocsolver6v33100L20larft_kernel_forwardIfPfEEv15rocblas_storev_iiT0_iilPT_lS6_il ; -- Begin function _ZN9rocsolver6v33100L20larft_kernel_forwardIfPfEEv15rocblas_storev_iiT0_iilPT_lS6_il
	.p2align	8
	.type	_ZN9rocsolver6v33100L20larft_kernel_forwardIfPfEEv15rocblas_storev_iiT0_iilPT_lS6_il,@function
_ZN9rocsolver6v33100L20larft_kernel_forwardIfPfEEv15rocblas_storev_iiT0_iilPT_lS6_il: ; @_ZN9rocsolver6v33100L20larft_kernel_forwardIfPfEEv15rocblas_storev_iiT0_iilPT_lS6_il
; %bb.0:
	s_load_dword s2, s[4:5], 0x5c
	s_load_dword s30, s[4:5], 0x40
	s_load_dwordx2 s[0:1], s[4:5], 0x48
	s_load_dwordx4 s[16:19], s[4:5], 0x0
	s_load_dwordx8 s[8:15], s[4:5], 0x20
	s_waitcnt lgkmcnt(0)
	s_and_b32 s19, s2, 0xffff
	s_ashr_i32 s6, s7, 31
	s_mul_i32 s1, s7, s1
	s_mul_hi_u32 s2, s7, s0
	s_add_i32 s1, s2, s1
	s_mul_i32 s2, s6, s0
	s_add_i32 s1, s1, s2
	s_mul_i32 s0, s7, s0
	s_lshl_b64 s[0:1], s[0:1], 2
	s_add_u32 s31, s14, s0
	s_addc_u32 s33, s15, s1
	s_lshl_b32 s34, s18, 2
	s_mov_b32 s36, 0
	s_add_i32 s35, s34, 0
	v_cmp_gt_i32_e64 s[0:1], s18, v0
	v_xad_u32 v1, v0, -1, s18
	v_lshlrev_b32_e32 v10, 1, v0
	v_sub_u32_e32 v11, s18, v0
	s_and_saveexec_b64 s[14:15], s[0:1]
	s_cbranch_execz .LBB48_12
; %bb.1:
	s_lshl_b32 s37, s19, 1
	s_cmp_lg_u32 s30, 1
	v_lshlrev_b32_e32 v3, 1, v0
	s_cselect_b64 s[2:3], -1, 0
	s_mov_b32 s38, s18
	v_sub_u32_e32 v12, s18, v0
	v_lshl_add_u32 v2, v0, 2, s35
	s_lshl_b32 s39, s19, 2
	s_mov_b64 s[20:21], 0
	s_xor_b64 s[22:23], s[2:3], -1
	v_mov_b32_e32 v13, v3
	v_mov_b32_e32 v4, v0
	s_branch .LBB48_3
.LBB48_2:                               ;   in Loop: Header=BB48_3 Depth=1
	s_or_b64 exec, exec, s[2:3]
	v_add_u32_e32 v4, s19, v4
	s_add_i32 s36, s36, 1
	v_cmp_le_i32_e32 vcc, s18, v4
	v_add_u32_e32 v13, s37, v13
	v_subrev_u32_e32 v12, s19, v12
	s_or_b64 s[20:21], vcc, s[20:21]
	v_add_u32_e32 v2, s39, v2
	s_andn2_b64 exec, exec, s[20:21]
	s_cbranch_execz .LBB48_12
.LBB48_3:                               ; =>This Loop Header: Depth=1
                                        ;     Child Loop BB48_6 Depth 2
                                        ;     Child Loop BB48_11 Depth 2
	s_mul_i32 s26, s36, s19
	v_add_u32_e32 v5, s26, v0
	v_sub_u32_e32 v14, s18, v5
	v_cmp_gt_u32_e32 vcc, 4, v14
	v_cmp_lt_u32_e64 s[2:3], 3, v14
	v_mov_b32_e32 v5, v4
	s_and_saveexec_b64 s[24:25], s[2:3]
	s_cbranch_execz .LBB48_9
; %bb.4:                                ;   in Loop: Header=BB48_3 Depth=1
	s_mul_i32 s2, s37, s36
	v_add_u32_e32 v5, s2, v3
	v_subrev_u32_e32 v6, s26, v1
	v_add_u32_e32 v6, v5, v6
	v_cmp_ge_i32_e64 s[2:3], v6, v5
	s_mov_b64 s[28:29], -1
	s_and_b64 s[2:3], s[22:23], s[2:3]
	v_mov_b32_e32 v5, v4
	s_and_saveexec_b64 s[26:27], s[2:3]
	s_cbranch_execz .LBB48_8
; %bb.5:                                ;   in Loop: Header=BB48_3 Depth=1
	v_add_u32_e32 v5, 1, v4
	v_and_b32_e32 v15, -2, v12
	v_lshl_add_u32 v16, v4, 2, s35
	s_mov_b64 s[28:29], 0
	v_mov_b32_e32 v6, v13
	v_pk_mov_b32 v[8:9], v[4:5], v[4:5] op_sel:[0,1]
.LBB48_6:                               ;   Parent Loop BB48_3 Depth=1
                                        ; =>  This Inner Loop Header: Depth=2
	v_ashrrev_i32_e32 v7, 31, v6
	v_lshlrev_b64 v[18:19], 2, v[6:7]
	v_mov_b32_e32 v5, s33
	v_add_co_u32_e64 v18, s[2:3], s31, v18
	v_addc_co_u32_e64 v19, s[2:3], v5, v19, s[2:3]
	global_load_dwordx2 v[18:19], v[18:19], off
	v_add_u32_e32 v15, -2, v15
	v_mul_lo_u32 v7, v8, s18
	v_cmp_eq_u32_e64 s[2:3], 0, v15
	v_mul_lo_u32 v5, v9, s38
	v_add_u32_e32 v9, 2, v9
	v_add_u32_e32 v8, 2, v8
	v_lshl_add_u32 v7, v7, 2, v16
	v_add_u32_e32 v6, 2, v6
	s_or_b64 s[28:29], s[2:3], s[28:29]
	v_lshl_add_u32 v5, v5, 2, v16
	s_waitcnt vmcnt(0)
	ds_write_b32 v7, v18
	ds_write_b32 v5, v19
	s_andn2_b64 exec, exec, s[28:29]
	s_cbranch_execnz .LBB48_6
; %bb.7:                                ;   in Loop: Header=BB48_3 Depth=1
	s_or_b64 exec, exec, s[28:29]
	v_and_b32_e32 v6, -2, v14
	v_cmp_ne_u32_e64 s[2:3], v14, v6
	v_add_u32_e32 v5, v4, v6
	s_orn2_b64 s[28:29], s[2:3], exec
.LBB48_8:                               ;   in Loop: Header=BB48_3 Depth=1
	s_or_b64 exec, exec, s[26:27]
	s_andn2_b64 s[2:3], vcc, exec
	s_and_b64 s[26:27], s[28:29], exec
	s_or_b64 vcc, s[2:3], s[26:27]
.LBB48_9:                               ;   in Loop: Header=BB48_3 Depth=1
	s_or_b64 exec, exec, s[24:25]
	s_and_saveexec_b64 s[2:3], vcc
	s_cbranch_execz .LBB48_2
; %bb.10:                               ;   in Loop: Header=BB48_3 Depth=1
	v_mad_u64_u32 v[6:7], s[24:25], s34, v5, v[2:3]
	v_mad_u64_u32 v[8:9], s[24:25], s30, v5, v[4:5]
	s_mov_b64 s[24:25], 0
.LBB48_11:                              ;   Parent Loop BB48_3 Depth=1
                                        ; =>  This Inner Loop Header: Depth=2
	v_ashrrev_i32_e32 v9, 31, v8
	v_lshlrev_b64 v[14:15], 2, v[8:9]
	v_mov_b32_e32 v7, s33
	v_add_co_u32_e32 v14, vcc, s31, v14
	v_addc_co_u32_e32 v15, vcc, v7, v15, vcc
	global_load_dword v7, v[14:15], off
	v_add_u32_e32 v5, 1, v5
	v_cmp_le_i32_e32 vcc, s18, v5
	v_add_u32_e32 v8, s30, v8
	s_or_b64 s[24:25], vcc, s[24:25]
	s_waitcnt vmcnt(0)
	ds_write_b32 v6, v7
	v_add_u32_e32 v6, s34, v6
	s_andn2_b64 exec, exec, s[24:25]
	s_cbranch_execnz .LBB48_11
	s_branch .LBB48_2
.LBB48_12:
	s_or_b64 exec, exec, s[14:15]
	s_cmp_lt_i32 s18, 2
	s_waitcnt lgkmcnt(0)
	s_barrier
	s_cbranch_scc1 .LBB48_38
; %bb.13:
	s_load_dwordx4 s[20:23], s[4:5], 0x10
	s_mul_i32 s2, s7, s13
	s_mul_hi_u32 s3, s7, s12
	s_add_i32 s4, s3, s2
	s_mul_i32 s5, s6, s12
	s_add_i32 s5, s4, s5
	s_mul_i32 s4, s7, s12
	s_waitcnt lgkmcnt(0)
	s_ashr_i32 s3, s22, 31
	s_lshl_b64 s[4:5], s[4:5], 2
	s_mov_b32 s2, s22
	s_add_u32 s22, s10, s4
	s_addc_u32 s28, s11, s5
	s_cmpk_lg_i32 s16, 0xb5
	s_mul_i32 s6, s8, s6
	s_mul_hi_u32 s10, s8, s7
	s_cselect_b64 s[4:5], -1, 0
	s_add_i32 s6, s10, s6
	s_mul_i32 s9, s9, s7
	s_add_i32 s9, s6, s9
	s_mul_i32 s8, s8, s7
	s_lshl_b64 s[12:13], s[8:9], 2
	s_add_u32 s16, s12, 4
	s_addc_u32 s29, s13, 0
	s_lshl_b64 s[2:3], s[2:3], 2
	s_add_u32 s36, s20, s2
	s_addc_u32 s37, s21, s3
	s_ashr_i32 s11, s23, 31
	s_mov_b32 s10, s23
	s_lshl_b32 s8, s23, 1
	s_lshl_b64 s[10:11], s[10:11], 2
	s_lshl_b32 s38, s19, 2
	s_add_u32 s2, s12, s2
	s_addc_u32 s3, s13, s3
	s_add_u32 s2, s2, s20
	v_lshlrev_b32_e32 v4, 2, v0
	s_addc_u32 s3, s3, s21
	s_add_u32 s40, s2, 8
	v_add_u32_e32 v5, 4, v4
	s_mov_b32 s7, 0
	v_mov_b32_e32 v3, s13
	v_add_co_u32_e32 v2, vcc, s12, v4
	s_addc_u32 s41, s3, 0
	v_mul_lo_u32 v5, s18, v5
	s_add_i32 s43, s34, 4
	s_mov_b32 s6, 1
	v_addc_co_u32_e32 v3, vcc, 0, v3, vcc
	s_mov_b32 s39, s7
	v_mul_lo_u32 v8, v0, s23
	s_mul_i32 s42, s23, s19
	v_add3_u32 v9, v5, v4, 0
	s_mul_i32 s43, s43, s19
	v_add_u32_e32 v12, 0, v4
	s_mov_b32 s12, s23
	s_branch .LBB48_15
.LBB48_14:                              ;   in Loop: Header=BB48_15 Depth=1
	s_or_b64 exec, exec, s[2:3]
	s_add_i32 s6, s6, 1
	s_add_u32 s16, s16, 4
	s_addc_u32 s29, s29, 0
	s_add_i32 s8, s8, s23
	s_add_u32 s40, s40, 4
	s_addc_u32 s41, s41, 0
	s_add_i32 s12, s12, s23
	s_cmp_eq_u32 s6, s18
	s_waitcnt lgkmcnt(0)
	s_barrier
	s_cbranch_scc1 .LBB48_38
.LBB48_15:                              ; =>This Loop Header: Depth=1
                                        ;     Child Loop BB48_20 Depth 2
                                        ;       Child Loop BB48_22 Depth 3
                                        ;     Child Loop BB48_29 Depth 2
                                        ;       Child Loop BB48_31 Depth 3
	;; [unrolled: 2-line block ×3, first 2 shown]
	s_mul_i32 s2, s6, s18
	s_not_b32 s45, s6
	s_lshl_b32 s2, s2, 2
	s_add_i32 s45, s45, s17
	s_add_i32 s44, s35, s2
	s_mov_b64 s[14:15], -1
	s_and_b64 vcc, exec, s[4:5]
	v_cmp_gt_u32_e64 s[2:3], s6, v0
	s_cbranch_vccz .LBB48_24
; %bb.16:                               ;   in Loop: Header=BB48_15 Depth=1
	s_and_saveexec_b64 s[14:15], s[2:3]
	s_cbranch_execz .LBB48_23
; %bb.17:                               ;   in Loop: Header=BB48_15 Depth=1
	s_ashr_i32 s9, s8, 31
	s_lshl_b64 s[2:3], s[8:9], 2
	s_add_u32 s2, s36, s2
	s_addc_u32 s3, s37, s3
	s_cmp_gt_i32 s45, 0
	s_cselect_b64 s[20:21], -1, 0
	s_lshl_b64 s[24:25], s[6:7], 2
	s_add_u32 s24, s22, s24
	s_addc_u32 s25, s28, s25
	s_load_dword s9, s[24:25], 0x0
	s_mov_b64 s[24:25], 0
	v_pk_mov_b32 v[4:5], v[2:3], v[2:3] op_sel:[0,1]
	v_mov_b32_e32 v6, v0
	s_branch .LBB48_20
.LBB48_18:                              ;   in Loop: Header=BB48_20 Depth=2
	v_mov_b32_e32 v7, 0
.LBB48_19:                              ;   in Loop: Header=BB48_20 Depth=2
	v_lshlrev_b32_e32 v13, 2, v6
	v_add_u32_e32 v14, s44, v13
	ds_read_b32 v14, v14
	v_add_u32_e32 v6, s19, v6
	v_cmp_le_u32_e32 vcc, s6, v6
	v_mov_b32_e32 v15, s39
	s_or_b64 s[24:25], vcc, s[24:25]
	v_add_co_u32_e32 v4, vcc, s38, v4
	v_add_u32_e32 v13, 0, v13
	s_waitcnt lgkmcnt(0)
	v_fmac_f32_e32 v14, s9, v7
	v_addc_co_u32_e32 v5, vcc, v5, v15, vcc
	ds_write_b32 v13, v14
	s_andn2_b64 exec, exec, s[24:25]
	s_cbranch_execz .LBB48_23
.LBB48_20:                              ;   Parent Loop BB48_15 Depth=1
                                        ; =>  This Loop Header: Depth=2
                                        ;       Child Loop BB48_22 Depth 3
	s_andn2_b64 vcc, exec, s[20:21]
	s_cbranch_vccnz .LBB48_18
; %bb.21:                               ;   in Loop: Header=BB48_20 Depth=2
	s_mov_b32 s13, 0
	v_mov_b32_e32 v7, 0
	s_mov_b64 s[26:27], s[2:3]
.LBB48_22:                              ;   Parent Loop BB48_15 Depth=1
                                        ;     Parent Loop BB48_20 Depth=2
                                        ; =>    This Inner Loop Header: Depth=3
	v_mov_b32_e32 v13, s27
	v_add_co_u32_e32 v14, vcc, s26, v4
	v_addc_co_u32_e32 v15, vcc, v13, v5, vcc
	global_load_dword v13, v[14:15], off
	s_add_u32 s46, s26, s16
	s_addc_u32 s47, s27, s29
	s_load_dword s46, s[46:47], 0x0
	s_add_i32 s13, s13, 1
	s_add_u32 s26, s26, s10
	s_addc_u32 s27, s27, s11
	s_cmp_ge_i32 s13, s45
	s_waitcnt vmcnt(0) lgkmcnt(0)
	v_fmac_f32_e32 v7, s46, v13
	s_cbranch_scc0 .LBB48_22
	s_branch .LBB48_19
.LBB48_23:                              ;   in Loop: Header=BB48_15 Depth=1
	s_or_b64 exec, exec, s[14:15]
	s_mov_b64 s[14:15], 0
.LBB48_24:                              ;   in Loop: Header=BB48_15 Depth=1
	s_andn2_b64 vcc, exec, s[14:15]
	s_cbranch_vccnz .LBB48_33
; %bb.25:                               ;   in Loop: Header=BB48_15 Depth=1
	v_cmp_gt_u32_e32 vcc, s6, v0
	s_and_saveexec_b64 s[2:3], vcc
	s_cbranch_execz .LBB48_32
; %bb.26:                               ;   in Loop: Header=BB48_15 Depth=1
	s_ashr_i32 s13, s12, 31
	s_lshl_b64 s[14:15], s[12:13], 2
	s_add_u32 s14, s40, s14
	s_addc_u32 s15, s41, s15
	s_cmp_gt_i32 s45, 0
	s_cselect_b64 s[20:21], -1, 0
	s_lshl_b64 s[24:25], s[6:7], 2
	s_add_u32 s24, s22, s24
	s_addc_u32 s25, s28, s25
	s_load_dword s9, s[24:25], 0x0
	s_mov_b64 s[24:25], 0
	v_mov_b32_e32 v4, v8
	v_mov_b32_e32 v13, v0
	s_branch .LBB48_29
.LBB48_27:                              ;   in Loop: Header=BB48_29 Depth=2
	v_mov_b32_e32 v5, 0
.LBB48_28:                              ;   in Loop: Header=BB48_29 Depth=2
	v_lshlrev_b32_e32 v6, 2, v13
	v_add_u32_e32 v7, s44, v6
	ds_read_b32 v7, v7
	v_add_u32_e32 v13, s19, v13
	v_cmp_le_u32_e32 vcc, s6, v13
	v_add_u32_e32 v6, 0, v6
	s_or_b64 s[24:25], vcc, s[24:25]
	s_waitcnt lgkmcnt(0)
	v_fmac_f32_e32 v7, s9, v5
	v_add_u32_e32 v4, s42, v4
	ds_write_b32 v6, v7
	s_andn2_b64 exec, exec, s[24:25]
	s_cbranch_execz .LBB48_32
.LBB48_29:                              ;   Parent Loop BB48_15 Depth=1
                                        ; =>  This Loop Header: Depth=2
                                        ;       Child Loop BB48_31 Depth 3
	s_andn2_b64 vcc, exec, s[20:21]
	s_cbranch_vccnz .LBB48_27
; %bb.30:                               ;   in Loop: Header=BB48_29 Depth=2
	v_ashrrev_i32_e32 v5, 31, v4
	v_lshlrev_b64 v[6:7], 2, v[4:5]
	v_mov_b32_e32 v5, s41
	v_add_co_u32_e32 v6, vcc, s40, v6
	v_addc_co_u32_e32 v7, vcc, v5, v7, vcc
	s_mov_b32 s13, 0
	v_mov_b32_e32 v5, 0
	s_mov_b64 s[26:27], s[14:15]
.LBB48_31:                              ;   Parent Loop BB48_15 Depth=1
                                        ;     Parent Loop BB48_29 Depth=2
                                        ; =>    This Inner Loop Header: Depth=3
	global_load_dword v14, v[6:7], off
	s_load_dword s46, s[26:27], 0x0
	s_add_i32 s13, s13, 1
	s_add_u32 s26, s26, 4
	v_add_co_u32_e32 v6, vcc, 4, v6
	s_addc_u32 s27, s27, 0
	v_addc_co_u32_e32 v7, vcc, 0, v7, vcc
	s_cmp_ge_i32 s13, s45
	s_waitcnt vmcnt(0) lgkmcnt(0)
	v_fmac_f32_e32 v5, s46, v14
	s_cbranch_scc0 .LBB48_31
	s_branch .LBB48_28
.LBB48_32:                              ;   in Loop: Header=BB48_15 Depth=1
	s_or_b64 exec, exec, s[2:3]
.LBB48_33:                              ;   in Loop: Header=BB48_15 Depth=1
	v_cmp_gt_u32_e32 vcc, s6, v0
	s_waitcnt lgkmcnt(0)
	s_barrier
	s_and_saveexec_b64 s[2:3], vcc
	s_cbranch_execz .LBB48_14
; %bb.34:                               ;   in Loop: Header=BB48_15 Depth=1
	s_mov_b64 s[14:15], 0
	v_mov_b32_e32 v4, v12
	v_mov_b32_e32 v5, v9
	;; [unrolled: 1-line block ×3, first 2 shown]
.LBB48_35:                              ;   Parent Loop BB48_15 Depth=1
                                        ; =>  This Loop Header: Depth=2
                                        ;       Child Loop BB48_36 Depth 3
	v_mov_b32_e32 v7, 0
	s_mov_b64 s[20:21], 0
	v_mov_b32_e32 v13, v4
	v_mov_b32_e32 v14, v5
	;; [unrolled: 1-line block ×3, first 2 shown]
.LBB48_36:                              ;   Parent Loop BB48_15 Depth=1
                                        ;     Parent Loop BB48_35 Depth=2
                                        ; =>    This Inner Loop Header: Depth=3
	ds_read_b32 v16, v14
	ds_read_b32 v17, v13
	v_add_u32_e32 v15, 1, v15
	v_cmp_le_u32_e32 vcc, s6, v15
	v_add_u32_e32 v14, s34, v14
	v_add_u32_e32 v13, 4, v13
	s_or_b64 s[20:21], vcc, s[20:21]
	s_waitcnt lgkmcnt(0)
	v_fmac_f32_e32 v7, v16, v17
	s_andn2_b64 exec, exec, s[20:21]
	s_cbranch_execnz .LBB48_36
; %bb.37:                               ;   in Loop: Header=BB48_35 Depth=2
	s_or_b64 exec, exec, s[20:21]
	v_lshl_add_u32 v13, v6, 2, s44
	v_add_u32_e32 v6, s19, v6
	v_cmp_le_u32_e32 vcc, s6, v6
	v_add_u32_e32 v5, s43, v5
	s_or_b64 s[14:15], vcc, s[14:15]
	v_add_u32_e32 v4, s38, v4
	ds_write_b32 v13, v7
	s_andn2_b64 exec, exec, s[14:15]
	s_cbranch_execnz .LBB48_35
	s_branch .LBB48_14
.LBB48_38:
	s_and_saveexec_b64 s[2:3], s[0:1]
	s_cbranch_execz .LBB48_50
; %bb.39:
	s_lshl_b32 s14, s19, 1
	s_cmp_lg_u32 s30, 1
	s_cselect_b64 s[0:1], -1, 0
	s_mov_b32 s15, s18
	s_mov_b32 s16, 0
	v_lshl_add_u32 v2, v0, 2, s35
	s_lshl_b32 s17, s19, 2
	s_mov_b64 s[4:5], 0
	s_xor_b64 s[6:7], s[0:1], -1
	v_mov_b32_e32 v3, v10
	v_mov_b32_e32 v4, v0
	s_branch .LBB48_41
.LBB48_40:                              ;   in Loop: Header=BB48_41 Depth=1
	s_or_b64 exec, exec, s[2:3]
	v_add_u32_e32 v4, s19, v4
	s_add_i32 s16, s16, 1
	v_cmp_le_i32_e32 vcc, s18, v4
	v_add_u32_e32 v3, s14, v3
	v_subrev_u32_e32 v11, s19, v11
	s_or_b64 s[4:5], vcc, s[4:5]
	v_add_u32_e32 v2, s17, v2
	s_andn2_b64 exec, exec, s[4:5]
	s_cbranch_execz .LBB48_50
.LBB48_41:                              ; =>This Loop Header: Depth=1
                                        ;     Child Loop BB48_44 Depth 2
                                        ;     Child Loop BB48_49 Depth 2
	s_mul_i32 s2, s16, s19
	v_add_u32_e32 v5, s2, v0
	v_sub_u32_e32 v12, s18, v5
	v_cmp_gt_u32_e32 vcc, 4, v12
	v_cmp_lt_u32_e64 s[0:1], 3, v12
	v_mov_b32_e32 v5, v4
	s_and_saveexec_b64 s[8:9], s[0:1]
	s_cbranch_execz .LBB48_47
; %bb.42:                               ;   in Loop: Header=BB48_41 Depth=1
	s_mul_i32 s0, s14, s16
	v_add_u32_e32 v5, s0, v10
	v_subrev_u32_e32 v6, s2, v1
	v_add_u32_e32 v6, v5, v6
	v_cmp_ge_i32_e64 s[0:1], v6, v5
	s_mov_b64 s[2:3], -1
	s_and_b64 s[0:1], s[6:7], s[0:1]
	v_mov_b32_e32 v5, v4
	s_and_saveexec_b64 s[10:11], s[0:1]
	s_cbranch_execz .LBB48_46
; %bb.43:                               ;   in Loop: Header=BB48_41 Depth=1
	v_add_u32_e32 v5, 1, v4
	v_and_b32_e32 v13, -2, v11
	v_lshl_add_u32 v14, v4, 2, s35
	s_mov_b64 s[12:13], 0
	v_mov_b32_e32 v6, v3
	v_pk_mov_b32 v[8:9], v[4:5], v[4:5] op_sel:[0,1]
.LBB48_44:                              ;   Parent Loop BB48_41 Depth=1
                                        ; =>  This Inner Loop Header: Depth=2
	v_mul_lo_u32 v15, v8, s18
	v_mul_lo_u32 v5, v9, s15
	v_lshl_add_u32 v15, v15, 2, v14
	v_lshl_add_u32 v5, v5, 2, v14
	ds_read_b32 v18, v15
	ds_read_b32 v19, v5
	v_ashrrev_i32_e32 v7, 31, v6
	v_add_u32_e32 v13, -2, v13
	v_lshlrev_b64 v[16:17], 2, v[6:7]
	v_mov_b32_e32 v20, s33
	v_cmp_eq_u32_e64 s[0:1], 0, v13
	v_add_co_u32_e64 v16, s[2:3], s31, v16
	v_add_u32_e32 v9, 2, v9
	v_add_u32_e32 v8, 2, v8
	;; [unrolled: 1-line block ×3, first 2 shown]
	v_addc_co_u32_e64 v17, s[2:3], v20, v17, s[2:3]
	s_or_b64 s[12:13], s[0:1], s[12:13]
	s_waitcnt lgkmcnt(0)
	global_store_dwordx2 v[16:17], v[18:19], off
	s_andn2_b64 exec, exec, s[12:13]
	s_cbranch_execnz .LBB48_44
; %bb.45:                               ;   in Loop: Header=BB48_41 Depth=1
	s_or_b64 exec, exec, s[12:13]
	v_and_b32_e32 v6, -2, v12
	v_cmp_ne_u32_e64 s[0:1], v12, v6
	v_add_u32_e32 v5, v4, v6
	s_orn2_b64 s[2:3], s[0:1], exec
.LBB48_46:                              ;   in Loop: Header=BB48_41 Depth=1
	s_or_b64 exec, exec, s[10:11]
	s_andn2_b64 s[0:1], vcc, exec
	s_and_b64 s[2:3], s[2:3], exec
	s_or_b64 vcc, s[0:1], s[2:3]
.LBB48_47:                              ;   in Loop: Header=BB48_41 Depth=1
	s_or_b64 exec, exec, s[8:9]
	s_and_saveexec_b64 s[2:3], vcc
	s_cbranch_execz .LBB48_40
; %bb.48:                               ;   in Loop: Header=BB48_41 Depth=1
	v_mad_u64_u32 v[6:7], s[0:1], s30, v5, v[4:5]
	v_mad_u64_u32 v[8:9], s[0:1], s34, v5, v[2:3]
	s_mov_b64 s[8:9], 0
.LBB48_49:                              ;   Parent Loop BB48_41 Depth=1
                                        ; =>  This Inner Loop Header: Depth=2
	ds_read_b32 v9, v8
	v_ashrrev_i32_e32 v7, 31, v6
	v_add_u32_e32 v5, 1, v5
	v_lshlrev_b64 v[12:13], 2, v[6:7]
	v_mov_b32_e32 v14, s33
	v_cmp_le_i32_e32 vcc, s18, v5
	v_add_co_u32_e64 v12, s[0:1], s31, v12
	v_add_u32_e32 v8, s34, v8
	v_add_u32_e32 v6, s30, v6
	v_addc_co_u32_e64 v13, s[0:1], v14, v13, s[0:1]
	s_or_b64 s[8:9], vcc, s[8:9]
	s_waitcnt lgkmcnt(0)
	global_store_dword v[12:13], v9, off
	s_andn2_b64 exec, exec, s[8:9]
	s_cbranch_execnz .LBB48_49
	s_branch .LBB48_40
.LBB48_50:
	s_endpgm
	.section	.rodata,"a",@progbits
	.p2align	6, 0x0
	.amdhsa_kernel _ZN9rocsolver6v33100L20larft_kernel_forwardIfPfEEv15rocblas_storev_iiT0_iilPT_lS6_il
		.amdhsa_group_segment_fixed_size 0
		.amdhsa_private_segment_fixed_size 0
		.amdhsa_kernarg_size 336
		.amdhsa_user_sgpr_count 6
		.amdhsa_user_sgpr_private_segment_buffer 1
		.amdhsa_user_sgpr_dispatch_ptr 0
		.amdhsa_user_sgpr_queue_ptr 0
		.amdhsa_user_sgpr_kernarg_segment_ptr 1
		.amdhsa_user_sgpr_dispatch_id 0
		.amdhsa_user_sgpr_flat_scratch_init 0
		.amdhsa_user_sgpr_kernarg_preload_length 0
		.amdhsa_user_sgpr_kernarg_preload_offset 0
		.amdhsa_user_sgpr_private_segment_size 0
		.amdhsa_uses_dynamic_stack 0
		.amdhsa_system_sgpr_private_segment_wavefront_offset 0
		.amdhsa_system_sgpr_workgroup_id_x 1
		.amdhsa_system_sgpr_workgroup_id_y 1
		.amdhsa_system_sgpr_workgroup_id_z 0
		.amdhsa_system_sgpr_workgroup_info 0
		.amdhsa_system_vgpr_workitem_id 0
		.amdhsa_next_free_vgpr 21
		.amdhsa_next_free_sgpr 48
		.amdhsa_accum_offset 24
		.amdhsa_reserve_vcc 1
		.amdhsa_reserve_flat_scratch 0
		.amdhsa_float_round_mode_32 0
		.amdhsa_float_round_mode_16_64 0
		.amdhsa_float_denorm_mode_32 3
		.amdhsa_float_denorm_mode_16_64 3
		.amdhsa_dx10_clamp 1
		.amdhsa_ieee_mode 1
		.amdhsa_fp16_overflow 0
		.amdhsa_tg_split 0
		.amdhsa_exception_fp_ieee_invalid_op 0
		.amdhsa_exception_fp_denorm_src 0
		.amdhsa_exception_fp_ieee_div_zero 0
		.amdhsa_exception_fp_ieee_overflow 0
		.amdhsa_exception_fp_ieee_underflow 0
		.amdhsa_exception_fp_ieee_inexact 0
		.amdhsa_exception_int_div_zero 0
	.end_amdhsa_kernel
	.section	.text._ZN9rocsolver6v33100L20larft_kernel_forwardIfPfEEv15rocblas_storev_iiT0_iilPT_lS6_il,"axG",@progbits,_ZN9rocsolver6v33100L20larft_kernel_forwardIfPfEEv15rocblas_storev_iiT0_iilPT_lS6_il,comdat
.Lfunc_end48:
	.size	_ZN9rocsolver6v33100L20larft_kernel_forwardIfPfEEv15rocblas_storev_iiT0_iilPT_lS6_il, .Lfunc_end48-_ZN9rocsolver6v33100L20larft_kernel_forwardIfPfEEv15rocblas_storev_iiT0_iilPT_lS6_il
                                        ; -- End function
	.section	.AMDGPU.csdata,"",@progbits
; Kernel info:
; codeLenInByte = 2112
; NumSgprs: 52
; NumVgprs: 21
; NumAgprs: 0
; TotalNumVgprs: 21
; ScratchSize: 0
; MemoryBound: 0
; FloatMode: 240
; IeeeMode: 1
; LDSByteSize: 0 bytes/workgroup (compile time only)
; SGPRBlocks: 6
; VGPRBlocks: 2
; NumSGPRsForWavesPerEU: 52
; NumVGPRsForWavesPerEU: 21
; AccumOffset: 24
; Occupancy: 8
; WaveLimiterHint : 0
; COMPUTE_PGM_RSRC2:SCRATCH_EN: 0
; COMPUTE_PGM_RSRC2:USER_SGPR: 6
; COMPUTE_PGM_RSRC2:TRAP_HANDLER: 0
; COMPUTE_PGM_RSRC2:TGID_X_EN: 1
; COMPUTE_PGM_RSRC2:TGID_Y_EN: 1
; COMPUTE_PGM_RSRC2:TGID_Z_EN: 0
; COMPUTE_PGM_RSRC2:TIDIG_COMP_CNT: 0
; COMPUTE_PGM_RSRC3_GFX90A:ACCUM_OFFSET: 5
; COMPUTE_PGM_RSRC3_GFX90A:TG_SPLIT: 0
	.section	.text._ZN9rocsolver6v33100L21larft_kernel_backwardIfPfEEv15rocblas_storev_iiT0_iilPT_lS6_il,"axG",@progbits,_ZN9rocsolver6v33100L21larft_kernel_backwardIfPfEEv15rocblas_storev_iiT0_iilPT_lS6_il,comdat
	.globl	_ZN9rocsolver6v33100L21larft_kernel_backwardIfPfEEv15rocblas_storev_iiT0_iilPT_lS6_il ; -- Begin function _ZN9rocsolver6v33100L21larft_kernel_backwardIfPfEEv15rocblas_storev_iiT0_iilPT_lS6_il
	.p2align	8
	.type	_ZN9rocsolver6v33100L21larft_kernel_backwardIfPfEEv15rocblas_storev_iiT0_iilPT_lS6_il,@function
_ZN9rocsolver6v33100L21larft_kernel_backwardIfPfEEv15rocblas_storev_iiT0_iilPT_lS6_il: ; @_ZN9rocsolver6v33100L21larft_kernel_backwardIfPfEEv15rocblas_storev_iiT0_iilPT_lS6_il
; %bb.0:
	s_load_dword s2, s[4:5], 0x5c
	s_load_dword s33, s[4:5], 0x40
	s_load_dwordx2 s[0:1], s[4:5], 0x48
	s_load_dwordx4 s[16:19], s[4:5], 0x0
	s_load_dwordx8 s[8:15], s[4:5], 0x20
	s_waitcnt lgkmcnt(0)
	s_and_b32 s19, s2, 0xffff
	s_ashr_i32 s6, s7, 31
	s_mul_i32 s1, s7, s1
	s_mul_hi_u32 s2, s7, s0
	s_add_i32 s1, s2, s1
	s_mul_i32 s2, s6, s0
	s_add_i32 s1, s1, s2
	s_mul_i32 s0, s7, s0
	s_lshl_b64 s[0:1], s[0:1], 2
	s_add_u32 s34, s14, s0
	s_addc_u32 s35, s15, s1
	v_cmp_gt_i32_e64 s[0:1], s18, v0
	v_add_u32_e32 v1, 1, v0
	s_and_saveexec_b64 s[14:15], s[0:1]
	s_cbranch_execz .LBB49_12
; %bb.1:
	s_cmp_lg_u32 s33, 1
	s_cselect_b64 s[20:21], -1, 0
	s_cmp_lg_u32 s18, 1
	s_cselect_b64 s[22:23], -1, 0
	s_lshl_b32 s36, s18, 2
	s_add_i32 s2, s36, 0
	v_add_u32_e32 v3, 1, v0
	v_lshl_add_u32 v6, v0, 2, s2
	s_lshl_b32 s37, s19, 2
	s_mov_b64 s[24:25], 0
	v_mov_b32_e32 v2, v0
	s_branch .LBB49_3
.LBB49_2:                               ;   in Loop: Header=BB49_3 Depth=1
	s_or_b64 exec, exec, s[2:3]
	v_add_u32_e32 v2, s19, v2
	v_cmp_le_i32_e32 vcc, s18, v2
	v_add_u32_e32 v3, s19, v3
	s_or_b64 s[24:25], vcc, s[24:25]
	v_add_u32_e32 v6, s37, v6
	s_andn2_b64 exec, exec, s[24:25]
	s_cbranch_execz .LBB49_12
.LBB49_3:                               ; =>This Loop Header: Depth=1
                                        ;     Child Loop BB49_6 Depth 2
                                        ;     Child Loop BB49_11 Depth 2
	v_cmp_gt_u32_e32 vcc, 6, v3
	v_cmp_lt_u32_e64 s[2:3], 5, v3
	v_mov_b32_e32 v7, 0
	s_and_saveexec_b64 s[26:27], s[2:3]
	s_cbranch_execz .LBB49_9
; %bb.4:                                ;   in Loop: Header=BB49_3 Depth=1
	v_lshlrev_b32_e32 v4, 1, v2
	v_cmp_lt_i32_e64 s[2:3], v4, v2
	s_or_b64 s[2:3], s[20:21], s[2:3]
	s_or_b64 s[28:29], s[2:3], s[22:23]
	s_mov_b64 s[2:3], -1
	s_xor_b64 s[30:31], s[28:29], -1
	v_mov_b32_e32 v7, 0
	s_and_saveexec_b64 s[28:29], s[30:31]
	s_cbranch_execz .LBB49_8
; %bb.5:                                ;   in Loop: Header=BB49_3 Depth=1
	v_and_b32_e32 v7, -4, v3
	s_mov_b32 s38, 0
	s_mov_b64 s[30:31], 0
	v_mov_b32_e32 v4, v6
.LBB49_6:                               ;   Parent Loop BB49_3 Depth=1
                                        ; =>  This Inner Loop Header: Depth=2
	v_add_u32_e32 v8, s38, v2
	v_ashrrev_i32_e32 v9, 31, v8
	v_lshlrev_b64 v[8:9], 2, v[8:9]
	v_mov_b32_e32 v5, s35
	v_add_co_u32_e64 v8, s[2:3], s34, v8
	v_addc_co_u32_e64 v9, s[2:3], v5, v9, s[2:3]
	global_load_dwordx4 v[8:11], v[8:9], off
	s_add_i32 s38, s38, 4
	v_cmp_eq_u32_e64 s[2:3], s38, v7
	s_or_b64 s[30:31], s[2:3], s[30:31]
	s_waitcnt vmcnt(0)
	ds_write2_b32 v4, v8, v9 offset1:1
	ds_write2_b32 v4, v10, v11 offset0:2 offset1:3
	v_add_u32_e32 v4, 16, v4
	s_andn2_b64 exec, exec, s[30:31]
	s_cbranch_execnz .LBB49_6
; %bb.7:                                ;   in Loop: Header=BB49_3 Depth=1
	s_or_b64 exec, exec, s[30:31]
	v_cmp_ne_u32_e64 s[2:3], v3, v7
	s_orn2_b64 s[2:3], s[2:3], exec
.LBB49_8:                               ;   in Loop: Header=BB49_3 Depth=1
	s_or_b64 exec, exec, s[28:29]
	s_andn2_b64 s[28:29], vcc, exec
	s_and_b64 s[2:3], s[2:3], exec
	s_or_b64 vcc, s[28:29], s[2:3]
.LBB49_9:                               ;   in Loop: Header=BB49_3 Depth=1
	s_or_b64 exec, exec, s[26:27]
	s_and_saveexec_b64 s[2:3], vcc
	s_cbranch_execz .LBB49_2
; %bb.10:                               ;   in Loop: Header=BB49_3 Depth=1
	v_mad_u64_u32 v[4:5], s[26:27], s33, v7, v[2:3]
	v_mul_lo_u32 v8, s36, v7
	s_mov_b64 s[26:27], 0
.LBB49_11:                              ;   Parent Loop BB49_3 Depth=1
                                        ; =>  This Inner Loop Header: Depth=2
	v_ashrrev_i32_e32 v5, 31, v4
	v_lshlrev_b64 v[10:11], 2, v[4:5]
	v_mov_b32_e32 v9, s35
	v_add_co_u32_e32 v10, vcc, s34, v10
	v_addc_co_u32_e32 v11, vcc, v9, v11, vcc
	global_load_dword v5, v[10:11], off
	v_add_u32_e32 v7, 1, v7
	v_cmp_eq_u32_e32 vcc, v3, v7
	v_add_u32_e32 v9, v6, v8
	v_add_u32_e32 v8, s36, v8
	;; [unrolled: 1-line block ×3, first 2 shown]
	s_or_b64 s[26:27], vcc, s[26:27]
	s_waitcnt vmcnt(0)
	ds_write_b32 v9, v5
	s_andn2_b64 exec, exec, s[26:27]
	s_cbranch_execnz .LBB49_11
	s_branch .LBB49_2
.LBB49_12:
	s_or_b64 exec, exec, s[14:15]
	s_cmp_lt_i32 s18, 2
	s_waitcnt lgkmcnt(0)
	s_barrier
	s_cbranch_scc1 .LBB49_38
; %bb.13:
	s_load_dwordx4 s[20:23], s[4:5], 0x10
	s_mul_i32 s2, s7, s13
	s_mul_hi_u32 s3, s7, s12
	s_add_i32 s4, s3, s2
	s_mul_i32 s5, s6, s12
	s_add_i32 s5, s4, s5
	s_mul_i32 s4, s7, s12
	s_waitcnt lgkmcnt(0)
	s_ashr_i32 s3, s22, 31
	s_lshl_b64 s[4:5], s[4:5], 2
	s_mov_b32 s2, s22
	s_add_u32 s22, s10, s4
	s_addc_u32 s26, s11, s5
	s_lshl_b32 s27, s18, 2
	s_add_i32 s28, s27, 0
	s_add_i32 s4, s18, -2
	s_sub_i32 s29, s17, s18
	s_cmpk_lg_i32 s16, 0xb5
	s_mul_i32 s6, s8, s6
	s_mul_hi_u32 s12, s8, s7
	s_cselect_b64 s[10:11], -1, 0
	s_add_i32 s6, s12, s6
	s_mul_i32 s9, s9, s7
	s_add_i32 s9, s6, s9
	s_mul_i32 s8, s8, s7
	s_lshl_b64 s[6:7], s[8:9], 2
	s_lshl_b64 s[2:3], s[2:3], 2
	s_mov_b32 s5, 0
	s_add_u32 s8, s6, s2
	s_addc_u32 s9, s7, s3
	s_lshl_b64 s[2:3], s[4:5], 2
	s_add_u32 s6, s8, s2
	s_addc_u32 s7, s9, s3
	s_add_u32 s30, s20, s6
	s_addc_u32 s31, s21, s7
	s_ashr_i32 s7, s23, 31
	s_mov_b32 s6, s23
	s_lshl_b64 s[6:7], s[6:7], 2
	s_add_u32 s36, s20, s8
	s_addc_u32 s37, s21, s9
	v_lshlrev_b32_e32 v4, 2, v0
	s_add_u32 s2, s36, s2
	s_addc_u32 s3, s37, s3
	v_add_co_u32_e32 v3, vcc, s2, v4
	s_add_i32 s2, s18, -1
	v_mov_b32_e32 v2, s3
	s_mul_i32 s8, s23, s2
	s_add_i32 s2, s27, 4
	v_addc_co_u32_e32 v5, vcc, 0, v2, vcc
	s_mul_i32 s2, s18, s2
	v_add_co_u32_e32 v2, vcc, 4, v3
	s_add_i32 s2, s2, 0
	v_addc_co_u32_e32 v3, vcc, 0, v5, vcc
	s_lshl_b32 s38, s19, 2
	s_mov_b32 s39, s5
	v_mul_lo_u32 v8, v0, s23
	s_mul_i32 s40, s23, s19
	s_mul_i32 s12, s23, s4
	v_add3_u32 v9, s2, v4, -4
	s_xor_b32 s41, s27, -4
	s_branch .LBB49_15
.LBB49_14:                              ;   in Loop: Header=BB49_15 Depth=1
	s_or_b64 exec, exec, s[2:3]
	s_add_i32 s2, s4, -1
	s_add_u32 s30, s30, -4
	s_addc_u32 s31, s31, -1
	v_add_co_u32_e32 v2, vcc, -4, v2
	s_sub_i32 s8, s8, s23
	s_sub_i32 s12, s12, s23
	v_addc_co_u32_e32 v3, vcc, -1, v3, vcc
	v_add_u32_e32 v9, s41, v9
	s_cmp_lt_i32 s4, 1
	s_mov_b32 s4, s2
	s_waitcnt lgkmcnt(0)
	s_barrier
	s_cbranch_scc1 .LBB49_38
.LBB49_15:                              ; =>This Loop Header: Depth=1
                                        ;     Child Loop BB49_20 Depth 2
                                        ;       Child Loop BB49_22 Depth 3
                                        ;     Child Loop BB49_29 Depth 2
                                        ;       Child Loop BB49_31 Depth 3
	;; [unrolled: 2-line block ×3, first 2 shown]
	s_lshl_b32 s2, s4, 2
	s_not_b32 s42, s4
	s_add_i32 s43, s28, s2
	s_mul_i32 s2, s4, s18
	s_add_i32 s42, s42, s18
	s_lshl_b32 s2, s2, 2
	s_add_i32 s44, s4, s29
	s_add_i32 s43, s43, s2
	s_mov_b64 s[14:15], -1
	s_and_b64 vcc, exec, s[10:11]
	v_cmp_gt_i32_e64 s[2:3], s42, v0
	s_cbranch_vccz .LBB49_24
; %bb.16:                               ;   in Loop: Header=BB49_15 Depth=1
	s_and_saveexec_b64 s[14:15], s[2:3]
	s_cbranch_execz .LBB49_23
; %bb.17:                               ;   in Loop: Header=BB49_15 Depth=1
	s_cmp_gt_i32 s44, 0
	s_cselect_b64 s[2:3], -1, 0
	s_lshl_b64 s[16:17], s[4:5], 2
	s_add_u32 s16, s22, s16
	s_addc_u32 s17, s26, s17
	s_load_dword s9, s[16:17], 0x0
	v_cndmask_b32_e64 v4, 0, 1, s[2:3]
	s_add_i32 s13, s43, 4
	s_mov_b64 s[16:17], 0
	v_cmp_ne_u32_e64 s[2:3], 1, v4
	v_pk_mov_b32 v[4:5], v[2:3], v[2:3] op_sel:[0,1]
	v_mov_b32_e32 v6, v0
	s_branch .LBB49_20
.LBB49_18:                              ;   in Loop: Header=BB49_20 Depth=2
	v_mov_b32_e32 v7, 0
.LBB49_19:                              ;   in Loop: Header=BB49_20 Depth=2
	v_lshlrev_b32_e32 v10, 2, v6
	v_add_u32_e32 v11, s13, v10
	ds_read_b32 v11, v11
	v_add_u32_e32 v6, s19, v6
	v_cmp_le_i32_e32 vcc, s42, v6
	v_mov_b32_e32 v12, s39
	s_or_b64 s[16:17], vcc, s[16:17]
	v_add_co_u32_e32 v4, vcc, s38, v4
	v_add_u32_e32 v10, 0, v10
	s_waitcnt lgkmcnt(0)
	v_fmac_f32_e32 v11, s9, v7
	v_addc_co_u32_e32 v5, vcc, v5, v12, vcc
	ds_write_b32 v10, v11
	s_andn2_b64 exec, exec, s[16:17]
	s_cbranch_execz .LBB49_23
.LBB49_20:                              ;   Parent Loop BB49_15 Depth=1
                                        ; =>  This Loop Header: Depth=2
                                        ;       Child Loop BB49_22 Depth 3
	s_and_b64 vcc, exec, s[2:3]
	s_cbranch_vccnz .LBB49_18
; %bb.21:                               ;   in Loop: Header=BB49_20 Depth=2
	s_mov_b32 s24, 0
	s_mov_b64 s[20:21], 0
	v_mov_b32_e32 v7, 0
.LBB49_22:                              ;   Parent Loop BB49_15 Depth=1
                                        ;     Parent Loop BB49_20 Depth=2
                                        ; =>    This Inner Loop Header: Depth=3
	v_mov_b32_e32 v11, s21
	v_add_co_u32_e32 v10, vcc, s20, v4
	v_addc_co_u32_e32 v11, vcc, v5, v11, vcc
	global_load_dword v10, v[10:11], off
	s_add_u32 s46, s30, s20
	s_addc_u32 s47, s31, s21
	s_load_dword s25, s[46:47], 0x0
	s_add_i32 s24, s24, 1
	s_add_u32 s20, s20, s6
	s_addc_u32 s21, s21, s7
	s_cmp_ge_i32 s24, s44
	s_waitcnt vmcnt(0) lgkmcnt(0)
	v_fmac_f32_e32 v7, s25, v10
	s_cbranch_scc0 .LBB49_22
	s_branch .LBB49_19
.LBB49_23:                              ;   in Loop: Header=BB49_15 Depth=1
	s_or_b64 exec, exec, s[14:15]
	s_mov_b64 s[14:15], 0
.LBB49_24:                              ;   in Loop: Header=BB49_15 Depth=1
	s_andn2_b64 vcc, exec, s[14:15]
	s_cbranch_vccnz .LBB49_33
; %bb.25:                               ;   in Loop: Header=BB49_15 Depth=1
	v_cmp_gt_i32_e32 vcc, s42, v0
	s_and_saveexec_b64 s[2:3], vcc
	s_cbranch_execz .LBB49_32
; %bb.26:                               ;   in Loop: Header=BB49_15 Depth=1
	s_ashr_i32 s9, s8, 31
	s_ashr_i32 s13, s12, 31
	s_lshl_b64 s[20:21], s[8:9], 2
	s_lshl_b64 s[14:15], s[12:13], 2
	s_add_u32 s14, s36, s14
	s_addc_u32 s15, s37, s15
	s_cmp_gt_i32 s44, 0
	s_cselect_b64 s[16:17], -1, 0
	s_lshl_b64 s[24:25], s[4:5], 2
	s_add_u32 s24, s22, s24
	s_addc_u32 s25, s26, s25
	s_load_dword s9, s[24:25], 0x0
	s_add_i32 s13, s43, 4
	s_add_u32 s45, s36, s20
	s_addc_u32 s46, s37, s21
	s_mov_b64 s[20:21], 0
	v_mov_b32_e32 v4, v8
	v_mov_b32_e32 v10, v0
	s_branch .LBB49_29
.LBB49_27:                              ;   in Loop: Header=BB49_29 Depth=2
	v_mov_b32_e32 v5, 0
.LBB49_28:                              ;   in Loop: Header=BB49_29 Depth=2
	v_lshlrev_b32_e32 v6, 2, v10
	v_add_u32_e32 v7, s13, v6
	ds_read_b32 v7, v7
	v_add_u32_e32 v10, s19, v10
	v_cmp_le_i32_e32 vcc, s42, v10
	v_add_u32_e32 v6, 0, v6
	s_or_b64 s[20:21], vcc, s[20:21]
	s_waitcnt lgkmcnt(0)
	v_fmac_f32_e32 v7, s9, v5
	v_add_u32_e32 v4, s40, v4
	ds_write_b32 v6, v7
	s_andn2_b64 exec, exec, s[20:21]
	s_cbranch_execz .LBB49_32
.LBB49_29:                              ;   Parent Loop BB49_15 Depth=1
                                        ; =>  This Loop Header: Depth=2
                                        ;       Child Loop BB49_31 Depth 3
	s_andn2_b64 vcc, exec, s[16:17]
	s_cbranch_vccnz .LBB49_27
; %bb.30:                               ;   in Loop: Header=BB49_29 Depth=2
	v_ashrrev_i32_e32 v5, 31, v4
	v_lshlrev_b64 v[6:7], 2, v[4:5]
	v_mov_b32_e32 v5, s46
	v_add_co_u32_e32 v6, vcc, s45, v6
	v_addc_co_u32_e32 v7, vcc, v5, v7, vcc
	s_mov_b32 s47, 0
	v_mov_b32_e32 v5, 0
	s_mov_b64 s[24:25], s[14:15]
.LBB49_31:                              ;   Parent Loop BB49_15 Depth=1
                                        ;     Parent Loop BB49_29 Depth=2
                                        ; =>    This Inner Loop Header: Depth=3
	global_load_dword v11, v[6:7], off
	s_load_dword s48, s[24:25], 0x0
	s_add_i32 s47, s47, 1
	s_add_u32 s24, s24, 4
	v_add_co_u32_e32 v6, vcc, 4, v6
	s_addc_u32 s25, s25, 0
	v_addc_co_u32_e32 v7, vcc, 0, v7, vcc
	s_cmp_ge_i32 s47, s44
	s_waitcnt vmcnt(0) lgkmcnt(0)
	v_fmac_f32_e32 v5, s48, v11
	s_cbranch_scc0 .LBB49_31
	s_branch .LBB49_28
.LBB49_32:                              ;   in Loop: Header=BB49_15 Depth=1
	s_or_b64 exec, exec, s[2:3]
.LBB49_33:                              ;   in Loop: Header=BB49_15 Depth=1
	v_cmp_gt_i32_e32 vcc, s42, v0
	s_waitcnt lgkmcnt(0)
	s_barrier
	s_and_saveexec_b64 s[2:3], vcc
	s_cbranch_execz .LBB49_14
; %bb.34:                               ;   in Loop: Header=BB49_15 Depth=1
	s_add_i32 s43, s43, 4
	s_mov_b64 s[14:15], 0
	v_mov_b32_e32 v4, v9
	v_mov_b32_e32 v5, v0
.LBB49_35:                              ;   Parent Loop BB49_15 Depth=1
                                        ; =>  This Loop Header: Depth=2
                                        ;       Child Loop BB49_36 Depth 3
	s_mov_b32 s9, -1
	s_mov_b32 s13, 0
	v_mov_b32_e32 v6, 0
	s_mov_b64 s[16:17], 0
	v_mov_b32_e32 v7, v4
.LBB49_36:                              ;   Parent Loop BB49_15 Depth=1
                                        ;     Parent Loop BB49_35 Depth=2
                                        ; =>    This Inner Loop Header: Depth=3
	v_mov_b32_e32 v11, s13
	ds_read_b32 v10, v7
	ds_read_b32 v11, v11
	s_add_i32 s9, s9, 1
	s_add_i32 s13, s13, 4
	v_cmp_eq_u32_e32 vcc, s9, v5
	v_add_u32_e32 v7, s27, v7
	s_or_b64 s[16:17], vcc, s[16:17]
	s_waitcnt lgkmcnt(0)
	v_fmac_f32_e32 v6, v10, v11
	s_andn2_b64 exec, exec, s[16:17]
	s_cbranch_execnz .LBB49_36
; %bb.37:                               ;   in Loop: Header=BB49_35 Depth=2
	s_or_b64 exec, exec, s[16:17]
	v_lshl_add_u32 v7, v5, 2, s43
	v_add_u32_e32 v5, s19, v5
	v_cmp_le_i32_e32 vcc, s42, v5
	s_or_b64 s[14:15], vcc, s[14:15]
	v_add_u32_e32 v4, s38, v4
	ds_write_b32 v7, v6
	s_andn2_b64 exec, exec, s[14:15]
	s_cbranch_execnz .LBB49_35
	s_branch .LBB49_14
.LBB49_38:
	s_and_saveexec_b64 s[2:3], s[0:1]
	s_cbranch_execz .LBB49_50
; %bb.39:
	s_cmp_lg_u32 s18, 1
	s_cselect_b64 s[0:1], -1, 0
	s_cmp_lg_u32 s33, 1
	s_cselect_b64 s[2:3], -1, 0
	s_lshl_b32 s12, s18, 2
	s_or_b64 s[0:1], s[0:1], s[2:3]
	s_add_i32 s2, s12, 0
	v_lshl_add_u32 v4, v0, 2, s2
	s_lshl_b32 s13, s19, 2
	s_mov_b64 s[2:3], 0
	s_xor_b64 s[4:5], s[0:1], -1
	s_branch .LBB49_41
.LBB49_40:                              ;   in Loop: Header=BB49_41 Depth=1
	s_or_b64 exec, exec, s[6:7]
	v_add_u32_e32 v0, s19, v0
	v_cmp_le_i32_e32 vcc, s18, v0
	v_add_u32_e32 v1, s19, v1
	s_or_b64 s[2:3], vcc, s[2:3]
	v_add_u32_e32 v4, s13, v4
	s_andn2_b64 exec, exec, s[2:3]
	s_cbranch_execz .LBB49_50
.LBB49_41:                              ; =>This Loop Header: Depth=1
                                        ;     Child Loop BB49_44 Depth 2
                                        ;     Child Loop BB49_49 Depth 2
	v_cmp_gt_u32_e32 vcc, 6, v1
	v_cmp_lt_u32_e64 s[0:1], 5, v1
	v_mov_b32_e32 v5, 0
	s_and_saveexec_b64 s[6:7], s[0:1]
	s_cbranch_execz .LBB49_47
; %bb.42:                               ;   in Loop: Header=BB49_41 Depth=1
	v_lshlrev_b32_e32 v2, 1, v0
	v_cmp_ge_i32_e64 s[0:1], v2, v0
	s_mov_b64 s[10:11], -1
	s_and_b64 s[0:1], s[4:5], s[0:1]
	v_mov_b32_e32 v5, 0
	s_and_saveexec_b64 s[8:9], s[0:1]
	s_cbranch_execz .LBB49_46
; %bb.43:                               ;   in Loop: Header=BB49_41 Depth=1
	v_and_b32_e32 v5, -4, v1
	s_mov_b32 s14, 0
	s_mov_b64 s[10:11], 0
	v_mov_b32_e32 v2, v4
.LBB49_44:                              ;   Parent Loop BB49_41 Depth=1
                                        ; =>  This Inner Loop Header: Depth=2
	ds_read2_b32 v[6:7], v2 offset1:1
	ds_read2_b32 v[8:9], v2 offset0:2 offset1:3
	v_add_u32_e32 v10, s14, v0
	s_add_i32 s14, s14, 4
	v_ashrrev_i32_e32 v11, 31, v10
	v_cmp_eq_u32_e64 s[0:1], s14, v5
	v_lshlrev_b64 v[10:11], 2, v[10:11]
	v_mov_b32_e32 v3, s35
	s_or_b64 s[10:11], s[0:1], s[10:11]
	v_add_co_u32_e64 v10, s[0:1], s34, v10
	v_add_u32_e32 v2, 16, v2
	v_addc_co_u32_e64 v11, s[0:1], v3, v11, s[0:1]
	s_waitcnt lgkmcnt(0)
	global_store_dwordx4 v[10:11], v[6:9], off
	s_andn2_b64 exec, exec, s[10:11]
	s_cbranch_execnz .LBB49_44
; %bb.45:                               ;   in Loop: Header=BB49_41 Depth=1
	s_or_b64 exec, exec, s[10:11]
	v_cmp_ne_u32_e64 s[0:1], v1, v5
	s_orn2_b64 s[10:11], s[0:1], exec
.LBB49_46:                              ;   in Loop: Header=BB49_41 Depth=1
	s_or_b64 exec, exec, s[8:9]
	s_andn2_b64 s[0:1], vcc, exec
	s_and_b64 s[8:9], s[10:11], exec
	s_or_b64 vcc, s[0:1], s[8:9]
.LBB49_47:                              ;   in Loop: Header=BB49_41 Depth=1
	s_or_b64 exec, exec, s[6:7]
	s_and_saveexec_b64 s[6:7], vcc
	s_cbranch_execz .LBB49_40
; %bb.48:                               ;   in Loop: Header=BB49_41 Depth=1
	v_mad_u64_u32 v[2:3], s[0:1], s33, v5, v[0:1]
	v_mul_lo_u32 v6, s12, v5
	s_mov_b64 s[8:9], 0
.LBB49_49:                              ;   Parent Loop BB49_41 Depth=1
                                        ; =>  This Inner Loop Header: Depth=2
	v_add_u32_e32 v7, v4, v6
	ds_read_b32 v7, v7
	v_ashrrev_i32_e32 v3, 31, v2
	v_add_u32_e32 v5, 1, v5
	v_lshlrev_b64 v[8:9], 2, v[2:3]
	v_mov_b32_e32 v10, s35
	v_cmp_eq_u32_e32 vcc, v1, v5
	v_add_co_u32_e64 v8, s[0:1], s34, v8
	v_add_u32_e32 v6, s12, v6
	v_add_u32_e32 v2, s33, v2
	v_addc_co_u32_e64 v9, s[0:1], v10, v9, s[0:1]
	s_or_b64 s[8:9], vcc, s[8:9]
	s_waitcnt lgkmcnt(0)
	global_store_dword v[8:9], v7, off
	s_andn2_b64 exec, exec, s[8:9]
	s_cbranch_execnz .LBB49_49
	s_branch .LBB49_40
.LBB49_50:
	s_endpgm
	.section	.rodata,"a",@progbits
	.p2align	6, 0x0
	.amdhsa_kernel _ZN9rocsolver6v33100L21larft_kernel_backwardIfPfEEv15rocblas_storev_iiT0_iilPT_lS6_il
		.amdhsa_group_segment_fixed_size 0
		.amdhsa_private_segment_fixed_size 0
		.amdhsa_kernarg_size 336
		.amdhsa_user_sgpr_count 6
		.amdhsa_user_sgpr_private_segment_buffer 1
		.amdhsa_user_sgpr_dispatch_ptr 0
		.amdhsa_user_sgpr_queue_ptr 0
		.amdhsa_user_sgpr_kernarg_segment_ptr 1
		.amdhsa_user_sgpr_dispatch_id 0
		.amdhsa_user_sgpr_flat_scratch_init 0
		.amdhsa_user_sgpr_kernarg_preload_length 0
		.amdhsa_user_sgpr_kernarg_preload_offset 0
		.amdhsa_user_sgpr_private_segment_size 0
		.amdhsa_uses_dynamic_stack 0
		.amdhsa_system_sgpr_private_segment_wavefront_offset 0
		.amdhsa_system_sgpr_workgroup_id_x 1
		.amdhsa_system_sgpr_workgroup_id_y 1
		.amdhsa_system_sgpr_workgroup_id_z 0
		.amdhsa_system_sgpr_workgroup_info 0
		.amdhsa_system_vgpr_workitem_id 0
		.amdhsa_next_free_vgpr 13
		.amdhsa_next_free_sgpr 49
		.amdhsa_accum_offset 16
		.amdhsa_reserve_vcc 1
		.amdhsa_reserve_flat_scratch 0
		.amdhsa_float_round_mode_32 0
		.amdhsa_float_round_mode_16_64 0
		.amdhsa_float_denorm_mode_32 3
		.amdhsa_float_denorm_mode_16_64 3
		.amdhsa_dx10_clamp 1
		.amdhsa_ieee_mode 1
		.amdhsa_fp16_overflow 0
		.amdhsa_tg_split 0
		.amdhsa_exception_fp_ieee_invalid_op 0
		.amdhsa_exception_fp_denorm_src 0
		.amdhsa_exception_fp_ieee_div_zero 0
		.amdhsa_exception_fp_ieee_overflow 0
		.amdhsa_exception_fp_ieee_underflow 0
		.amdhsa_exception_fp_ieee_inexact 0
		.amdhsa_exception_int_div_zero 0
	.end_amdhsa_kernel
	.section	.text._ZN9rocsolver6v33100L21larft_kernel_backwardIfPfEEv15rocblas_storev_iiT0_iilPT_lS6_il,"axG",@progbits,_ZN9rocsolver6v33100L21larft_kernel_backwardIfPfEEv15rocblas_storev_iiT0_iilPT_lS6_il,comdat
.Lfunc_end49:
	.size	_ZN9rocsolver6v33100L21larft_kernel_backwardIfPfEEv15rocblas_storev_iiT0_iilPT_lS6_il, .Lfunc_end49-_ZN9rocsolver6v33100L21larft_kernel_backwardIfPfEEv15rocblas_storev_iiT0_iilPT_lS6_il
                                        ; -- End function
	.section	.AMDGPU.csdata,"",@progbits
; Kernel info:
; codeLenInByte = 1980
; NumSgprs: 53
; NumVgprs: 13
; NumAgprs: 0
; TotalNumVgprs: 13
; ScratchSize: 0
; MemoryBound: 0
; FloatMode: 240
; IeeeMode: 1
; LDSByteSize: 0 bytes/workgroup (compile time only)
; SGPRBlocks: 6
; VGPRBlocks: 1
; NumSGPRsForWavesPerEU: 53
; NumVGPRsForWavesPerEU: 13
; AccumOffset: 16
; Occupancy: 8
; WaveLimiterHint : 0
; COMPUTE_PGM_RSRC2:SCRATCH_EN: 0
; COMPUTE_PGM_RSRC2:USER_SGPR: 6
; COMPUTE_PGM_RSRC2:TRAP_HANDLER: 0
; COMPUTE_PGM_RSRC2:TGID_X_EN: 1
; COMPUTE_PGM_RSRC2:TGID_Y_EN: 1
; COMPUTE_PGM_RSRC2:TGID_Z_EN: 0
; COMPUTE_PGM_RSRC2:TIDIG_COMP_CNT: 0
; COMPUTE_PGM_RSRC3_GFX90A:ACCUM_OFFSET: 3
; COMPUTE_PGM_RSRC3_GFX90A:TG_SPLIT: 0
	.section	.text._ZN9rocsolver6v33100L9copymatA1IfPfEEviiT0_iilPT_,"axG",@progbits,_ZN9rocsolver6v33100L9copymatA1IfPfEEviiT0_iilPT_,comdat
	.globl	_ZN9rocsolver6v33100L9copymatA1IfPfEEviiT0_iilPT_ ; -- Begin function _ZN9rocsolver6v33100L9copymatA1IfPfEEviiT0_iilPT_
	.p2align	8
	.type	_ZN9rocsolver6v33100L9copymatA1IfPfEEviiT0_iilPT_,@function
_ZN9rocsolver6v33100L9copymatA1IfPfEEviiT0_iilPT_: ; @_ZN9rocsolver6v33100L9copymatA1IfPfEEviiT0_iilPT_
; %bb.0:
	s_load_dword s0, s[4:5], 0x34
	s_load_dwordx2 s[2:3], s[4:5], 0x0
	v_and_b32_e32 v1, 0x3ff, v0
	v_bfe_u32 v0, v0, 10, 10
	s_waitcnt lgkmcnt(0)
	s_lshr_b32 s1, s0, 16
	s_and_b32 s0, s0, 0xffff
	s_mul_i32 s6, s6, s0
	s_mul_i32 s7, s7, s1
	v_add_u32_e32 v1, s6, v1
	v_add_u32_e32 v0, s7, v0
	v_cmp_gt_u32_e32 vcc, s2, v0
	v_cmp_gt_u32_e64 s[0:1], s3, v1
	s_and_b64 s[0:1], s[0:1], vcc
	s_and_saveexec_b64 s[6:7], s[0:1]
	s_cbranch_execz .LBB50_2
; %bb.1:
	s_ashr_i32 s0, s2, 31
	s_load_dwordx8 s[12:19], s[4:5], 0x8
	s_mul_hi_u32 s4, s2, s8
	s_mul_i32 s0, s0, s8
	s_ashr_i32 s1, s3, 31
	s_add_i32 s0, s4, s0
	s_mul_i32 s4, s2, s8
	s_mul_i32 s1, s4, s1
	s_mul_hi_u32 s5, s4, s3
	s_add_i32 s1, s5, s1
	s_mul_i32 s0, s0, s3
	s_add_i32 s1, s1, s0
	s_mul_i32 s0, s4, s3
	s_lshl_b64 s[0:1], s[0:1], 2
	s_waitcnt lgkmcnt(0)
	s_add_u32 s3, s18, s0
	s_mul_i32 s4, s8, s17
	s_mul_hi_u32 s5, s8, s16
	s_addc_u32 s6, s19, s1
	s_add_i32 s5, s5, s4
	s_mul_i32 s4, s8, s16
	s_ashr_i32 s1, s14, 31
	s_lshl_b64 s[4:5], s[4:5], 2
	s_mov_b32 s0, s14
	s_add_u32 s4, s12, s4
	s_addc_u32 s5, s13, s5
	s_lshl_b64 s[0:1], s[0:1], 2
	s_add_u32 s4, s4, s0
	s_addc_u32 s5, s5, s1
	v_mad_u64_u32 v[2:3], s[0:1], v1, s15, v[0:1]
	v_mov_b32_e32 v3, 0
	v_lshlrev_b64 v[4:5], 2, v[2:3]
	v_mov_b32_e32 v2, s5
	v_add_co_u32_e32 v4, vcc, s4, v4
	v_addc_co_u32_e32 v5, vcc, v2, v5, vcc
	global_load_dword v2, v[4:5], off
	v_mad_u64_u32 v[0:1], s[0:1], v1, s2, v[0:1]
	v_mov_b32_e32 v1, v3
	v_lshlrev_b64 v[0:1], 2, v[0:1]
	v_mov_b32_e32 v3, s6
	v_add_co_u32_e32 v0, vcc, s3, v0
	v_addc_co_u32_e32 v1, vcc, v3, v1, vcc
	s_waitcnt vmcnt(0)
	global_store_dword v[0:1], v2, off
.LBB50_2:
	s_endpgm
	.section	.rodata,"a",@progbits
	.p2align	6, 0x0
	.amdhsa_kernel _ZN9rocsolver6v33100L9copymatA1IfPfEEviiT0_iilPT_
		.amdhsa_group_segment_fixed_size 0
		.amdhsa_private_segment_fixed_size 0
		.amdhsa_kernarg_size 296
		.amdhsa_user_sgpr_count 6
		.amdhsa_user_sgpr_private_segment_buffer 1
		.amdhsa_user_sgpr_dispatch_ptr 0
		.amdhsa_user_sgpr_queue_ptr 0
		.amdhsa_user_sgpr_kernarg_segment_ptr 1
		.amdhsa_user_sgpr_dispatch_id 0
		.amdhsa_user_sgpr_flat_scratch_init 0
		.amdhsa_user_sgpr_kernarg_preload_length 0
		.amdhsa_user_sgpr_kernarg_preload_offset 0
		.amdhsa_user_sgpr_private_segment_size 0
		.amdhsa_uses_dynamic_stack 0
		.amdhsa_system_sgpr_private_segment_wavefront_offset 0
		.amdhsa_system_sgpr_workgroup_id_x 1
		.amdhsa_system_sgpr_workgroup_id_y 1
		.amdhsa_system_sgpr_workgroup_id_z 1
		.amdhsa_system_sgpr_workgroup_info 0
		.amdhsa_system_vgpr_workitem_id 1
		.amdhsa_next_free_vgpr 6
		.amdhsa_next_free_sgpr 20
		.amdhsa_accum_offset 8
		.amdhsa_reserve_vcc 1
		.amdhsa_reserve_flat_scratch 0
		.amdhsa_float_round_mode_32 0
		.amdhsa_float_round_mode_16_64 0
		.amdhsa_float_denorm_mode_32 3
		.amdhsa_float_denorm_mode_16_64 3
		.amdhsa_dx10_clamp 1
		.amdhsa_ieee_mode 1
		.amdhsa_fp16_overflow 0
		.amdhsa_tg_split 0
		.amdhsa_exception_fp_ieee_invalid_op 0
		.amdhsa_exception_fp_denorm_src 0
		.amdhsa_exception_fp_ieee_div_zero 0
		.amdhsa_exception_fp_ieee_overflow 0
		.amdhsa_exception_fp_ieee_underflow 0
		.amdhsa_exception_fp_ieee_inexact 0
		.amdhsa_exception_int_div_zero 0
	.end_amdhsa_kernel
	.section	.text._ZN9rocsolver6v33100L9copymatA1IfPfEEviiT0_iilPT_,"axG",@progbits,_ZN9rocsolver6v33100L9copymatA1IfPfEEviiT0_iilPT_,comdat
.Lfunc_end50:
	.size	_ZN9rocsolver6v33100L9copymatA1IfPfEEviiT0_iilPT_, .Lfunc_end50-_ZN9rocsolver6v33100L9copymatA1IfPfEEviiT0_iilPT_
                                        ; -- End function
	.section	.AMDGPU.csdata,"",@progbits
; Kernel info:
; codeLenInByte = 296
; NumSgprs: 24
; NumVgprs: 6
; NumAgprs: 0
; TotalNumVgprs: 6
; ScratchSize: 0
; MemoryBound: 0
; FloatMode: 240
; IeeeMode: 1
; LDSByteSize: 0 bytes/workgroup (compile time only)
; SGPRBlocks: 2
; VGPRBlocks: 0
; NumSGPRsForWavesPerEU: 24
; NumVGPRsForWavesPerEU: 6
; AccumOffset: 8
; Occupancy: 8
; WaveLimiterHint : 0
; COMPUTE_PGM_RSRC2:SCRATCH_EN: 0
; COMPUTE_PGM_RSRC2:USER_SGPR: 6
; COMPUTE_PGM_RSRC2:TRAP_HANDLER: 0
; COMPUTE_PGM_RSRC2:TGID_X_EN: 1
; COMPUTE_PGM_RSRC2:TGID_Y_EN: 1
; COMPUTE_PGM_RSRC2:TGID_Z_EN: 1
; COMPUTE_PGM_RSRC2:TIDIG_COMP_CNT: 1
; COMPUTE_PGM_RSRC3_GFX90A:ACCUM_OFFSET: 1
; COMPUTE_PGM_RSRC3_GFX90A:TG_SPLIT: 0
	.section	.text._ZN9rocsolver6v33100L8addmatA1IfPfEEviiT0_iilPT_,"axG",@progbits,_ZN9rocsolver6v33100L8addmatA1IfPfEEviiT0_iilPT_,comdat
	.globl	_ZN9rocsolver6v33100L8addmatA1IfPfEEviiT0_iilPT_ ; -- Begin function _ZN9rocsolver6v33100L8addmatA1IfPfEEviiT0_iilPT_
	.p2align	8
	.type	_ZN9rocsolver6v33100L8addmatA1IfPfEEviiT0_iilPT_,@function
_ZN9rocsolver6v33100L8addmatA1IfPfEEviiT0_iilPT_: ; @_ZN9rocsolver6v33100L8addmatA1IfPfEEviiT0_iilPT_
; %bb.0:
	s_load_dword s0, s[4:5], 0x34
	s_load_dwordx2 s[10:11], s[4:5], 0x0
	v_and_b32_e32 v1, 0x3ff, v0
	v_bfe_u32 v0, v0, 10, 10
	s_waitcnt lgkmcnt(0)
	s_lshr_b32 s1, s0, 16
	s_and_b32 s0, s0, 0xffff
	s_mul_i32 s6, s6, s0
	s_mul_i32 s7, s7, s1
	v_add_u32_e32 v1, s6, v1
	v_add_u32_e32 v0, s7, v0
	v_cmp_gt_u32_e32 vcc, s10, v0
	v_cmp_gt_u32_e64 s[0:1], s11, v1
	s_and_b64 s[0:1], s[0:1], vcc
	s_and_saveexec_b64 s[2:3], s[0:1]
	s_cbranch_execz .LBB51_2
; %bb.1:
	s_ashr_i32 s9, s10, 31
	s_load_dwordx8 s[0:7], s[4:5], 0x8
	s_ashr_i32 s12, s11, 31
	s_mul_hi_u32 s13, s10, s8
	s_mul_i32 s9, s9, s8
	s_mul_i32 s14, s10, s8
	s_add_i32 s9, s13, s9
	s_mul_i32 s12, s14, s12
	s_mul_hi_u32 s13, s14, s11
	s_add_i32 s12, s13, s12
	s_mul_i32 s9, s9, s11
	s_add_i32 s13, s12, s9
	s_mul_i32 s12, s14, s11
	s_lshl_b64 s[12:13], s[12:13], 2
	s_waitcnt lgkmcnt(0)
	s_add_u32 s9, s6, s12
	s_addc_u32 s11, s7, s13
	s_ashr_i32 s7, s2, 31
	s_mov_b32 s6, s2
	s_mul_i32 s2, s8, s5
	s_mul_hi_u32 s5, s8, s4
	s_add_i32 s5, s5, s2
	s_mul_i32 s4, s8, s4
	s_lshl_b64 s[4:5], s[4:5], 2
	s_add_u32 s2, s0, s4
	s_addc_u32 s4, s1, s5
	s_lshl_b64 s[0:1], s[6:7], 2
	s_add_u32 s2, s2, s0
	s_addc_u32 s4, s4, s1
	v_mad_u64_u32 v[2:3], s[0:1], v1, s10, v[0:1]
	v_mov_b32_e32 v3, 0
	v_lshlrev_b64 v[4:5], 2, v[2:3]
	v_mad_u64_u32 v[0:1], s[0:1], v1, s3, v[0:1]
	v_mov_b32_e32 v2, s11
	v_add_co_u32_e32 v4, vcc, s9, v4
	v_mov_b32_e32 v1, v3
	v_addc_co_u32_e32 v5, vcc, v2, v5, vcc
	v_lshlrev_b64 v[0:1], 2, v[0:1]
	v_mov_b32_e32 v3, s4
	v_add_co_u32_e32 v0, vcc, s2, v0
	v_addc_co_u32_e32 v1, vcc, v3, v1, vcc
	global_load_dword v2, v[4:5], off
	global_load_dword v3, v[0:1], off
	s_waitcnt vmcnt(0)
	v_sub_f32_e32 v2, v3, v2
	global_store_dword v[0:1], v2, off
.LBB51_2:
	s_endpgm
	.section	.rodata,"a",@progbits
	.p2align	6, 0x0
	.amdhsa_kernel _ZN9rocsolver6v33100L8addmatA1IfPfEEviiT0_iilPT_
		.amdhsa_group_segment_fixed_size 0
		.amdhsa_private_segment_fixed_size 0
		.amdhsa_kernarg_size 296
		.amdhsa_user_sgpr_count 6
		.amdhsa_user_sgpr_private_segment_buffer 1
		.amdhsa_user_sgpr_dispatch_ptr 0
		.amdhsa_user_sgpr_queue_ptr 0
		.amdhsa_user_sgpr_kernarg_segment_ptr 1
		.amdhsa_user_sgpr_dispatch_id 0
		.amdhsa_user_sgpr_flat_scratch_init 0
		.amdhsa_user_sgpr_kernarg_preload_length 0
		.amdhsa_user_sgpr_kernarg_preload_offset 0
		.amdhsa_user_sgpr_private_segment_size 0
		.amdhsa_uses_dynamic_stack 0
		.amdhsa_system_sgpr_private_segment_wavefront_offset 0
		.amdhsa_system_sgpr_workgroup_id_x 1
		.amdhsa_system_sgpr_workgroup_id_y 1
		.amdhsa_system_sgpr_workgroup_id_z 1
		.amdhsa_system_sgpr_workgroup_info 0
		.amdhsa_system_vgpr_workitem_id 1
		.amdhsa_next_free_vgpr 6
		.amdhsa_next_free_sgpr 15
		.amdhsa_accum_offset 8
		.amdhsa_reserve_vcc 1
		.amdhsa_reserve_flat_scratch 0
		.amdhsa_float_round_mode_32 0
		.amdhsa_float_round_mode_16_64 0
		.amdhsa_float_denorm_mode_32 3
		.amdhsa_float_denorm_mode_16_64 3
		.amdhsa_dx10_clamp 1
		.amdhsa_ieee_mode 1
		.amdhsa_fp16_overflow 0
		.amdhsa_tg_split 0
		.amdhsa_exception_fp_ieee_invalid_op 0
		.amdhsa_exception_fp_denorm_src 0
		.amdhsa_exception_fp_ieee_div_zero 0
		.amdhsa_exception_fp_ieee_overflow 0
		.amdhsa_exception_fp_ieee_underflow 0
		.amdhsa_exception_fp_ieee_inexact 0
		.amdhsa_exception_int_div_zero 0
	.end_amdhsa_kernel
	.section	.text._ZN9rocsolver6v33100L8addmatA1IfPfEEviiT0_iilPT_,"axG",@progbits,_ZN9rocsolver6v33100L8addmatA1IfPfEEviiT0_iilPT_,comdat
.Lfunc_end51:
	.size	_ZN9rocsolver6v33100L8addmatA1IfPfEEviiT0_iilPT_, .Lfunc_end51-_ZN9rocsolver6v33100L8addmatA1IfPfEEviiT0_iilPT_
                                        ; -- End function
	.section	.AMDGPU.csdata,"",@progbits
; Kernel info:
; codeLenInByte = 308
; NumSgprs: 19
; NumVgprs: 6
; NumAgprs: 0
; TotalNumVgprs: 6
; ScratchSize: 0
; MemoryBound: 0
; FloatMode: 240
; IeeeMode: 1
; LDSByteSize: 0 bytes/workgroup (compile time only)
; SGPRBlocks: 2
; VGPRBlocks: 0
; NumSGPRsForWavesPerEU: 19
; NumVGPRsForWavesPerEU: 6
; AccumOffset: 8
; Occupancy: 8
; WaveLimiterHint : 0
; COMPUTE_PGM_RSRC2:SCRATCH_EN: 0
; COMPUTE_PGM_RSRC2:USER_SGPR: 6
; COMPUTE_PGM_RSRC2:TRAP_HANDLER: 0
; COMPUTE_PGM_RSRC2:TGID_X_EN: 1
; COMPUTE_PGM_RSRC2:TGID_Y_EN: 1
; COMPUTE_PGM_RSRC2:TGID_Z_EN: 1
; COMPUTE_PGM_RSRC2:TIDIG_COMP_CNT: 1
; COMPUTE_PGM_RSRC3_GFX90A:ACCUM_OFFSET: 1
; COMPUTE_PGM_RSRC3_GFX90A:TG_SPLIT: 0
	.section	.text._ZN9rocsolver6v33100L16orgl2_init_identIfPfEEviiiT0_iil,"axG",@progbits,_ZN9rocsolver6v33100L16orgl2_init_identIfPfEEviiiT0_iil,comdat
	.globl	_ZN9rocsolver6v33100L16orgl2_init_identIfPfEEviiiT0_iil ; -- Begin function _ZN9rocsolver6v33100L16orgl2_init_identIfPfEEviiiT0_iil
	.p2align	8
	.type	_ZN9rocsolver6v33100L16orgl2_init_identIfPfEEviiiT0_iil,@function
_ZN9rocsolver6v33100L16orgl2_init_identIfPfEEviiiT0_iil: ; @_ZN9rocsolver6v33100L16orgl2_init_identIfPfEEviiiT0_iil
; %bb.0:
	s_load_dword s9, s[4:5], 0x34
	s_load_dwordx4 s[0:3], s[4:5], 0x0
	v_bfe_u32 v1, v0, 10, 10
	v_and_b32_e32 v0, 0x3ff, v0
	s_waitcnt lgkmcnt(0)
	s_lshr_b32 s3, s9, 16
	s_and_b32 s9, s9, 0xffff
	s_mul_i32 s7, s7, s3
	s_mul_i32 s6, s6, s9
	v_add_u32_e32 v2, s7, v1
	v_add_u32_e32 v4, s6, v0
	v_cmp_gt_u32_e32 vcc, s0, v4
	v_cmp_gt_u32_e64 s[0:1], s1, v2
	s_and_b64 s[0:1], vcc, s[0:1]
	s_and_saveexec_b64 s[6:7], s[0:1]
	s_cbranch_execz .LBB52_5
; %bb.1:
	s_load_dwordx2 s[0:1], s[4:5], 0x18
	v_cmp_ne_u32_e32 vcc, v4, v2
	s_mov_b64 s[10:11], 0
                                        ; implicit-def: $vgpr3
                                        ; implicit-def: $vgpr0
	s_and_saveexec_b64 s[6:7], vcc
	s_xor_b64 s[6:7], exec, s[6:7]
	s_cbranch_execnz .LBB52_6
; %bb.2:
	s_andn2_saveexec_b64 s[2:3], s[6:7]
	s_cbranch_execnz .LBB52_13
.LBB52_3:
	s_or_b64 exec, exec, s[2:3]
	s_and_b64 exec, exec, s[10:11]
	s_cbranch_execz .LBB52_5
.LBB52_4:
	s_load_dwordx2 s[2:3], s[4:5], 0x20
	s_load_dwordx2 s[6:7], s[4:5], 0x10
	s_waitcnt lgkmcnt(0)
	s_ashr_i32 s1, s0, 31
	v_mov_b32_e32 v1, 0
	v_lshlrev_b64 v[0:1], 2, v[0:1]
	s_mul_i32 s3, s8, s3
	s_mul_hi_u32 s4, s8, s2
	s_mul_i32 s2, s8, s2
	s_add_i32 s3, s4, s3
	s_lshl_b64 s[2:3], s[2:3], 2
	s_add_u32 s2, s6, s2
	s_addc_u32 s3, s7, s3
	s_lshl_b64 s[0:1], s[0:1], 2
	s_add_u32 s0, s2, s0
	s_addc_u32 s1, s3, s1
	v_mov_b32_e32 v2, s1
	v_add_co_u32_e32 v0, vcc, s0, v0
	v_addc_co_u32_e32 v1, vcc, v2, v1, vcc
	global_store_dword v[0:1], v3, off
.LBB52_5:
	s_endpgm
.LBB52_6:
	v_cmp_ge_u32_e32 vcc, v2, v4
                                        ; implicit-def: $sgpr9
                                        ; implicit-def: $vgpr0
	s_and_saveexec_b64 s[12:13], vcc
	s_xor_b64 s[12:13], exec, s[12:13]
	s_cbranch_execz .LBB52_10
; %bb.7:
	v_cmp_le_u32_e32 vcc, s2, v4
	s_mov_b64 s[2:3], 0
                                        ; implicit-def: $sgpr9
                                        ; implicit-def: $vgpr0
	s_and_saveexec_b64 s[10:11], vcc
	s_xor_b64 s[10:11], exec, s[10:11]
	s_cbranch_execz .LBB52_9
; %bb.8:
	s_mov_b64 s[2:3], exec
	s_waitcnt lgkmcnt(0)
	v_mad_u64_u32 v[0:1], s[14:15], v2, s1, v[4:5]
	s_mov_b32 s9, 0
.LBB52_9:
	s_or_b64 exec, exec, s[10:11]
	s_and_b64 s[10:11], s[2:3], exec
                                        ; implicit-def: $vgpr4
                                        ; implicit-def: $vgpr2
.LBB52_10:
	s_or_saveexec_b64 s[2:3], s[12:13]
	v_mov_b32_e32 v3, s9
	s_xor_b64 exec, exec, s[2:3]
	s_cbranch_execz .LBB52_12
; %bb.11:
	s_waitcnt lgkmcnt(0)
	v_mad_u64_u32 v[0:1], s[12:13], v2, s1, v[4:5]
	v_mov_b32_e32 v3, 0
	s_or_b64 s[10:11], s[10:11], exec
.LBB52_12:
	s_or_b64 exec, exec, s[2:3]
	s_and_b64 s[10:11], s[10:11], exec
                                        ; implicit-def: $vgpr2
	s_andn2_saveexec_b64 s[2:3], s[6:7]
	s_cbranch_execz .LBB52_3
.LBB52_13:
	s_waitcnt lgkmcnt(0)
	v_mad_u64_u32 v[0:1], s[6:7], v2, s1, v[2:3]
	v_mov_b32_e32 v3, 1.0
	s_or_b64 s[10:11], s[10:11], exec
	s_or_b64 exec, exec, s[2:3]
	s_and_b64 exec, exec, s[10:11]
	s_cbranch_execnz .LBB52_4
	s_branch .LBB52_5
	.section	.rodata,"a",@progbits
	.p2align	6, 0x0
	.amdhsa_kernel _ZN9rocsolver6v33100L16orgl2_init_identIfPfEEviiiT0_iil
		.amdhsa_group_segment_fixed_size 0
		.amdhsa_private_segment_fixed_size 0
		.amdhsa_kernarg_size 296
		.amdhsa_user_sgpr_count 6
		.amdhsa_user_sgpr_private_segment_buffer 1
		.amdhsa_user_sgpr_dispatch_ptr 0
		.amdhsa_user_sgpr_queue_ptr 0
		.amdhsa_user_sgpr_kernarg_segment_ptr 1
		.amdhsa_user_sgpr_dispatch_id 0
		.amdhsa_user_sgpr_flat_scratch_init 0
		.amdhsa_user_sgpr_kernarg_preload_length 0
		.amdhsa_user_sgpr_kernarg_preload_offset 0
		.amdhsa_user_sgpr_private_segment_size 0
		.amdhsa_uses_dynamic_stack 0
		.amdhsa_system_sgpr_private_segment_wavefront_offset 0
		.amdhsa_system_sgpr_workgroup_id_x 1
		.amdhsa_system_sgpr_workgroup_id_y 1
		.amdhsa_system_sgpr_workgroup_id_z 1
		.amdhsa_system_sgpr_workgroup_info 0
		.amdhsa_system_vgpr_workitem_id 1
		.amdhsa_next_free_vgpr 6
		.amdhsa_next_free_sgpr 16
		.amdhsa_accum_offset 8
		.amdhsa_reserve_vcc 1
		.amdhsa_reserve_flat_scratch 0
		.amdhsa_float_round_mode_32 0
		.amdhsa_float_round_mode_16_64 0
		.amdhsa_float_denorm_mode_32 3
		.amdhsa_float_denorm_mode_16_64 3
		.amdhsa_dx10_clamp 1
		.amdhsa_ieee_mode 1
		.amdhsa_fp16_overflow 0
		.amdhsa_tg_split 0
		.amdhsa_exception_fp_ieee_invalid_op 0
		.amdhsa_exception_fp_denorm_src 0
		.amdhsa_exception_fp_ieee_div_zero 0
		.amdhsa_exception_fp_ieee_overflow 0
		.amdhsa_exception_fp_ieee_underflow 0
		.amdhsa_exception_fp_ieee_inexact 0
		.amdhsa_exception_int_div_zero 0
	.end_amdhsa_kernel
	.section	.text._ZN9rocsolver6v33100L16orgl2_init_identIfPfEEviiiT0_iil,"axG",@progbits,_ZN9rocsolver6v33100L16orgl2_init_identIfPfEEviiiT0_iil,comdat
.Lfunc_end52:
	.size	_ZN9rocsolver6v33100L16orgl2_init_identIfPfEEviiiT0_iil, .Lfunc_end52-_ZN9rocsolver6v33100L16orgl2_init_identIfPfEEviiiT0_iil
                                        ; -- End function
	.section	.AMDGPU.csdata,"",@progbits
; Kernel info:
; codeLenInByte = 388
; NumSgprs: 20
; NumVgprs: 6
; NumAgprs: 0
; TotalNumVgprs: 6
; ScratchSize: 0
; MemoryBound: 0
; FloatMode: 240
; IeeeMode: 1
; LDSByteSize: 0 bytes/workgroup (compile time only)
; SGPRBlocks: 2
; VGPRBlocks: 0
; NumSGPRsForWavesPerEU: 20
; NumVGPRsForWavesPerEU: 6
; AccumOffset: 8
; Occupancy: 8
; WaveLimiterHint : 0
; COMPUTE_PGM_RSRC2:SCRATCH_EN: 0
; COMPUTE_PGM_RSRC2:USER_SGPR: 6
; COMPUTE_PGM_RSRC2:TRAP_HANDLER: 0
; COMPUTE_PGM_RSRC2:TGID_X_EN: 1
; COMPUTE_PGM_RSRC2:TGID_Y_EN: 1
; COMPUTE_PGM_RSRC2:TGID_Z_EN: 1
; COMPUTE_PGM_RSRC2:TIDIG_COMP_CNT: 1
; COMPUTE_PGM_RSRC3_GFX90A:ACCUM_OFFSET: 1
; COMPUTE_PGM_RSRC3_GFX90A:TG_SPLIT: 0
	.section	.text._ZN9rocsolver6v33100L8set_zeroIfPfEEviiT0_iil13rocblas_fill_,"axG",@progbits,_ZN9rocsolver6v33100L8set_zeroIfPfEEviiT0_iil13rocblas_fill_,comdat
	.globl	_ZN9rocsolver6v33100L8set_zeroIfPfEEviiT0_iil13rocblas_fill_ ; -- Begin function _ZN9rocsolver6v33100L8set_zeroIfPfEEviiT0_iil13rocblas_fill_
	.p2align	8
	.type	_ZN9rocsolver6v33100L8set_zeroIfPfEEviiT0_iil13rocblas_fill_,@function
_ZN9rocsolver6v33100L8set_zeroIfPfEEviiT0_iil13rocblas_fill_: ; @_ZN9rocsolver6v33100L8set_zeroIfPfEEviiT0_iil13rocblas_fill_
; %bb.0:
	s_load_dword s2, s[4:5], 0x34
	s_load_dwordx2 s[0:1], s[4:5], 0x0
	v_and_b32_e32 v1, 0x3ff, v0
	v_bfe_u32 v0, v0, 10, 10
	s_waitcnt lgkmcnt(0)
	s_lshr_b32 s3, s2, 16
	s_and_b32 s2, s2, 0xffff
	s_mul_i32 s6, s6, s2
	s_mul_i32 s7, s7, s3
	v_add_u32_e32 v2, s6, v1
	v_add_u32_e32 v0, s7, v0
	v_cmp_gt_u32_e32 vcc, s0, v2
	v_cmp_gt_u32_e64 s[0:1], s1, v0
	s_and_b64 s[0:1], vcc, s[0:1]
	s_and_saveexec_b64 s[2:3], s[0:1]
	s_cbranch_execz .LBB53_12
; %bb.1:
	s_load_dword s6, s[4:5], 0x20
	s_waitcnt lgkmcnt(0)
	s_cmpk_lt_i32 s6, 0x7a
	s_cbranch_scc1 .LBB53_4
; %bb.2:
	s_cmpk_gt_i32 s6, 0x7a
	s_cbranch_scc0 .LBB53_5
; %bb.3:
	s_cmpk_eq_i32 s6, 0x7b
	s_cselect_b64 s[0:1], -1, 0
	s_cbranch_execz .LBB53_6
	s_branch .LBB53_7
.LBB53_4:
	s_mov_b64 s[0:1], 0
	s_cbranch_execnz .LBB53_8
	s_branch .LBB53_10
.LBB53_5:
	s_mov_b64 s[0:1], 0
.LBB53_6:
	v_cmp_gt_u32_e32 vcc, v0, v2
	s_andn2_b64 s[0:1], s[0:1], exec
	s_and_b64 s[2:3], vcc, exec
	s_or_b64 s[0:1], s[0:1], s[2:3]
.LBB53_7:
	s_branch .LBB53_10
.LBB53_8:
	s_cmpk_eq_i32 s6, 0x79
	s_cbranch_scc0 .LBB53_10
; %bb.9:
	v_cmp_gt_u32_e32 vcc, v2, v0
	s_andn2_b64 s[0:1], s[0:1], exec
	s_and_b64 s[2:3], vcc, exec
	s_or_b64 s[0:1], s[0:1], s[2:3]
.LBB53_10:
	s_and_b64 exec, exec, s[0:1]
	s_cbranch_execz .LBB53_12
; %bb.11:
	s_load_dwordx4 s[0:3], s[4:5], 0x8
	s_load_dwordx2 s[6:7], s[4:5], 0x18
	s_waitcnt lgkmcnt(0)
	s_ashr_i32 s5, s2, 31
	s_mov_b32 s4, s2
	s_mul_i32 s2, s8, s7
	s_mul_hi_u32 s7, s8, s6
	s_add_i32 s7, s7, s2
	s_mul_i32 s6, s8, s6
	s_lshl_b64 s[6:7], s[6:7], 2
	s_add_u32 s2, s0, s6
	s_addc_u32 s6, s1, s7
	s_lshl_b64 s[0:1], s[4:5], 2
	s_add_u32 s2, s2, s0
	s_addc_u32 s4, s6, s1
	v_mad_u64_u32 v[0:1], s[0:1], v0, s3, v[2:3]
	v_mov_b32_e32 v1, 0
	v_lshlrev_b64 v[2:3], 2, v[0:1]
	v_mov_b32_e32 v0, s4
	v_add_co_u32_e32 v2, vcc, s2, v2
	v_addc_co_u32_e32 v3, vcc, v0, v3, vcc
	global_store_dword v[2:3], v1, off
.LBB53_12:
	s_endpgm
	.section	.rodata,"a",@progbits
	.p2align	6, 0x0
	.amdhsa_kernel _ZN9rocsolver6v33100L8set_zeroIfPfEEviiT0_iil13rocblas_fill_
		.amdhsa_group_segment_fixed_size 0
		.amdhsa_private_segment_fixed_size 0
		.amdhsa_kernarg_size 296
		.amdhsa_user_sgpr_count 6
		.amdhsa_user_sgpr_private_segment_buffer 1
		.amdhsa_user_sgpr_dispatch_ptr 0
		.amdhsa_user_sgpr_queue_ptr 0
		.amdhsa_user_sgpr_kernarg_segment_ptr 1
		.amdhsa_user_sgpr_dispatch_id 0
		.amdhsa_user_sgpr_flat_scratch_init 0
		.amdhsa_user_sgpr_kernarg_preload_length 0
		.amdhsa_user_sgpr_kernarg_preload_offset 0
		.amdhsa_user_sgpr_private_segment_size 0
		.amdhsa_uses_dynamic_stack 0
		.amdhsa_system_sgpr_private_segment_wavefront_offset 0
		.amdhsa_system_sgpr_workgroup_id_x 1
		.amdhsa_system_sgpr_workgroup_id_y 1
		.amdhsa_system_sgpr_workgroup_id_z 1
		.amdhsa_system_sgpr_workgroup_info 0
		.amdhsa_system_vgpr_workitem_id 1
		.amdhsa_next_free_vgpr 4
		.amdhsa_next_free_sgpr 9
		.amdhsa_accum_offset 4
		.amdhsa_reserve_vcc 1
		.amdhsa_reserve_flat_scratch 0
		.amdhsa_float_round_mode_32 0
		.amdhsa_float_round_mode_16_64 0
		.amdhsa_float_denorm_mode_32 3
		.amdhsa_float_denorm_mode_16_64 3
		.amdhsa_dx10_clamp 1
		.amdhsa_ieee_mode 1
		.amdhsa_fp16_overflow 0
		.amdhsa_tg_split 0
		.amdhsa_exception_fp_ieee_invalid_op 0
		.amdhsa_exception_fp_denorm_src 0
		.amdhsa_exception_fp_ieee_div_zero 0
		.amdhsa_exception_fp_ieee_overflow 0
		.amdhsa_exception_fp_ieee_underflow 0
		.amdhsa_exception_fp_ieee_inexact 0
		.amdhsa_exception_int_div_zero 0
	.end_amdhsa_kernel
	.section	.text._ZN9rocsolver6v33100L8set_zeroIfPfEEviiT0_iil13rocblas_fill_,"axG",@progbits,_ZN9rocsolver6v33100L8set_zeroIfPfEEviiT0_iil13rocblas_fill_,comdat
.Lfunc_end53:
	.size	_ZN9rocsolver6v33100L8set_zeroIfPfEEviiT0_iil13rocblas_fill_, .Lfunc_end53-_ZN9rocsolver6v33100L8set_zeroIfPfEEviiT0_iil13rocblas_fill_
                                        ; -- End function
	.section	.AMDGPU.csdata,"",@progbits
; Kernel info:
; codeLenInByte = 312
; NumSgprs: 13
; NumVgprs: 4
; NumAgprs: 0
; TotalNumVgprs: 4
; ScratchSize: 0
; MemoryBound: 0
; FloatMode: 240
; IeeeMode: 1
; LDSByteSize: 0 bytes/workgroup (compile time only)
; SGPRBlocks: 1
; VGPRBlocks: 0
; NumSGPRsForWavesPerEU: 13
; NumVGPRsForWavesPerEU: 4
; AccumOffset: 4
; Occupancy: 8
; WaveLimiterHint : 0
; COMPUTE_PGM_RSRC2:SCRATCH_EN: 0
; COMPUTE_PGM_RSRC2:USER_SGPR: 6
; COMPUTE_PGM_RSRC2:TRAP_HANDLER: 0
; COMPUTE_PGM_RSRC2:TGID_X_EN: 1
; COMPUTE_PGM_RSRC2:TGID_Y_EN: 1
; COMPUTE_PGM_RSRC2:TGID_Z_EN: 1
; COMPUTE_PGM_RSRC2:TIDIG_COMP_CNT: 1
; COMPUTE_PGM_RSRC3_GFX90A:ACCUM_OFFSET: 0
; COMPUTE_PGM_RSRC3_GFX90A:TG_SPLIT: 0
	.section	.text._ZN9rocsolver6v33100L11set_taubetaIfifPfEEvPT_lS4_T2_llPT1_ll,"axG",@progbits,_ZN9rocsolver6v33100L11set_taubetaIfifPfEEvPT_lS4_T2_llPT1_ll,comdat
	.globl	_ZN9rocsolver6v33100L11set_taubetaIfifPfEEvPT_lS4_T2_llPT1_ll ; -- Begin function _ZN9rocsolver6v33100L11set_taubetaIfifPfEEvPT_lS4_T2_llPT1_ll
	.p2align	8
	.type	_ZN9rocsolver6v33100L11set_taubetaIfifPfEEvPT_lS4_T2_llPT1_ll,@function
_ZN9rocsolver6v33100L11set_taubetaIfifPfEEvPT_lS4_T2_llPT1_ll: ; @_ZN9rocsolver6v33100L11set_taubetaIfifPfEEvPT_lS4_T2_llPT1_ll
; %bb.0:
	s_load_dwordx16 s[8:23], s[4:5], 0x0
	s_ashr_i32 s7, s6, 31
	s_mov_b64 s[0:1], 0
	s_mov_b64 s[2:3], 0
	s_waitcnt lgkmcnt(0)
	s_cmp_eq_u64 s[20:21], 0
	s_cbranch_scc1 .LBB54_2
; %bb.1:
	s_load_dwordx2 s[2:3], s[4:5], 0x40
	s_waitcnt lgkmcnt(0)
	s_mul_i32 s3, s6, s3
	s_mul_hi_u32 s4, s6, s2
	s_mul_i32 s5, s7, s2
	s_add_i32 s3, s4, s3
	s_mul_i32 s2, s6, s2
	s_add_i32 s3, s3, s5
	s_lshl_b64 s[2:3], s[2:3], 2
	s_add_u32 s4, s20, s2
	s_addc_u32 s5, s21, s3
	s_lshl_b64 s[2:3], s[22:23], 2
	s_add_u32 s2, s4, s2
	s_addc_u32 s3, s5, s3
.LBB54_2:
	s_mul_i32 s4, s6, s19
	s_mul_hi_u32 s5, s6, s18
	s_add_i32 s4, s5, s4
	s_mul_i32 s5, s7, s18
	s_add_i32 s5, s4, s5
	s_mul_i32 s4, s6, s18
	s_lshl_b64 s[4:5], s[4:5], 2
	s_add_u32 s14, s14, s4
	s_addc_u32 s15, s15, s5
	s_lshl_b64 s[4:5], s[16:17], 2
	s_add_u32 s4, s14, s4
	s_mul_i32 s11, s6, s11
	s_mul_hi_u32 s14, s6, s10
	s_addc_u32 s5, s15, s5
	s_add_i32 s11, s14, s11
	s_mul_i32 s14, s7, s10
	s_add_i32 s11, s11, s14
	s_mul_i32 s10, s6, s10
	s_lshl_b64 s[10:11], s[10:11], 2
	s_add_u32 s8, s8, s10
	s_addc_u32 s9, s9, s11
	s_lshl_b64 s[6:7], s[6:7], 2
	s_add_u32 s12, s12, s6
	s_addc_u32 s13, s13, s7
	s_load_dword s16, s[12:13], 0x0
	s_cmp_eq_u64 s[2:3], 0
	s_cselect_b64 s[6:7], -1, 0
	s_cmp_lg_u64 s[2:3], 0
	s_cselect_b64 s[10:11], -1, 0
	s_waitcnt lgkmcnt(0)
	v_cmp_ngt_f32_e64 s[14:15], s16, 0
	s_and_b64 vcc, exec, s[14:15]
	s_cbranch_vccz .LBB54_6
; %bb.3:
	v_mov_b32_e32 v1, 1.0
	v_mov_b32_e32 v0, 0
	s_mov_b64 s[14:15], 0
	s_and_b64 vcc, exec, s[10:11]
	global_store_dword v0, v1, s[12:13]
	global_store_dword v0, v0, s[8:9]
	s_cbranch_vccz .LBB54_7
; %bb.4:
	global_load_dword v0, v0, s[4:5]
	s_mov_b64 s[0:1], -1
	s_and_b64 vcc, exec, s[14:15]
	s_cbranch_vccnz .LBB54_8
.LBB54_5:
	s_mov_b64 s[6:7], 0
	s_andn2_b64 vcc, exec, s[0:1]
	s_cbranch_vccz .LBB54_9
	s_branch .LBB54_10
.LBB54_6:
	s_mov_b64 s[14:15], -1
.LBB54_7:
                                        ; implicit-def: $vgpr0
	s_and_b64 vcc, exec, s[14:15]
	s_cbranch_vccz .LBB54_5
.LBB54_8:
	s_load_dword s14, s[4:5], 0x0
	s_waitcnt vmcnt(0)
	v_mov_b32_e32 v0, s16
	s_mov_b32 s0, 0xf800000
	s_waitcnt lgkmcnt(0)
	v_fmac_f32_e64 v0, s14, s14
	v_mul_f32_e32 v1, 0x4f800000, v0
	v_cmp_gt_f32_e32 vcc, s0, v0
	v_cndmask_b32_e32 v0, v0, v1, vcc
	v_sqrt_f32_e32 v1, v0
	v_add_u32_e32 v2, -1, v1
	v_add_u32_e32 v3, 1, v1
	v_fma_f32 v4, -v2, v1, v0
	v_fma_f32 v5, -v3, v1, v0
	v_cmp_ge_f32_e64 s[0:1], 0, v4
	v_cndmask_b32_e64 v1, v1, v2, s[0:1]
	v_cmp_lt_f32_e64 s[0:1], 0, v5
	v_cndmask_b32_e64 v1, v1, v3, s[0:1]
	v_mul_f32_e32 v2, 0x37800000, v1
	v_cndmask_b32_e32 v1, v1, v2, vcc
	v_mov_b32_e32 v2, 0x260
	v_cmp_class_f32_e32 vcc, v0, v2
	v_cndmask_b32_e32 v0, v1, v0, vcc
	v_cmp_ge_f32_e64 s[0:1], s14, 0
	v_cndmask_b32_e64 v0, v0, -v0, s[0:1]
	v_sub_f32_e32 v1, s14, v0
	v_div_scale_f32 v2, s[0:1], v1, v1, 1.0
	v_rcp_f32_e32 v3, v2
	v_mov_b32_e32 v4, 0
	v_fma_f32 v5, -v2, v3, 1.0
	v_fmac_f32_e32 v3, v5, v3
	v_div_scale_f32 v5, vcc, 1.0, v1, 1.0
	v_mul_f32_e32 v6, v5, v3
	v_fma_f32 v7, -v2, v6, v5
	v_fmac_f32_e32 v6, v7, v3
	v_fma_f32 v2, -v2, v6, v5
	v_div_fmas_f32 v2, v2, v3, v6
	v_div_fixup_f32 v1, v2, v1, 1.0
	global_store_dword v4, v1, s[12:13]
	global_load_dword v1, v4, s[4:5]
	s_waitcnt vmcnt(0)
	v_sub_f32_e32 v1, v0, v1
	v_div_scale_f32 v2, s[0:1], v0, v0, v1
	v_rcp_f32_e32 v3, v2
	v_div_scale_f32 v5, vcc, v1, v0, v1
	s_mov_b64 s[0:1], s[10:11]
	v_fma_f32 v6, -v2, v3, 1.0
	v_fmac_f32_e32 v3, v6, v3
	v_mul_f32_e32 v6, v5, v3
	v_fma_f32 v7, -v2, v6, v5
	v_fmac_f32_e32 v6, v7, v3
	v_fma_f32 v2, -v2, v6, v5
	v_div_fmas_f32 v2, v2, v3, v6
	v_div_fixup_f32 v1, v2, v0, v1
	global_store_dword v4, v1, s[8:9]
	s_andn2_b64 vcc, exec, s[0:1]
	s_cbranch_vccnz .LBB54_10
.LBB54_9:
	v_pk_mov_b32 v[2:3], s[2:3], s[2:3] op_sel:[0,1]
	s_waitcnt vmcnt(0)
	flat_store_dword v[2:3], v0
	s_mov_b64 s[6:7], -1
	v_mov_b32_e32 v0, 1.0
.LBB54_10:
	s_andn2_b64 vcc, exec, s[6:7]
	s_cbranch_vccz .LBB54_12
; %bb.11:
	s_endpgm
.LBB54_12:
	v_mov_b32_e32 v1, 0
	s_waitcnt vmcnt(0) lgkmcnt(0)
	global_store_dword v1, v0, s[4:5]
	s_endpgm
	.section	.rodata,"a",@progbits
	.p2align	6, 0x0
	.amdhsa_kernel _ZN9rocsolver6v33100L11set_taubetaIfifPfEEvPT_lS4_T2_llPT1_ll
		.amdhsa_group_segment_fixed_size 0
		.amdhsa_private_segment_fixed_size 0
		.amdhsa_kernarg_size 72
		.amdhsa_user_sgpr_count 6
		.amdhsa_user_sgpr_private_segment_buffer 1
		.amdhsa_user_sgpr_dispatch_ptr 0
		.amdhsa_user_sgpr_queue_ptr 0
		.amdhsa_user_sgpr_kernarg_segment_ptr 1
		.amdhsa_user_sgpr_dispatch_id 0
		.amdhsa_user_sgpr_flat_scratch_init 0
		.amdhsa_user_sgpr_kernarg_preload_length 0
		.amdhsa_user_sgpr_kernarg_preload_offset 0
		.amdhsa_user_sgpr_private_segment_size 0
		.amdhsa_uses_dynamic_stack 0
		.amdhsa_system_sgpr_private_segment_wavefront_offset 0
		.amdhsa_system_sgpr_workgroup_id_x 1
		.amdhsa_system_sgpr_workgroup_id_y 0
		.amdhsa_system_sgpr_workgroup_id_z 0
		.amdhsa_system_sgpr_workgroup_info 0
		.amdhsa_system_vgpr_workitem_id 0
		.amdhsa_next_free_vgpr 8
		.amdhsa_next_free_sgpr 24
		.amdhsa_accum_offset 8
		.amdhsa_reserve_vcc 1
		.amdhsa_reserve_flat_scratch 0
		.amdhsa_float_round_mode_32 0
		.amdhsa_float_round_mode_16_64 0
		.amdhsa_float_denorm_mode_32 3
		.amdhsa_float_denorm_mode_16_64 3
		.amdhsa_dx10_clamp 1
		.amdhsa_ieee_mode 1
		.amdhsa_fp16_overflow 0
		.amdhsa_tg_split 0
		.amdhsa_exception_fp_ieee_invalid_op 0
		.amdhsa_exception_fp_denorm_src 0
		.amdhsa_exception_fp_ieee_div_zero 0
		.amdhsa_exception_fp_ieee_overflow 0
		.amdhsa_exception_fp_ieee_underflow 0
		.amdhsa_exception_fp_ieee_inexact 0
		.amdhsa_exception_int_div_zero 0
	.end_amdhsa_kernel
	.section	.text._ZN9rocsolver6v33100L11set_taubetaIfifPfEEvPT_lS4_T2_llPT1_ll,"axG",@progbits,_ZN9rocsolver6v33100L11set_taubetaIfifPfEEvPT_lS4_T2_llPT1_ll,comdat
.Lfunc_end54:
	.size	_ZN9rocsolver6v33100L11set_taubetaIfifPfEEvPT_lS4_T2_llPT1_ll, .Lfunc_end54-_ZN9rocsolver6v33100L11set_taubetaIfifPfEEvPT_lS4_T2_llPT1_ll
                                        ; -- End function
	.section	.AMDGPU.csdata,"",@progbits
; Kernel info:
; codeLenInByte = 728
; NumSgprs: 28
; NumVgprs: 8
; NumAgprs: 0
; TotalNumVgprs: 8
; ScratchSize: 0
; MemoryBound: 0
; FloatMode: 240
; IeeeMode: 1
; LDSByteSize: 0 bytes/workgroup (compile time only)
; SGPRBlocks: 3
; VGPRBlocks: 0
; NumSGPRsForWavesPerEU: 28
; NumVGPRsForWavesPerEU: 8
; AccumOffset: 8
; Occupancy: 8
; WaveLimiterHint : 0
; COMPUTE_PGM_RSRC2:SCRATCH_EN: 0
; COMPUTE_PGM_RSRC2:USER_SGPR: 6
; COMPUTE_PGM_RSRC2:TRAP_HANDLER: 0
; COMPUTE_PGM_RSRC2:TGID_X_EN: 1
; COMPUTE_PGM_RSRC2:TGID_Y_EN: 0
; COMPUTE_PGM_RSRC2:TGID_Z_EN: 0
; COMPUTE_PGM_RSRC2:TIDIG_COMP_CNT: 0
; COMPUTE_PGM_RSRC3_GFX90A:ACCUM_OFFSET: 1
; COMPUTE_PGM_RSRC3_GFX90A:TG_SPLIT: 0
	.section	.text._ZN9rocsolver6v33100L8set_diagIfifPfTnNSt9enable_ifIXoont18rocblas_is_complexIT_E18rocblas_is_complexIT1_EEiE4typeELi0EEEvPS5_llT2_lT0_lSA_b,"axG",@progbits,_ZN9rocsolver6v33100L8set_diagIfifPfTnNSt9enable_ifIXoont18rocblas_is_complexIT_E18rocblas_is_complexIT1_EEiE4typeELi0EEEvPS5_llT2_lT0_lSA_b,comdat
	.globl	_ZN9rocsolver6v33100L8set_diagIfifPfTnNSt9enable_ifIXoont18rocblas_is_complexIT_E18rocblas_is_complexIT1_EEiE4typeELi0EEEvPS5_llT2_lT0_lSA_b ; -- Begin function _ZN9rocsolver6v33100L8set_diagIfifPfTnNSt9enable_ifIXoont18rocblas_is_complexIT_E18rocblas_is_complexIT1_EEiE4typeELi0EEEvPS5_llT2_lT0_lSA_b
	.p2align	8
	.type	_ZN9rocsolver6v33100L8set_diagIfifPfTnNSt9enable_ifIXoont18rocblas_is_complexIT_E18rocblas_is_complexIT1_EEiE4typeELi0EEEvPS5_llT2_lT0_lSA_b,@function
_ZN9rocsolver6v33100L8set_diagIfifPfTnNSt9enable_ifIXoont18rocblas_is_complexIT_E18rocblas_is_complexIT1_EEiE4typeELi0EEEvPS5_llT2_lT0_lSA_b: ; @_ZN9rocsolver6v33100L8set_diagIfifPfTnNSt9enable_ifIXoont18rocblas_is_complexIT_E18rocblas_is_complexIT1_EEiE4typeELi0EEEvPS5_llT2_lT0_lSA_b
; %bb.0:
	s_load_dword s2, s[4:5], 0x4c
	s_load_dwordx2 s[0:1], s[4:5], 0x38
	v_bfe_u32 v0, v0, 10, 10
	s_waitcnt lgkmcnt(0)
	s_lshr_b32 s2, s2, 16
	s_mul_i32 s7, s7, s2
	v_add_u32_e32 v0, s7, v0
	v_cmp_gt_i32_e32 vcc, s0, v0
	s_and_saveexec_b64 s[2:3], vcc
	s_cbranch_execz .LBB55_2
; %bb.1:
	s_load_dwordx2 s[2:3], s[4:5], 0x20
	s_load_dword s7, s[4:5], 0x28
	s_load_dwordx2 s[16:17], s[4:5], 0x30
	s_load_dwordx8 s[8:15], s[4:5], 0x0
	s_bitcmp1_b32 s1, 0
	s_cselect_b64 s[0:1], -1, 0
	s_ashr_i32 s18, s6, 31
	s_waitcnt lgkmcnt(0)
	s_mul_i32 s4, s6, s17
	s_mul_hi_u32 s5, s6, s16
	s_add_i32 s4, s5, s4
	s_mul_i32 s5, s18, s16
	s_add_i32 s5, s4, s5
	s_mul_i32 s4, s6, s16
	s_lshl_b64 s[4:5], s[4:5], 2
	s_add_u32 s4, s14, s4
	s_addc_u32 s5, s15, s5
	s_lshl_b64 s[2:3], s[2:3], 2
	s_add_u32 s4, s4, s2
	s_addc_u32 s5, s5, s3
	v_mad_u64_u32 v[2:3], s[2:3], v0, s7, v[0:1]
	v_ashrrev_i32_e32 v3, 31, v2
	v_lshlrev_b64 v[2:3], 2, v[2:3]
	v_mov_b32_e32 v1, s5
	v_add_co_u32_e32 v2, vcc, s4, v2
	v_addc_co_u32_e32 v3, vcc, v1, v3, vcc
	global_load_dword v4, v[2:3], off
	s_mul_i32 s3, s6, s13
	s_mul_hi_u32 s4, s6, s12
	s_mul_i32 s18, s18, s12
	s_add_i32 s3, s4, s3
	s_mul_i32 s2, s6, s12
	s_add_i32 s3, s3, s18
	s_lshl_b64 s[2:3], s[2:3], 2
	s_add_u32 s4, s8, s2
	s_addc_u32 s5, s9, s3
	s_lshl_b64 s[2:3], s[10:11], 2
	v_ashrrev_i32_e32 v1, 31, v0
	s_add_u32 s2, s4, s2
	v_lshlrev_b64 v[0:1], 2, v[0:1]
	s_addc_u32 s3, s5, s3
	v_mov_b32_e32 v5, s3
	v_add_co_u32_e32 v0, vcc, s2, v0
	v_addc_co_u32_e32 v1, vcc, v5, v1, vcc
	s_waitcnt vmcnt(0)
	global_store_dword v[0:1], v4, off
	v_cndmask_b32_e64 v0, v4, 1.0, s[0:1]
	global_store_dword v[2:3], v0, off
.LBB55_2:
	s_endpgm
	.section	.rodata,"a",@progbits
	.p2align	6, 0x0
	.amdhsa_kernel _ZN9rocsolver6v33100L8set_diagIfifPfTnNSt9enable_ifIXoont18rocblas_is_complexIT_E18rocblas_is_complexIT1_EEiE4typeELi0EEEvPS5_llT2_lT0_lSA_b
		.amdhsa_group_segment_fixed_size 0
		.amdhsa_private_segment_fixed_size 0
		.amdhsa_kernarg_size 320
		.amdhsa_user_sgpr_count 6
		.amdhsa_user_sgpr_private_segment_buffer 1
		.amdhsa_user_sgpr_dispatch_ptr 0
		.amdhsa_user_sgpr_queue_ptr 0
		.amdhsa_user_sgpr_kernarg_segment_ptr 1
		.amdhsa_user_sgpr_dispatch_id 0
		.amdhsa_user_sgpr_flat_scratch_init 0
		.amdhsa_user_sgpr_kernarg_preload_length 0
		.amdhsa_user_sgpr_kernarg_preload_offset 0
		.amdhsa_user_sgpr_private_segment_size 0
		.amdhsa_uses_dynamic_stack 0
		.amdhsa_system_sgpr_private_segment_wavefront_offset 0
		.amdhsa_system_sgpr_workgroup_id_x 1
		.amdhsa_system_sgpr_workgroup_id_y 1
		.amdhsa_system_sgpr_workgroup_id_z 0
		.amdhsa_system_sgpr_workgroup_info 0
		.amdhsa_system_vgpr_workitem_id 1
		.amdhsa_next_free_vgpr 6
		.amdhsa_next_free_sgpr 19
		.amdhsa_accum_offset 8
		.amdhsa_reserve_vcc 1
		.amdhsa_reserve_flat_scratch 0
		.amdhsa_float_round_mode_32 0
		.amdhsa_float_round_mode_16_64 0
		.amdhsa_float_denorm_mode_32 3
		.amdhsa_float_denorm_mode_16_64 3
		.amdhsa_dx10_clamp 1
		.amdhsa_ieee_mode 1
		.amdhsa_fp16_overflow 0
		.amdhsa_tg_split 0
		.amdhsa_exception_fp_ieee_invalid_op 0
		.amdhsa_exception_fp_denorm_src 0
		.amdhsa_exception_fp_ieee_div_zero 0
		.amdhsa_exception_fp_ieee_overflow 0
		.amdhsa_exception_fp_ieee_underflow 0
		.amdhsa_exception_fp_ieee_inexact 0
		.amdhsa_exception_int_div_zero 0
	.end_amdhsa_kernel
	.section	.text._ZN9rocsolver6v33100L8set_diagIfifPfTnNSt9enable_ifIXoont18rocblas_is_complexIT_E18rocblas_is_complexIT1_EEiE4typeELi0EEEvPS5_llT2_lT0_lSA_b,"axG",@progbits,_ZN9rocsolver6v33100L8set_diagIfifPfTnNSt9enable_ifIXoont18rocblas_is_complexIT_E18rocblas_is_complexIT1_EEiE4typeELi0EEEvPS5_llT2_lT0_lSA_b,comdat
.Lfunc_end55:
	.size	_ZN9rocsolver6v33100L8set_diagIfifPfTnNSt9enable_ifIXoont18rocblas_is_complexIT_E18rocblas_is_complexIT1_EEiE4typeELi0EEEvPS5_llT2_lT0_lSA_b, .Lfunc_end55-_ZN9rocsolver6v33100L8set_diagIfifPfTnNSt9enable_ifIXoont18rocblas_is_complexIT_E18rocblas_is_complexIT1_EEiE4typeELi0EEEvPS5_llT2_lT0_lSA_b
                                        ; -- End function
	.section	.AMDGPU.csdata,"",@progbits
; Kernel info:
; codeLenInByte = 292
; NumSgprs: 23
; NumVgprs: 6
; NumAgprs: 0
; TotalNumVgprs: 6
; ScratchSize: 0
; MemoryBound: 0
; FloatMode: 240
; IeeeMode: 1
; LDSByteSize: 0 bytes/workgroup (compile time only)
; SGPRBlocks: 2
; VGPRBlocks: 0
; NumSGPRsForWavesPerEU: 23
; NumVGPRsForWavesPerEU: 6
; AccumOffset: 8
; Occupancy: 8
; WaveLimiterHint : 0
; COMPUTE_PGM_RSRC2:SCRATCH_EN: 0
; COMPUTE_PGM_RSRC2:USER_SGPR: 6
; COMPUTE_PGM_RSRC2:TRAP_HANDLER: 0
; COMPUTE_PGM_RSRC2:TGID_X_EN: 1
; COMPUTE_PGM_RSRC2:TGID_Y_EN: 1
; COMPUTE_PGM_RSRC2:TGID_Z_EN: 0
; COMPUTE_PGM_RSRC2:TIDIG_COMP_CNT: 1
; COMPUTE_PGM_RSRC3_GFX90A:ACCUM_OFFSET: 1
; COMPUTE_PGM_RSRC3_GFX90A:TG_SPLIT: 0
	.section	.text._ZN9rocsolver6v33100L12restore_diagIfifPfEEvPT1_llT2_lT0_lS6_,"axG",@progbits,_ZN9rocsolver6v33100L12restore_diagIfifPfEEvPT1_llT2_lT0_lS6_,comdat
	.globl	_ZN9rocsolver6v33100L12restore_diagIfifPfEEvPT1_llT2_lT0_lS6_ ; -- Begin function _ZN9rocsolver6v33100L12restore_diagIfifPfEEvPT1_llT2_lT0_lS6_
	.p2align	8
	.type	_ZN9rocsolver6v33100L12restore_diagIfifPfEEvPT1_llT2_lT0_lS6_,@function
_ZN9rocsolver6v33100L12restore_diagIfifPfEEvPT1_llT2_lT0_lS6_: ; @_ZN9rocsolver6v33100L12restore_diagIfifPfEEvPT1_llT2_lT0_lS6_
; %bb.0:
	s_load_dword s0, s[4:5], 0x4c
	s_load_dword s1, s[4:5], 0x38
	v_bfe_u32 v0, v0, 10, 10
	s_waitcnt lgkmcnt(0)
	s_lshr_b32 s0, s0, 16
	s_mul_i32 s7, s7, s0
	v_add_u32_e32 v0, s7, v0
	v_cmp_gt_i32_e32 vcc, s1, v0
	s_and_saveexec_b64 s[0:1], vcc
	s_cbranch_execz .LBB56_2
; %bb.1:
	s_load_dwordx2 s[0:1], s[4:5], 0x30
	s_load_dwordx2 s[2:3], s[4:5], 0x20
	s_load_dword s7, s[4:5], 0x28
	s_load_dwordx8 s[8:15], s[4:5], 0x0
	s_ashr_i32 s4, s6, 31
	s_waitcnt lgkmcnt(0)
	s_mul_i32 s1, s6, s1
	s_mul_hi_u32 s5, s6, s0
	s_add_i32 s1, s5, s1
	s_mul_i32 s5, s4, s0
	s_add_i32 s1, s1, s5
	s_mul_i32 s0, s6, s0
	s_lshl_b64 s[0:1], s[0:1], 2
	s_add_u32 s5, s14, s0
	s_addc_u32 s14, s15, s1
	s_lshl_b64 s[0:1], s[2:3], 2
	s_add_u32 s2, s5, s0
	s_addc_u32 s3, s14, s1
	s_mul_i32 s0, s6, s13
	s_mul_hi_u32 s1, s6, s12
	s_add_i32 s0, s1, s0
	s_mul_i32 s4, s4, s12
	s_add_i32 s1, s0, s4
	s_mul_i32 s0, s6, s12
	s_lshl_b64 s[0:1], s[0:1], 2
	s_add_u32 s4, s8, s0
	s_addc_u32 s5, s9, s1
	s_lshl_b64 s[0:1], s[10:11], 2
	s_add_u32 s4, s4, s0
	s_addc_u32 s5, s5, s1
	v_mad_u64_u32 v[2:3], s[0:1], v0, s7, v[0:1]
	v_ashrrev_i32_e32 v1, 31, v0
	v_lshlrev_b64 v[0:1], 2, v[0:1]
	v_mov_b32_e32 v3, s5
	v_add_co_u32_e32 v0, vcc, s4, v0
	v_addc_co_u32_e32 v1, vcc, v3, v1, vcc
	global_load_dword v4, v[0:1], off
	v_ashrrev_i32_e32 v3, 31, v2
	v_lshlrev_b64 v[0:1], 2, v[2:3]
	v_mov_b32_e32 v2, s3
	v_add_co_u32_e32 v0, vcc, s2, v0
	v_addc_co_u32_e32 v1, vcc, v2, v1, vcc
	s_waitcnt vmcnt(0)
	global_store_dword v[0:1], v4, off
.LBB56_2:
	s_endpgm
	.section	.rodata,"a",@progbits
	.p2align	6, 0x0
	.amdhsa_kernel _ZN9rocsolver6v33100L12restore_diagIfifPfEEvPT1_llT2_lT0_lS6_
		.amdhsa_group_segment_fixed_size 0
		.amdhsa_private_segment_fixed_size 0
		.amdhsa_kernarg_size 320
		.amdhsa_user_sgpr_count 6
		.amdhsa_user_sgpr_private_segment_buffer 1
		.amdhsa_user_sgpr_dispatch_ptr 0
		.amdhsa_user_sgpr_queue_ptr 0
		.amdhsa_user_sgpr_kernarg_segment_ptr 1
		.amdhsa_user_sgpr_dispatch_id 0
		.amdhsa_user_sgpr_flat_scratch_init 0
		.amdhsa_user_sgpr_kernarg_preload_length 0
		.amdhsa_user_sgpr_kernarg_preload_offset 0
		.amdhsa_user_sgpr_private_segment_size 0
		.amdhsa_uses_dynamic_stack 0
		.amdhsa_system_sgpr_private_segment_wavefront_offset 0
		.amdhsa_system_sgpr_workgroup_id_x 1
		.amdhsa_system_sgpr_workgroup_id_y 1
		.amdhsa_system_sgpr_workgroup_id_z 0
		.amdhsa_system_sgpr_workgroup_info 0
		.amdhsa_system_vgpr_workitem_id 1
		.amdhsa_next_free_vgpr 5
		.amdhsa_next_free_sgpr 16
		.amdhsa_accum_offset 8
		.amdhsa_reserve_vcc 1
		.amdhsa_reserve_flat_scratch 0
		.amdhsa_float_round_mode_32 0
		.amdhsa_float_round_mode_16_64 0
		.amdhsa_float_denorm_mode_32 3
		.amdhsa_float_denorm_mode_16_64 3
		.amdhsa_dx10_clamp 1
		.amdhsa_ieee_mode 1
		.amdhsa_fp16_overflow 0
		.amdhsa_tg_split 0
		.amdhsa_exception_fp_ieee_invalid_op 0
		.amdhsa_exception_fp_denorm_src 0
		.amdhsa_exception_fp_ieee_div_zero 0
		.amdhsa_exception_fp_ieee_overflow 0
		.amdhsa_exception_fp_ieee_underflow 0
		.amdhsa_exception_fp_ieee_inexact 0
		.amdhsa_exception_int_div_zero 0
	.end_amdhsa_kernel
	.section	.text._ZN9rocsolver6v33100L12restore_diagIfifPfEEvPT1_llT2_lT0_lS6_,"axG",@progbits,_ZN9rocsolver6v33100L12restore_diagIfifPfEEvPT1_llT2_lT0_lS6_,comdat
.Lfunc_end56:
	.size	_ZN9rocsolver6v33100L12restore_diagIfifPfEEvPT1_llT2_lT0_lS6_, .Lfunc_end56-_ZN9rocsolver6v33100L12restore_diagIfifPfEEvPT1_llT2_lT0_lS6_
                                        ; -- End function
	.section	.AMDGPU.csdata,"",@progbits
; Kernel info:
; codeLenInByte = 268
; NumSgprs: 20
; NumVgprs: 5
; NumAgprs: 0
; TotalNumVgprs: 5
; ScratchSize: 0
; MemoryBound: 0
; FloatMode: 240
; IeeeMode: 1
; LDSByteSize: 0 bytes/workgroup (compile time only)
; SGPRBlocks: 2
; VGPRBlocks: 0
; NumSGPRsForWavesPerEU: 20
; NumVGPRsForWavesPerEU: 5
; AccumOffset: 8
; Occupancy: 8
; WaveLimiterHint : 0
; COMPUTE_PGM_RSRC2:SCRATCH_EN: 0
; COMPUTE_PGM_RSRC2:USER_SGPR: 6
; COMPUTE_PGM_RSRC2:TRAP_HANDLER: 0
; COMPUTE_PGM_RSRC2:TGID_X_EN: 1
; COMPUTE_PGM_RSRC2:TGID_Y_EN: 1
; COMPUTE_PGM_RSRC2:TGID_Z_EN: 0
; COMPUTE_PGM_RSRC2:TIDIG_COMP_CNT: 1
; COMPUTE_PGM_RSRC3_GFX90A:ACCUM_OFFSET: 1
; COMPUTE_PGM_RSRC3_GFX90A:TG_SPLIT: 0
	.section	.text._ZN9rocsolver6v33100L8copy_matIfPfS2_NS0_7no_maskEEEviiT0_iilT1_iilT2_13rocblas_fill_17rocblas_diagonal_,"axG",@progbits,_ZN9rocsolver6v33100L8copy_matIfPfS2_NS0_7no_maskEEEviiT0_iilT1_iilT2_13rocblas_fill_17rocblas_diagonal_,comdat
	.globl	_ZN9rocsolver6v33100L8copy_matIfPfS2_NS0_7no_maskEEEviiT0_iilT1_iilT2_13rocblas_fill_17rocblas_diagonal_ ; -- Begin function _ZN9rocsolver6v33100L8copy_matIfPfS2_NS0_7no_maskEEEviiT0_iilT1_iilT2_13rocblas_fill_17rocblas_diagonal_
	.p2align	8
	.type	_ZN9rocsolver6v33100L8copy_matIfPfS2_NS0_7no_maskEEEviiT0_iilT1_iilT2_13rocblas_fill_17rocblas_diagonal_,@function
_ZN9rocsolver6v33100L8copy_matIfPfS2_NS0_7no_maskEEEviiT0_iilT1_iilT2_13rocblas_fill_17rocblas_diagonal_: ; @_ZN9rocsolver6v33100L8copy_matIfPfS2_NS0_7no_maskEEEviiT0_iilT1_iilT2_13rocblas_fill_17rocblas_diagonal_
; %bb.0:
	s_load_dword s2, s[4:5], 0x54
	s_load_dwordx2 s[0:1], s[4:5], 0x0
	v_bfe_u32 v1, v0, 10, 10
	v_and_b32_e32 v0, 0x3ff, v0
	s_waitcnt lgkmcnt(0)
	s_lshr_b32 s3, s2, 16
	s_and_b32 s2, s2, 0xffff
	s_mul_i32 s7, s7, s3
	s_mul_i32 s6, s6, s2
	v_add_u32_e32 v1, s7, v1
	v_add_u32_e32 v0, s6, v0
	v_cmp_gt_u32_e32 vcc, s0, v0
	v_cmp_gt_u32_e64 s[0:1], s1, v1
	s_and_b64 s[0:1], s[0:1], vcc
	s_and_saveexec_b64 s[2:3], s[0:1]
	s_cbranch_execz .LBB57_14
; %bb.1:
	s_load_dwordx2 s[2:3], s[4:5], 0x3c
	s_waitcnt lgkmcnt(0)
	s_cmpk_lt_i32 s2, 0x7a
	s_cbranch_scc1 .LBB57_4
; %bb.2:
	s_cmpk_gt_i32 s2, 0x7a
	s_cbranch_scc0 .LBB57_5
; %bb.3:
	s_cmpk_lg_i32 s2, 0x7b
	s_mov_b64 s[6:7], -1
	s_cselect_b64 s[10:11], -1, 0
	s_cbranch_execz .LBB57_6
	s_branch .LBB57_7
.LBB57_4:
	s_mov_b64 s[10:11], 0
	s_mov_b64 s[6:7], 0
	s_cbranch_execnz .LBB57_8
	s_branch .LBB57_10
.LBB57_5:
	s_mov_b64 s[6:7], 0
	s_mov_b64 s[10:11], 0
.LBB57_6:
	v_cmp_gt_u32_e32 vcc, v0, v1
	v_cmp_le_u32_e64 s[0:1], v0, v1
	s_andn2_b64 s[6:7], s[6:7], exec
	s_and_b64 s[12:13], vcc, exec
	s_andn2_b64 s[10:11], s[10:11], exec
	s_and_b64 s[0:1], s[0:1], exec
	s_or_b64 s[6:7], s[6:7], s[12:13]
	s_or_b64 s[10:11], s[10:11], s[0:1]
.LBB57_7:
	s_branch .LBB57_10
.LBB57_8:
	s_cmpk_eq_i32 s2, 0x79
	s_mov_b64 s[10:11], -1
	s_cbranch_scc0 .LBB57_10
; %bb.9:
	v_cmp_gt_u32_e32 vcc, v1, v0
	v_cmp_le_u32_e64 s[0:1], v1, v0
	s_andn2_b64 s[6:7], s[6:7], exec
	s_and_b64 s[10:11], vcc, exec
	s_or_b64 s[6:7], s[6:7], s[10:11]
	s_orn2_b64 s[10:11], s[0:1], exec
.LBB57_10:
	s_and_saveexec_b64 s[0:1], s[10:11]
; %bb.11:
	s_cmpk_eq_i32 s3, 0x83
	s_cselect_b64 s[2:3], -1, 0
	v_cmp_eq_u32_e32 vcc, v0, v1
	s_and_b64 s[2:3], s[2:3], vcc
	s_andn2_b64 s[6:7], s[6:7], exec
	s_and_b64 s[2:3], s[2:3], exec
	s_or_b64 s[6:7], s[6:7], s[2:3]
; %bb.12:
	s_or_b64 exec, exec, s[0:1]
	s_and_b64 exec, exec, s[6:7]
	s_cbranch_execz .LBB57_14
; %bb.13:
	s_load_dwordx8 s[12:19], s[4:5], 0x8
	s_waitcnt lgkmcnt(0)
	s_mul_i32 s3, s8, s17
	s_mul_hi_u32 s6, s8, s16
	s_mul_i32 s2, s8, s16
	s_add_i32 s3, s6, s3
	s_ashr_i32 s1, s14, 31
	s_lshl_b64 s[2:3], s[2:3], 2
	s_mov_b32 s0, s14
	s_add_u32 s2, s12, s2
	s_addc_u32 s3, s13, s3
	s_lshl_b64 s[0:1], s[0:1], 2
	s_add_u32 s2, s2, s0
	s_addc_u32 s3, s3, s1
	v_mad_u64_u32 v[2:3], s[0:1], v1, s15, v[0:1]
	v_mov_b32_e32 v3, 0
	v_lshlrev_b64 v[4:5], 2, v[2:3]
	v_mov_b32_e32 v2, s3
	v_add_co_u32_e32 v4, vcc, s2, v4
	v_addc_co_u32_e32 v5, vcc, v2, v5, vcc
	global_load_dword v2, v[4:5], off
	s_load_dwordx4 s[0:3], s[4:5], 0x28
	s_waitcnt lgkmcnt(0)
	s_ashr_i32 s5, s0, 31
	s_mov_b32 s4, s0
	s_mul_i32 s0, s8, s3
	s_mul_hi_u32 s3, s8, s2
	s_add_i32 s3, s3, s0
	s_mul_i32 s2, s8, s2
	s_lshl_b64 s[2:3], s[2:3], 2
	s_add_u32 s0, s18, s2
	s_addc_u32 s6, s19, s3
	s_lshl_b64 s[2:3], s[4:5], 2
	s_add_u32 s2, s0, s2
	v_mad_u64_u32 v[0:1], s[0:1], v1, s1, v[0:1]
	v_mov_b32_e32 v1, v3
	s_addc_u32 s3, s6, s3
	v_lshlrev_b64 v[0:1], 2, v[0:1]
	v_mov_b32_e32 v3, s3
	v_add_co_u32_e32 v0, vcc, s2, v0
	v_addc_co_u32_e32 v1, vcc, v3, v1, vcc
	s_waitcnt vmcnt(0)
	global_store_dword v[0:1], v2, off
.LBB57_14:
	s_endpgm
	.section	.rodata,"a",@progbits
	.p2align	6, 0x0
	.amdhsa_kernel _ZN9rocsolver6v33100L8copy_matIfPfS2_NS0_7no_maskEEEviiT0_iilT1_iilT2_13rocblas_fill_17rocblas_diagonal_
		.amdhsa_group_segment_fixed_size 0
		.amdhsa_private_segment_fixed_size 0
		.amdhsa_kernarg_size 328
		.amdhsa_user_sgpr_count 6
		.amdhsa_user_sgpr_private_segment_buffer 1
		.amdhsa_user_sgpr_dispatch_ptr 0
		.amdhsa_user_sgpr_queue_ptr 0
		.amdhsa_user_sgpr_kernarg_segment_ptr 1
		.amdhsa_user_sgpr_dispatch_id 0
		.amdhsa_user_sgpr_flat_scratch_init 0
		.amdhsa_user_sgpr_kernarg_preload_length 0
		.amdhsa_user_sgpr_kernarg_preload_offset 0
		.amdhsa_user_sgpr_private_segment_size 0
		.amdhsa_uses_dynamic_stack 0
		.amdhsa_system_sgpr_private_segment_wavefront_offset 0
		.amdhsa_system_sgpr_workgroup_id_x 1
		.amdhsa_system_sgpr_workgroup_id_y 1
		.amdhsa_system_sgpr_workgroup_id_z 1
		.amdhsa_system_sgpr_workgroup_info 0
		.amdhsa_system_vgpr_workitem_id 1
		.amdhsa_next_free_vgpr 6
		.amdhsa_next_free_sgpr 20
		.amdhsa_accum_offset 8
		.amdhsa_reserve_vcc 1
		.amdhsa_reserve_flat_scratch 0
		.amdhsa_float_round_mode_32 0
		.amdhsa_float_round_mode_16_64 0
		.amdhsa_float_denorm_mode_32 3
		.amdhsa_float_denorm_mode_16_64 3
		.amdhsa_dx10_clamp 1
		.amdhsa_ieee_mode 1
		.amdhsa_fp16_overflow 0
		.amdhsa_tg_split 0
		.amdhsa_exception_fp_ieee_invalid_op 0
		.amdhsa_exception_fp_denorm_src 0
		.amdhsa_exception_fp_ieee_div_zero 0
		.amdhsa_exception_fp_ieee_overflow 0
		.amdhsa_exception_fp_ieee_underflow 0
		.amdhsa_exception_fp_ieee_inexact 0
		.amdhsa_exception_int_div_zero 0
	.end_amdhsa_kernel
	.section	.text._ZN9rocsolver6v33100L8copy_matIfPfS2_NS0_7no_maskEEEviiT0_iilT1_iilT2_13rocblas_fill_17rocblas_diagonal_,"axG",@progbits,_ZN9rocsolver6v33100L8copy_matIfPfS2_NS0_7no_maskEEEviiT0_iilT1_iilT2_13rocblas_fill_17rocblas_diagonal_,comdat
.Lfunc_end57:
	.size	_ZN9rocsolver6v33100L8copy_matIfPfS2_NS0_7no_maskEEEviiT0_iilT1_iilT2_13rocblas_fill_17rocblas_diagonal_, .Lfunc_end57-_ZN9rocsolver6v33100L8copy_matIfPfS2_NS0_7no_maskEEEviiT0_iilT1_iilT2_13rocblas_fill_17rocblas_diagonal_
                                        ; -- End function
	.section	.AMDGPU.csdata,"",@progbits
; Kernel info:
; codeLenInByte = 492
; NumSgprs: 24
; NumVgprs: 6
; NumAgprs: 0
; TotalNumVgprs: 6
; ScratchSize: 0
; MemoryBound: 0
; FloatMode: 240
; IeeeMode: 1
; LDSByteSize: 0 bytes/workgroup (compile time only)
; SGPRBlocks: 2
; VGPRBlocks: 0
; NumSGPRsForWavesPerEU: 24
; NumVGPRsForWavesPerEU: 6
; AccumOffset: 8
; Occupancy: 8
; WaveLimiterHint : 0
; COMPUTE_PGM_RSRC2:SCRATCH_EN: 0
; COMPUTE_PGM_RSRC2:USER_SGPR: 6
; COMPUTE_PGM_RSRC2:TRAP_HANDLER: 0
; COMPUTE_PGM_RSRC2:TGID_X_EN: 1
; COMPUTE_PGM_RSRC2:TGID_Y_EN: 1
; COMPUTE_PGM_RSRC2:TGID_Z_EN: 1
; COMPUTE_PGM_RSRC2:TIDIG_COMP_CNT: 1
; COMPUTE_PGM_RSRC3_GFX90A:ACCUM_OFFSET: 1
; COMPUTE_PGM_RSRC3_GFX90A:TG_SPLIT: 0
	.section	.text._ZN9rocsolver6v33100L15copyshift_rightIfPfEEvbiT0_iilPT_iil,"axG",@progbits,_ZN9rocsolver6v33100L15copyshift_rightIfPfEEvbiT0_iilPT_iil,comdat
	.globl	_ZN9rocsolver6v33100L15copyshift_rightIfPfEEvbiT0_iilPT_iil ; -- Begin function _ZN9rocsolver6v33100L15copyshift_rightIfPfEEvbiT0_iilPT_iil
	.p2align	8
	.type	_ZN9rocsolver6v33100L15copyshift_rightIfPfEEvbiT0_iilPT_iil,@function
_ZN9rocsolver6v33100L15copyshift_rightIfPfEEvbiT0_iilPT_iil: ; @_ZN9rocsolver6v33100L15copyshift_rightIfPfEEvbiT0_iilPT_iil
; %bb.0:
	s_load_dwordx4 s[12:15], s[4:5], 0x0
	s_load_dwordx4 s[0:3], s[4:5], 0x18
	s_load_dword s9, s[4:5], 0x44
	s_load_dwordx2 s[16:17], s[4:5], 0x10
	v_and_b32_e32 v1, 0x3ff, v0
	s_waitcnt lgkmcnt(0)
	s_bitcmp1_b32 s12, 0
	s_cselect_b64 s[10:11], -1, 0
	s_xor_b64 s[18:19], s[10:11], -1
	s_and_b32 s10, s9, 0xffff
	s_lshr_b32 s9, s9, 16
	s_mul_i32 s7, s7, s9
	s_mul_i32 s1, s8, s1
	s_mul_hi_u32 s9, s8, s0
	v_bfe_u32 v0, v0, 10, 10
	s_add_i32 s1, s9, s1
	s_mul_i32 s0, s8, s0
	s_mul_i32 s6, s6, s10
	v_add_u32_e32 v0, s7, v0
	s_ashr_i32 s7, s16, 31
	s_lshl_b64 s[0:1], s[0:1], 2
	v_add_u32_e32 v2, s6, v1
	s_mov_b32 s6, s16
	s_add_u32 s9, s14, s0
	s_addc_u32 s11, s15, s1
	s_lshl_b64 s[0:1], s[6:7], 2
	v_or_b32_e32 v1, v2, v0
	s_add_u32 s10, s9, s0
	v_cmp_eq_u32_e32 vcc, 0, v1
	s_addc_u32 s11, s11, s1
	s_and_b64 s[6:7], vcc, s[18:19]
	s_and_saveexec_b64 s[0:1], s[6:7]
	s_cbranch_execz .LBB58_2
; %bb.1:
	v_mov_b32_e32 v1, 0
	v_mov_b32_e32 v3, 1.0
	global_store_dword v1, v3, s[10:11]
.LBB58_2:
	s_or_b64 exec, exec, s[0:1]
	v_max_u32_e32 v1, v0, v2
	v_cmp_gt_u32_e32 vcc, s13, v1
	v_cmp_le_u32_e64 s[0:1], v0, v2
	s_and_b64 s[0:1], s[0:1], vcc
	s_and_saveexec_b64 s[6:7], s[0:1]
	s_cbranch_execz .LBB58_13
; %bb.3:
	s_load_dwordx4 s[4:7], s[4:5], 0x28
	s_waitcnt lgkmcnt(0)
	s_ashr_i32 s1, s4, 31
	s_mov_b32 s0, s4
	s_mul_i32 s4, s8, s7
	s_mul_hi_u32 s7, s8, s6
	s_mul_i32 s6, s8, s6
	s_add_i32 s7, s7, s4
	s_lshl_b64 s[6:7], s[6:7], 2
	s_add_u32 s2, s2, s6
	s_addc_u32 s3, s3, s7
	s_lshl_b64 s[0:1], s[0:1], 2
	s_add_u32 s2, s2, s0
	s_addc_u32 s3, s3, s1
	v_mad_u64_u32 v[4:5], s[0:1], v0, v0, v[0:1]
	v_lshrrev_b32_e32 v1, 1, v4
	s_and_b64 vcc, exec, s[18:19]
	s_cbranch_vccz .LBB58_7
; %bb.4:
	v_mad_u64_u32 v[4:5], s[0:1], v0, s5, v[2:3]
	v_sub_u32_e32 v4, v4, v1
	v_mov_b32_e32 v5, 0
	v_lshlrev_b64 v[6:7], 2, v[4:5]
	v_mov_b32_e32 v3, s3
	v_add_co_u32_e32 v6, vcc, s2, v6
	v_addc_co_u32_e32 v7, vcc, v3, v7, vcc
	global_load_dword v6, v[6:7], off
	v_mul_lo_u32 v3, v0, s17
	v_add3_u32 v4, v2, v3, 1
	v_lshlrev_b64 v[4:5], 2, v[4:5]
	v_mov_b32_e32 v7, s11
	v_add_co_u32_e64 v4, s[0:1], s10, v4
	v_addc_co_u32_e64 v5, s[0:1], v7, v5, s[0:1]
	s_mov_b32 s4, 0
	v_cmp_eq_u32_e32 vcc, v2, v0
	s_mov_b64 s[6:7], 0
	s_mov_b64 s[0:1], 0
	s_waitcnt vmcnt(0)
	global_store_dword v[4:5], v6, off
                                        ; implicit-def: $vgpr4
	s_and_saveexec_b64 s[8:9], vcc
	s_xor_b64 s[8:9], exec, s[8:9]
; %bb.5:
	s_mov_b64 s[0:1], exec
	v_add_u32_e32 v4, s17, v3
; %bb.6:
	s_or_b64 exec, exec, s[8:9]
	s_and_b64 vcc, exec, s[6:7]
	v_mov_b32_e32 v3, s4
	s_cbranch_vccnz .LBB58_8
	s_branch .LBB58_11
.LBB58_7:
	s_mov_b64 s[0:1], 0
                                        ; implicit-def: $sgpr4
                                        ; implicit-def: $vgpr4
	v_mov_b32_e32 v3, s4
	s_cbranch_execz .LBB58_11
.LBB58_8:
	v_cmp_ne_u32_e32 vcc, 0, v0
	v_mov_b32_e32 v3, 0
	s_and_saveexec_b64 s[0:1], vcc
	s_cbranch_execz .LBB58_10
; %bb.9:
	v_add_u32_e32 v3, -1, v0
	v_mul_lo_u32 v3, v3, s17
	v_add3_u32 v4, v2, v3, 1
	v_mov_b32_e32 v5, 0
	v_lshlrev_b64 v[4:5], 2, v[4:5]
	v_mov_b32_e32 v3, s11
	v_add_co_u32_e32 v4, vcc, s10, v4
	v_addc_co_u32_e32 v5, vcc, v3, v5, vcc
	global_load_dword v3, v[4:5], off
.LBB58_10:
	s_or_b64 exec, exec, s[0:1]
	s_waitcnt vmcnt(0)
	v_mad_u64_u32 v[4:5], s[0:1], v0, s5, v[2:3]
	v_sub_u32_e32 v4, v4, v1
	s_mov_b64 s[0:1], -1
	s_mov_b64 s[10:11], s[2:3]
.LBB58_11:
	s_and_b64 exec, exec, s[0:1]
	s_cbranch_execz .LBB58_13
; %bb.12:
	v_mov_b32_e32 v5, 0
	v_lshlrev_b64 v[0:1], 2, v[4:5]
	v_mov_b32_e32 v2, s11
	v_add_co_u32_e32 v0, vcc, s10, v0
	v_addc_co_u32_e32 v1, vcc, v2, v1, vcc
	global_store_dword v[0:1], v3, off
.LBB58_13:
	s_endpgm
	.section	.rodata,"a",@progbits
	.p2align	6, 0x0
	.amdhsa_kernel _ZN9rocsolver6v33100L15copyshift_rightIfPfEEvbiT0_iilPT_iil
		.amdhsa_group_segment_fixed_size 0
		.amdhsa_private_segment_fixed_size 0
		.amdhsa_kernarg_size 312
		.amdhsa_user_sgpr_count 6
		.amdhsa_user_sgpr_private_segment_buffer 1
		.amdhsa_user_sgpr_dispatch_ptr 0
		.amdhsa_user_sgpr_queue_ptr 0
		.amdhsa_user_sgpr_kernarg_segment_ptr 1
		.amdhsa_user_sgpr_dispatch_id 0
		.amdhsa_user_sgpr_flat_scratch_init 0
		.amdhsa_user_sgpr_kernarg_preload_length 0
		.amdhsa_user_sgpr_kernarg_preload_offset 0
		.amdhsa_user_sgpr_private_segment_size 0
		.amdhsa_uses_dynamic_stack 0
		.amdhsa_system_sgpr_private_segment_wavefront_offset 0
		.amdhsa_system_sgpr_workgroup_id_x 1
		.amdhsa_system_sgpr_workgroup_id_y 1
		.amdhsa_system_sgpr_workgroup_id_z 1
		.amdhsa_system_sgpr_workgroup_info 0
		.amdhsa_system_vgpr_workitem_id 1
		.amdhsa_next_free_vgpr 8
		.amdhsa_next_free_sgpr 20
		.amdhsa_accum_offset 8
		.amdhsa_reserve_vcc 1
		.amdhsa_reserve_flat_scratch 0
		.amdhsa_float_round_mode_32 0
		.amdhsa_float_round_mode_16_64 0
		.amdhsa_float_denorm_mode_32 3
		.amdhsa_float_denorm_mode_16_64 3
		.amdhsa_dx10_clamp 1
		.amdhsa_ieee_mode 1
		.amdhsa_fp16_overflow 0
		.amdhsa_tg_split 0
		.amdhsa_exception_fp_ieee_invalid_op 0
		.amdhsa_exception_fp_denorm_src 0
		.amdhsa_exception_fp_ieee_div_zero 0
		.amdhsa_exception_fp_ieee_overflow 0
		.amdhsa_exception_fp_ieee_underflow 0
		.amdhsa_exception_fp_ieee_inexact 0
		.amdhsa_exception_int_div_zero 0
	.end_amdhsa_kernel
	.section	.text._ZN9rocsolver6v33100L15copyshift_rightIfPfEEvbiT0_iilPT_iil,"axG",@progbits,_ZN9rocsolver6v33100L15copyshift_rightIfPfEEvbiT0_iilPT_iil,comdat
.Lfunc_end58:
	.size	_ZN9rocsolver6v33100L15copyshift_rightIfPfEEvbiT0_iilPT_iil, .Lfunc_end58-_ZN9rocsolver6v33100L15copyshift_rightIfPfEEvbiT0_iilPT_iil
                                        ; -- End function
	.section	.AMDGPU.csdata,"",@progbits
; Kernel info:
; codeLenInByte = 592
; NumSgprs: 24
; NumVgprs: 8
; NumAgprs: 0
; TotalNumVgprs: 8
; ScratchSize: 0
; MemoryBound: 0
; FloatMode: 240
; IeeeMode: 1
; LDSByteSize: 0 bytes/workgroup (compile time only)
; SGPRBlocks: 2
; VGPRBlocks: 0
; NumSGPRsForWavesPerEU: 24
; NumVGPRsForWavesPerEU: 8
; AccumOffset: 8
; Occupancy: 8
; WaveLimiterHint : 0
; COMPUTE_PGM_RSRC2:SCRATCH_EN: 0
; COMPUTE_PGM_RSRC2:USER_SGPR: 6
; COMPUTE_PGM_RSRC2:TRAP_HANDLER: 0
; COMPUTE_PGM_RSRC2:TGID_X_EN: 1
; COMPUTE_PGM_RSRC2:TGID_Y_EN: 1
; COMPUTE_PGM_RSRC2:TGID_Z_EN: 1
; COMPUTE_PGM_RSRC2:TIDIG_COMP_CNT: 1
; COMPUTE_PGM_RSRC3_GFX90A:ACCUM_OFFSET: 1
; COMPUTE_PGM_RSRC3_GFX90A:TG_SPLIT: 0
	.section	.text._ZN9rocsolver6v33100L14copyshift_downIfPfEEvbiT0_iilPT_iil,"axG",@progbits,_ZN9rocsolver6v33100L14copyshift_downIfPfEEvbiT0_iilPT_iil,comdat
	.globl	_ZN9rocsolver6v33100L14copyshift_downIfPfEEvbiT0_iilPT_iil ; -- Begin function _ZN9rocsolver6v33100L14copyshift_downIfPfEEvbiT0_iilPT_iil
	.p2align	8
	.type	_ZN9rocsolver6v33100L14copyshift_downIfPfEEvbiT0_iilPT_iil,@function
_ZN9rocsolver6v33100L14copyshift_downIfPfEEvbiT0_iilPT_iil: ; @_ZN9rocsolver6v33100L14copyshift_downIfPfEEvbiT0_iilPT_iil
; %bb.0:
	s_load_dwordx4 s[12:15], s[4:5], 0x0
	s_load_dwordx4 s[0:3], s[4:5], 0x18
	s_load_dword s9, s[4:5], 0x44
	s_load_dwordx2 s[10:11], s[4:5], 0x10
	v_and_b32_e32 v1, 0x3ff, v0
	s_waitcnt lgkmcnt(0)
	s_bitcmp1_b32 s12, 0
	s_cselect_b64 s[16:17], -1, 0
	s_and_b32 s12, s9, 0xffff
	s_lshr_b32 s9, s9, 16
	s_mul_i32 s7, s7, s9
	s_mul_i32 s1, s8, s1
	s_mul_hi_u32 s9, s8, s0
	v_bfe_u32 v0, v0, 10, 10
	s_add_i32 s1, s9, s1
	s_mul_i32 s0, s8, s0
	s_xor_b64 s[16:17], s[16:17], -1
	s_mul_i32 s6, s6, s12
	v_add_u32_e32 v3, s7, v0
	s_ashr_i32 s7, s10, 31
	s_lshl_b64 s[0:1], s[0:1], 2
	v_add_u32_e32 v2, s6, v1
	s_mov_b32 s6, s10
	s_add_u32 s9, s14, s0
	s_addc_u32 s10, s15, s1
	s_lshl_b64 s[0:1], s[6:7], 2
	v_or_b32_e32 v0, v2, v3
	s_add_u32 s6, s9, s0
	v_cmp_eq_u32_e32 vcc, 0, v0
	s_addc_u32 s7, s10, s1
	s_and_b64 s[14:15], vcc, s[16:17]
	s_and_saveexec_b64 s[0:1], s[14:15]
	s_cbranch_execz .LBB59_2
; %bb.1:
	v_mov_b32_e32 v0, 0
	v_mov_b32_e32 v1, 1.0
	global_store_dword v0, v1, s[6:7]
.LBB59_2:
	s_or_b64 exec, exec, s[0:1]
	v_max_u32_e32 v0, v3, v2
	v_cmp_gt_u32_e32 vcc, s13, v0
	v_cmp_le_u32_e64 s[0:1], v2, v3
	s_and_b64 s[0:1], s[0:1], vcc
	s_and_saveexec_b64 s[12:13], s[0:1]
	s_cbranch_execz .LBB59_11
; %bb.3:
	s_load_dword s0, s[4:5], 0x28
	s_load_dwordx2 s[12:13], s[4:5], 0x30
	v_add_u32_e32 v0, 1, v3
	v_mul_lo_u32 v1, v0, v3
	v_lshrrev_b32_e32 v4, 1, v1
	s_waitcnt lgkmcnt(0)
	s_ashr_i32 s1, s0, 31
	s_mul_i32 s5, s8, s13
	s_mul_hi_u32 s9, s8, s12
	s_mul_i32 s4, s8, s12
	s_add_i32 s5, s9, s5
	s_lshl_b64 s[4:5], s[4:5], 2
	s_add_u32 s2, s2, s4
	s_addc_u32 s3, s3, s5
	s_lshl_b64 s[0:1], s[0:1], 2
	s_add_u32 s2, s2, s0
	s_addc_u32 s3, s3, s1
	s_and_b64 vcc, exec, s[16:17]
	v_add_u32_e32 v1, v2, v4
	s_cbranch_vccz .LBB59_5
; %bb.4:
	v_add_u32_e32 v4, v2, v4
	v_mov_b32_e32 v5, 0
	v_lshlrev_b64 v[6:7], 2, v[4:5]
	v_mov_b32_e32 v4, s3
	v_add_co_u32_e32 v6, vcc, s2, v6
	v_addc_co_u32_e32 v7, vcc, v4, v7, vcc
	global_load_dword v8, v[6:7], off
	v_mad_u64_u32 v[6:7], s[0:1], v0, s11, v[2:3]
	v_mov_b32_e32 v7, v5
	v_lshlrev_b64 v[4:5], 2, v[6:7]
	v_mov_b32_e32 v9, s7
	v_add_co_u32_e64 v4, s[0:1], s6, v4
	v_cmp_eq_u32_e32 vcc, v2, v3
	v_addc_co_u32_e64 v5, s[0:1], v9, v5, s[0:1]
	s_mov_b32 s8, 0
	s_and_b64 s[0:1], vcc, exec
	s_waitcnt vmcnt(0)
	global_store_dword v[4:5], v8, off
	v_mov_b32_e32 v3, s8
	s_cbranch_execz .LBB59_6
	s_branch .LBB59_9
.LBB59_5:
	s_mov_b64 s[0:1], 0
                                        ; implicit-def: $sgpr8
	v_mov_b32_e32 v3, s8
.LBB59_6:
	v_cmp_ne_u32_e32 vcc, 0, v2
	v_mov_b32_e32 v3, 0
	s_and_saveexec_b64 s[0:1], vcc
	s_cbranch_execz .LBB59_8
; %bb.7:
	v_mul_lo_u32 v0, v0, s11
	v_add3_u32 v2, v2, v0, -1
	v_mov_b32_e32 v3, 0
	v_lshlrev_b64 v[2:3], 2, v[2:3]
	v_mov_b32_e32 v0, s7
	v_add_co_u32_e32 v2, vcc, s6, v2
	v_addc_co_u32_e32 v3, vcc, v0, v3, vcc
	global_load_dword v3, v[2:3], off
.LBB59_8:
	s_or_b64 exec, exec, s[0:1]
	s_mov_b64 s[0:1], -1
	s_mov_b64 s[6:7], s[2:3]
	v_mov_b32_e32 v0, v1
.LBB59_9:
	s_and_b64 exec, exec, s[0:1]
	s_cbranch_execz .LBB59_11
; %bb.10:
	v_mov_b32_e32 v1, 0
	v_lshlrev_b64 v[0:1], 2, v[0:1]
	v_mov_b32_e32 v2, s7
	v_add_co_u32_e32 v0, vcc, s6, v0
	v_addc_co_u32_e32 v1, vcc, v2, v1, vcc
	s_waitcnt vmcnt(0)
	global_store_dword v[0:1], v3, off
.LBB59_11:
	s_endpgm
	.section	.rodata,"a",@progbits
	.p2align	6, 0x0
	.amdhsa_kernel _ZN9rocsolver6v33100L14copyshift_downIfPfEEvbiT0_iilPT_iil
		.amdhsa_group_segment_fixed_size 0
		.amdhsa_private_segment_fixed_size 0
		.amdhsa_kernarg_size 312
		.amdhsa_user_sgpr_count 6
		.amdhsa_user_sgpr_private_segment_buffer 1
		.amdhsa_user_sgpr_dispatch_ptr 0
		.amdhsa_user_sgpr_queue_ptr 0
		.amdhsa_user_sgpr_kernarg_segment_ptr 1
		.amdhsa_user_sgpr_dispatch_id 0
		.amdhsa_user_sgpr_flat_scratch_init 0
		.amdhsa_user_sgpr_kernarg_preload_length 0
		.amdhsa_user_sgpr_kernarg_preload_offset 0
		.amdhsa_user_sgpr_private_segment_size 0
		.amdhsa_uses_dynamic_stack 0
		.amdhsa_system_sgpr_private_segment_wavefront_offset 0
		.amdhsa_system_sgpr_workgroup_id_x 1
		.amdhsa_system_sgpr_workgroup_id_y 1
		.amdhsa_system_sgpr_workgroup_id_z 1
		.amdhsa_system_sgpr_workgroup_info 0
		.amdhsa_system_vgpr_workitem_id 1
		.amdhsa_next_free_vgpr 10
		.amdhsa_next_free_sgpr 18
		.amdhsa_accum_offset 12
		.amdhsa_reserve_vcc 1
		.amdhsa_reserve_flat_scratch 0
		.amdhsa_float_round_mode_32 0
		.amdhsa_float_round_mode_16_64 0
		.amdhsa_float_denorm_mode_32 3
		.amdhsa_float_denorm_mode_16_64 3
		.amdhsa_dx10_clamp 1
		.amdhsa_ieee_mode 1
		.amdhsa_fp16_overflow 0
		.amdhsa_tg_split 0
		.amdhsa_exception_fp_ieee_invalid_op 0
		.amdhsa_exception_fp_denorm_src 0
		.amdhsa_exception_fp_ieee_div_zero 0
		.amdhsa_exception_fp_ieee_overflow 0
		.amdhsa_exception_fp_ieee_underflow 0
		.amdhsa_exception_fp_ieee_inexact 0
		.amdhsa_exception_int_div_zero 0
	.end_amdhsa_kernel
	.section	.text._ZN9rocsolver6v33100L14copyshift_downIfPfEEvbiT0_iilPT_iil,"axG",@progbits,_ZN9rocsolver6v33100L14copyshift_downIfPfEEvbiT0_iilPT_iil,comdat
.Lfunc_end59:
	.size	_ZN9rocsolver6v33100L14copyshift_downIfPfEEvbiT0_iilPT_iil, .Lfunc_end59-_ZN9rocsolver6v33100L14copyshift_downIfPfEEvbiT0_iilPT_iil
                                        ; -- End function
	.section	.AMDGPU.csdata,"",@progbits
; Kernel info:
; codeLenInByte = 548
; NumSgprs: 22
; NumVgprs: 10
; NumAgprs: 0
; TotalNumVgprs: 10
; ScratchSize: 0
; MemoryBound: 0
; FloatMode: 240
; IeeeMode: 1
; LDSByteSize: 0 bytes/workgroup (compile time only)
; SGPRBlocks: 2
; VGPRBlocks: 1
; NumSGPRsForWavesPerEU: 22
; NumVGPRsForWavesPerEU: 10
; AccumOffset: 12
; Occupancy: 8
; WaveLimiterHint : 0
; COMPUTE_PGM_RSRC2:SCRATCH_EN: 0
; COMPUTE_PGM_RSRC2:USER_SGPR: 6
; COMPUTE_PGM_RSRC2:TRAP_HANDLER: 0
; COMPUTE_PGM_RSRC2:TGID_X_EN: 1
; COMPUTE_PGM_RSRC2:TGID_Y_EN: 1
; COMPUTE_PGM_RSRC2:TGID_Z_EN: 1
; COMPUTE_PGM_RSRC2:TIDIG_COMP_CNT: 1
; COMPUTE_PGM_RSRC3_GFX90A:ACCUM_OFFSET: 2
; COMPUTE_PGM_RSRC3_GFX90A:TG_SPLIT: 0
	.section	.text._ZN9rocsolver6v33100L17bdsqr_lower2upperIffPfS2_EEviiiPT0_lS4_lT1_iilT2_iilPiS4_lS7_,"axG",@progbits,_ZN9rocsolver6v33100L17bdsqr_lower2upperIffPfS2_EEviiiPT0_lS4_lT1_iilT2_iilPiS4_lS7_,comdat
	.globl	_ZN9rocsolver6v33100L17bdsqr_lower2upperIffPfS2_EEviiiPT0_lS4_lT1_iilT2_iilPiS4_lS7_ ; -- Begin function _ZN9rocsolver6v33100L17bdsqr_lower2upperIffPfS2_EEviiiPT0_lS4_lT1_iilT2_iilPiS4_lS7_
	.p2align	8
	.type	_ZN9rocsolver6v33100L17bdsqr_lower2upperIffPfS2_EEviiiPT0_lS4_lT1_iilT2_iilPiS4_lS7_,@function
_ZN9rocsolver6v33100L17bdsqr_lower2upperIffPfS2_EEviiiPT0_lS4_lT1_iilT2_iilPiS4_lS7_: ; @_ZN9rocsolver6v33100L17bdsqr_lower2upperIffPfS2_EEviiiPT0_lS4_lT1_iilT2_iilPiS4_lS7_
; %bb.0:
	s_load_dwordx2 s[0:1], s[4:5], 0x78
	s_mov_b32 s28, s7
	s_ashr_i32 s29, s7, 31
	s_lshl_b64 s[2:3], s[28:29], 2
	s_waitcnt lgkmcnt(0)
	s_add_u32 s0, s0, s2
	s_addc_u32 s1, s1, s3
	s_load_dword s0, s[0:1], 0x8
	s_waitcnt lgkmcnt(0)
	s_cmp_lg_u32 s0, 0
	s_cbranch_scc1 .LBB60_34
; %bb.1:
	s_load_dwordx8 s[8:15], s[4:5], 0x30
	s_load_dwordx4 s[0:3], s[4:5], 0x68
	s_mov_b64 s[6:7], 0
	s_mov_b64 s[24:25], 0
	s_waitcnt lgkmcnt(0)
	s_cmp_eq_u64 s[8:9], 0
	s_cbranch_scc1 .LBB60_3
; %bb.2:
	s_ashr_i32 s17, s10, 31
	s_mov_b32 s16, s10
	s_mul_i32 s10, s28, s13
	s_mul_hi_u32 s13, s28, s12
	s_add_i32 s10, s13, s10
	s_mul_i32 s13, s29, s12
	s_add_i32 s13, s10, s13
	s_mul_i32 s12, s28, s12
	s_lshl_b64 s[12:13], s[12:13], 2
	s_add_u32 s10, s8, s12
	s_addc_u32 s12, s9, s13
	s_lshl_b64 s[8:9], s[16:17], 2
	s_add_u32 s24, s10, s8
	s_addc_u32 s25, s12, s9
.LBB60_3:
	s_load_dwordx2 s[8:9], s[4:5], 0x50
	s_cmp_eq_u64 s[14:15], 0
	s_cbranch_scc1 .LBB60_5
; %bb.4:
	s_load_dwordx2 s[6:7], s[4:5], 0x58
	s_waitcnt lgkmcnt(0)
	s_ashr_i32 s13, s8, 31
	s_mov_b32 s12, s8
	s_mul_i32 s7, s28, s7
	s_mul_hi_u32 s8, s28, s6
	s_mul_i32 s10, s29, s6
	s_add_i32 s7, s8, s7
	s_add_i32 s7, s7, s10
	s_mul_i32 s6, s28, s6
	s_lshl_b64 s[6:7], s[6:7], 2
	s_add_u32 s8, s14, s6
	s_addc_u32 s10, s15, s7
	s_lshl_b64 s[6:7], s[12:13], 2
	s_add_u32 s6, s8, s6
	s_addc_u32 s7, s10, s7
.LBB60_5:
	s_mul_i32 s3, s28, s3
	s_waitcnt lgkmcnt(0)
	s_mul_hi_u32 s8, s28, s2
	s_load_dwordx4 s[20:23], s[4:5], 0x0
	s_add_i32 s3, s8, s3
	s_mul_i32 s8, s29, s2
	s_add_i32 s3, s3, s8
	s_mul_i32 s2, s28, s2
	s_lshl_b64 s[2:3], s[2:3], 2
	s_add_u32 s8, s0, s2
	s_waitcnt lgkmcnt(0)
	s_addc_u32 s23, s1, s3
	v_cmp_eq_u32_e32 vcc, 0, v0
	s_and_saveexec_b64 s[2:3], vcc
	s_cbranch_execz .LBB60_22
; %bb.6:
	s_load_dwordx8 s[12:19], s[4:5], 0x10
	s_waitcnt lgkmcnt(0)
	s_mul_i32 s0, s28, s15
	s_mul_hi_u32 s1, s28, s14
	s_mul_i32 s10, s29, s14
	s_add_i32 s0, s1, s0
	s_add_i32 s1, s0, s10
	s_mul_i32 s0, s28, s14
	s_lshl_b64 s[0:1], s[0:1], 2
	s_add_u32 s14, s12, s0
	s_addc_u32 s15, s13, s1
	s_load_dword s10, s[14:15], 0x0
	s_add_i32 s26, s20, -1
	s_cmp_lt_i32 s20, 2
	s_waitcnt lgkmcnt(0)
	v_mov_b32_e32 v3, s10
	s_cbranch_scc1 .LBB60_21
; %bb.7:
	s_mul_i32 s19, s28, s19
	s_mul_hi_u32 s27, s28, s18
	s_add_i32 s19, s27, s19
	s_mul_i32 s27, s29, s18
	s_add_i32 s19, s19, s27
	s_mul_i32 s18, s28, s18
	s_lshl_b64 s[18:19], s[18:19], 2
	s_add_u32 s30, s18, s16
	s_addc_u32 s31, s19, s17
	s_or_b32 s18, s22, s21
	s_cmp_lg_u32 s18, 0
	s_cselect_b64 s[18:19], -1, 0
	s_add_u32 s28, s8, 16
	s_addc_u32 s29, s23, 0
	s_load_dword s16, s[30:31], 0x0
	s_add_u32 s0, s0, s12
	s_addc_u32 s1, s1, s13
	s_add_u32 s12, s0, 4
	s_addc_u32 s13, s1, 0
	s_add_u32 s30, s30, 4
	s_mov_b32 s17, 0
	s_addc_u32 s31, s31, 0
	v_mov_b32_e32 v3, s10
	s_waitcnt lgkmcnt(0)
	v_mov_b32_e32 v4, s16
	s_mov_b32 s10, 0xf800000
	v_mov_b32_e32 v1, 0x260
	v_mov_b32_e32 v2, 0
	s_mov_b64 s[34:35], s[28:29]
	s_mov_b32 s27, 0
	s_branch .LBB60_9
.LBB60_8:                               ;   in Loop: Header=BB60_9 Depth=1
	s_add_i32 s27, s27, 1
	s_add_u32 s34, s34, 4
	s_addc_u32 s35, s35, 0
	s_add_u32 s12, s12, 4
	s_addc_u32 s13, s13, 0
	;; [unrolled: 2-line block ×3, first 2 shown]
	s_cmp_lg_u32 s26, s27
	s_waitcnt vmcnt(0)
	v_mul_f32_e32 v3, v5, v3
	s_cbranch_scc0 .LBB60_21
.LBB60_9:                               ; =>This Inner Loop Header: Depth=1
	v_cmp_eq_f32_e32 vcc, 0, v4
	s_cbranch_vccnz .LBB60_13
; %bb.10:                               ;   in Loop: Header=BB60_9 Depth=1
	v_cmp_neq_f32_e32 vcc, 0, v3
	s_cbranch_vccz .LBB60_14
; %bb.11:                               ;   in Loop: Header=BB60_9 Depth=1
	v_cmp_ngt_f32_e64 s[0:1], |v4|, |v3|
	s_and_b64 vcc, exec, s[0:1]
	s_cbranch_vccz .LBB60_15
; %bb.12:                               ;   in Loop: Header=BB60_9 Depth=1
	v_div_scale_f32 v5, s[0:1], v3, v3, -v4
	v_rcp_f32_e32 v6, v5
	v_div_scale_f32 v7, vcc, -v4, v3, -v4
	v_fma_f32 v8, -v5, v6, 1.0
	v_fmac_f32_e32 v6, v8, v6
	v_mul_f32_e32 v8, v7, v6
	v_fma_f32 v9, -v5, v8, v7
	v_fmac_f32_e32 v8, v9, v6
	v_fma_f32 v5, -v5, v8, v7
	v_div_fmas_f32 v5, v5, v6, v8
	v_div_fixup_f32 v6, v5, v3, -v4
	v_fma_f32 v5, v6, v6, 1.0
	v_mul_f32_e32 v7, 0x4f800000, v5
	v_cmp_gt_f32_e32 vcc, s10, v5
	v_cndmask_b32_e32 v5, v5, v7, vcc
	v_sqrt_f32_e32 v7, v5
	v_add_u32_e32 v8, -1, v7
	v_fma_f32 v9, -v8, v7, v5
	v_cmp_ge_f32_e64 s[0:1], 0, v9
	v_add_u32_e32 v9, 1, v7
	v_cndmask_b32_e64 v8, v7, v8, s[0:1]
	v_fma_f32 v7, -v9, v7, v5
	v_cmp_lt_f32_e64 s[0:1], 0, v7
	v_cndmask_b32_e64 v7, v8, v9, s[0:1]
	v_mul_f32_e32 v8, 0x37800000, v7
	v_cndmask_b32_e32 v7, v7, v8, vcc
	v_cmp_class_f32_e32 vcc, v5, v1
	v_cndmask_b32_e32 v5, v7, v5, vcc
	v_div_scale_f32 v7, s[0:1], v5, v5, 1.0
	v_rcp_f32_e32 v8, v7
	v_fma_f32 v9, -v7, v8, 1.0
	v_fmac_f32_e32 v8, v9, v8
	v_div_scale_f32 v9, vcc, 1.0, v5, 1.0
	v_mul_f32_e32 v10, v9, v8
	v_fma_f32 v11, -v7, v10, v9
	v_fmac_f32_e32 v10, v11, v8
	v_fma_f32 v7, -v7, v10, v9
	v_div_fmas_f32 v7, v7, v8, v10
	v_div_fixup_f32 v5, v7, v5, 1.0
	v_mul_f32_e32 v6, v6, v5
	s_cbranch_execz .LBB60_16
	s_branch .LBB60_17
.LBB60_13:                              ;   in Loop: Header=BB60_9 Depth=1
	v_mov_b32_e32 v5, 1.0
	v_mov_b32_e32 v6, 0
	s_branch .LBB60_19
.LBB60_14:                              ;   in Loop: Header=BB60_9 Depth=1
                                        ; implicit-def: $vgpr3
                                        ; implicit-def: $vgpr6
                                        ; implicit-def: $vgpr5
	s_cbranch_execnz .LBB60_18
	s_branch .LBB60_19
.LBB60_15:                              ;   in Loop: Header=BB60_9 Depth=1
                                        ; implicit-def: $vgpr6
                                        ; implicit-def: $vgpr5
.LBB60_16:                              ;   in Loop: Header=BB60_9 Depth=1
	v_div_scale_f32 v5, s[0:1], v4, v4, -v3
	v_rcp_f32_e32 v6, v5
	v_div_scale_f32 v7, vcc, -v3, v4, -v3
	v_fma_f32 v8, -v5, v6, 1.0
	v_fmac_f32_e32 v6, v8, v6
	v_mul_f32_e32 v8, v7, v6
	v_fma_f32 v9, -v5, v8, v7
	v_fmac_f32_e32 v8, v9, v6
	v_fma_f32 v5, -v5, v8, v7
	v_div_fmas_f32 v5, v5, v6, v8
	v_div_fixup_f32 v5, v5, v4, -v3
	v_fma_f32 v6, v5, v5, 1.0
	v_mul_f32_e32 v7, 0x4f800000, v6
	v_cmp_gt_f32_e32 vcc, s10, v6
	v_cndmask_b32_e32 v6, v6, v7, vcc
	v_sqrt_f32_e32 v7, v6
	v_add_u32_e32 v8, -1, v7
	v_fma_f32 v9, -v8, v7, v6
	v_cmp_ge_f32_e64 s[0:1], 0, v9
	v_add_u32_e32 v9, 1, v7
	v_cndmask_b32_e64 v8, v7, v8, s[0:1]
	v_fma_f32 v7, -v9, v7, v6
	v_cmp_lt_f32_e64 s[0:1], 0, v7
	v_cndmask_b32_e64 v7, v8, v9, s[0:1]
	v_mul_f32_e32 v8, 0x37800000, v7
	v_cndmask_b32_e32 v7, v7, v8, vcc
	v_cmp_class_f32_e32 vcc, v6, v1
	v_cndmask_b32_e32 v6, v7, v6, vcc
	v_div_scale_f32 v7, s[0:1], v6, v6, 1.0
	v_rcp_f32_e32 v8, v7
	v_fma_f32 v9, -v7, v8, 1.0
	v_fmac_f32_e32 v8, v9, v8
	v_div_scale_f32 v9, vcc, 1.0, v6, 1.0
	v_mul_f32_e32 v10, v9, v8
	v_fma_f32 v11, -v7, v10, v9
	v_fmac_f32_e32 v10, v11, v8
	v_fma_f32 v7, -v7, v10, v9
	v_div_fmas_f32 v7, v7, v8, v10
	v_div_fixup_f32 v6, v7, v6, 1.0
	v_mul_f32_e32 v5, v5, v6
.LBB60_17:                              ;   in Loop: Header=BB60_9 Depth=1
	v_mul_f32_e32 v7, v4, v6
	v_fma_f32 v3, v3, v5, -v7
	s_branch .LBB60_19
.LBB60_18:                              ;   in Loop: Header=BB60_9 Depth=1
	v_xor_b32_e32 v3, 0x80000000, v4
	v_mov_b32_e32 v5, 0
	v_mov_b32_e32 v6, 1.0
.LBB60_19:                              ;   in Loop: Header=BB60_9 Depth=1
	global_load_dword v7, v2, s[12:13]
	s_andn2_b64 vcc, exec, s[18:19]
	global_store_dword v2, v3, s[12:13] offset:-4
	global_load_dword v4, v2, s[30:31]
	s_waitcnt vmcnt(2)
	v_mul_f32_e64 v3, v7, -v6
	global_store_dword v2, v3, s[30:31] offset:-4
	global_load_dword v3, v2, s[12:13]
	s_cbranch_vccnz .LBB60_8
; %bb.20:                               ;   in Loop: Header=BB60_9 Depth=1
	s_add_i32 s16, s20, s27
	s_lshl_b64 s[0:1], s[16:17], 2
	s_add_u32 s0, s28, s0
	s_addc_u32 s1, s29, s1
	global_store_dword v2, v5, s[34:35]
	global_store_dword v2, v6, s[0:1]
	s_branch .LBB60_8
.LBB60_21:
	s_ashr_i32 s27, s26, 31
	s_lshl_b64 s[0:1], s[26:27], 2
	s_add_u32 s0, s14, s0
	s_addc_u32 s1, s15, s1
	v_mov_b32_e32 v1, 0
	global_store_dword v1, v3, s[0:1]
.LBB60_22:
	s_or_b64 exec, exec, s[2:3]
	v_cmp_gt_i32_e32 vcc, s21, v0
	s_barrier
	s_and_saveexec_b64 s[2:3], vcc
	s_cbranch_execz .LBB60_28
; %bb.23:
	s_load_dword s10, s[4:5], 0x8c
	s_add_i32 s28, s20, -1
	s_cmp_gt_i32 s20, 1
	s_cselect_b64 s[0:1], -1, 0
	s_mul_i32 s18, s28, s11
	s_waitcnt lgkmcnt(0)
	s_and_b32 s29, s10, 0xffff
	s_add_u32 s12, s8, 16
	s_addc_u32 s13, s23, 0
	s_ashr_i32 s19, s18, 31
	s_ashr_i32 s15, s11, 31
	s_mov_b32 s14, s11
	s_lshl_b64 s[10:11], s[14:15], 2
	s_mov_b32 s15, 0
	s_mov_b32 s14, s20
	v_cndmask_b32_e64 v2, 0, 1, s[0:1]
	s_lshl_b64 s[18:19], s[18:19], 2
	s_lshl_b64 s[14:15], s[14:15], 2
	s_mov_b64 s[16:17], 0
	v_mov_b32_e32 v1, s25
	v_cmp_ne_u32_e64 s[0:1], 1, v2
	v_mov_b32_e32 v8, 0
	v_mov_b32_e32 v9, s19
	;; [unrolled: 1-line block ×3, first 2 shown]
	s_branch .LBB60_25
.LBB60_24:                              ;   in Loop: Header=BB60_25 Depth=1
	v_add_co_u32_e32 v4, vcc, s18, v4
	v_addc_co_u32_e32 v5, vcc, v5, v9, vcc
	v_add_u32_e32 v2, s29, v2
	v_cmp_le_i32_e32 vcc, s21, v2
	s_or_b64 s[16:17], vcc, s[16:17]
	s_waitcnt vmcnt(0) lgkmcnt(0)
	flat_store_dword v[4:5], v3
	s_andn2_b64 exec, exec, s[16:17]
	s_cbranch_execz .LBB60_28
.LBB60_25:                              ; =>This Loop Header: Depth=1
                                        ;     Child Loop BB60_27 Depth 2
	v_ashrrev_i32_e32 v3, 31, v2
	v_lshlrev_b64 v[4:5], 2, v[2:3]
	v_add_co_u32_e32 v4, vcc, s24, v4
	v_addc_co_u32_e32 v5, vcc, v1, v5, vcc
	flat_load_dword v3, v[4:5]
	s_and_b64 vcc, exec, s[0:1]
	s_cbranch_vccnz .LBB60_24
; %bb.26:                               ;   in Loop: Header=BB60_25 Depth=1
	s_mov_b32 s19, s28
	s_mov_b64 s[26:27], s[12:13]
	v_pk_mov_b32 v[6:7], v[4:5], v[4:5] op_sel:[0,1]
.LBB60_27:                              ;   Parent Loop BB60_25 Depth=1
                                        ; =>  This Inner Loop Header: Depth=2
	v_mov_b32_e32 v11, s11
	v_add_co_u32_e32 v10, vcc, s10, v6
	v_addc_co_u32_e32 v11, vcc, v7, v11, vcc
	s_add_u32 s30, s26, s14
	flat_load_dword v12, v[10:11]
	s_addc_u32 s31, s27, s15
	global_load_dword v13, v8, s[30:31]
	global_load_dword v14, v8, s[26:27]
	s_add_u32 s26, s26, 4
	s_addc_u32 s27, s27, 0
	s_add_i32 s19, s19, -1
	s_cmp_lg_u32 s19, 0
	s_waitcnt vmcnt(0) lgkmcnt(0)
	v_mul_f32_e32 v15, v12, v13
	v_fma_f32 v15, v3, v14, -v15
	v_mul_f32_e32 v3, v3, v13
	flat_store_dword v[6:7], v15
	v_fmac_f32_e32 v3, v12, v14
	v_pk_mov_b32 v[6:7], v[10:11], v[10:11] op_sel:[0,1]
	s_cbranch_scc1 .LBB60_27
	s_branch .LBB60_24
.LBB60_28:
	s_or_b64 exec, exec, s[2:3]
	v_cmp_gt_i32_e32 vcc, s22, v0
	s_and_saveexec_b64 s[0:1], vcc
	s_cbranch_execz .LBB60_34
; %bb.29:
	s_load_dword s3, s[4:5], 0x8c
	s_add_i32 s2, s20, -1
	s_cmp_gt_i32 s20, 1
	s_cselect_b64 s[0:1], -1, 0
	s_mov_b32 s21, 0
	s_waitcnt lgkmcnt(0)
	s_and_b32 s18, s3, 0xffff
	s_add_u32 s4, s8, 16
	s_addc_u32 s5, s23, 0
	s_ashr_i32 s3, s2, 31
	v_cndmask_b32_e64 v3, 0, 1, s[0:1]
	s_lshl_b64 s[14:15], s[2:3], 2
	v_mul_lo_u32 v2, v0, s9
	s_mul_i32 s8, s9, s18
	s_lshl_b64 s[10:11], s[20:21], 2
	s_mov_b64 s[12:13], 0
	v_mov_b32_e32 v1, s7
	v_cmp_ne_u32_e64 s[0:1], 1, v3
	v_mov_b32_e32 v8, 0
	v_mov_b32_e32 v9, s15
	s_branch .LBB60_31
.LBB60_30:                              ;   in Loop: Header=BB60_31 Depth=1
	v_add_co_u32_e32 v4, vcc, s14, v4
	v_addc_co_u32_e32 v5, vcc, v5, v9, vcc
	v_add_u32_e32 v0, s18, v0
	v_cmp_le_i32_e32 vcc, s22, v0
	s_or_b64 s[12:13], vcc, s[12:13]
	v_add_u32_e32 v2, s8, v2
	s_waitcnt vmcnt(0) lgkmcnt(0)
	flat_store_dword v[4:5], v10
	s_andn2_b64 exec, exec, s[12:13]
	s_cbranch_execz .LBB60_34
.LBB60_31:                              ; =>This Loop Header: Depth=1
                                        ;     Child Loop BB60_33 Depth 2
	v_mul_lo_u32 v4, v0, s9
	v_ashrrev_i32_e32 v5, 31, v4
	v_lshlrev_b64 v[4:5], 2, v[4:5]
	v_add_co_u32_e32 v4, vcc, s6, v4
	v_addc_co_u32_e32 v5, vcc, v1, v5, vcc
	flat_load_dword v10, v[4:5]
	s_and_b64 vcc, exec, s[0:1]
	s_cbranch_vccnz .LBB60_30
; %bb.32:                               ;   in Loop: Header=BB60_31 Depth=1
	v_ashrrev_i32_e32 v3, 31, v2
	v_lshlrev_b64 v[6:7], 2, v[2:3]
	v_add_co_u32_e32 v6, vcc, s6, v6
	v_addc_co_u32_e32 v7, vcc, v1, v7, vcc
	s_mov_b32 s3, s2
	s_mov_b64 s[16:17], s[4:5]
.LBB60_33:                              ;   Parent Loop BB60_31 Depth=1
                                        ; =>  This Inner Loop Header: Depth=2
	s_add_u32 s20, s16, s10
	s_addc_u32 s21, s17, s11
	flat_load_dword v3, v[6:7] offset:4
	global_load_dword v11, v8, s[16:17]
	global_load_dword v14, v8, s[20:21]
	v_add_co_u32_e32 v12, vcc, 4, v6
	s_add_u32 s16, s16, 4
	v_addc_co_u32_e32 v13, vcc, 0, v7, vcc
	s_addc_u32 s17, s17, 0
	s_add_i32 s3, s3, -1
	s_cmp_lg_u32 s3, 0
	s_waitcnt vmcnt(0) lgkmcnt(0)
	v_mul_f32_e32 v15, v3, v14
	v_fma_f32 v15, v10, v11, -v15
	v_mul_f32_e32 v10, v10, v14
	flat_store_dword v[6:7], v15
	v_fmac_f32_e32 v10, v3, v11
	v_pk_mov_b32 v[6:7], v[12:13], v[12:13] op_sel:[0,1]
	s_cbranch_scc1 .LBB60_33
	s_branch .LBB60_30
.LBB60_34:
	s_endpgm
	.section	.rodata,"a",@progbits
	.p2align	6, 0x0
	.amdhsa_kernel _ZN9rocsolver6v33100L17bdsqr_lower2upperIffPfS2_EEviiiPT0_lS4_lT1_iilT2_iilPiS4_lS7_
		.amdhsa_group_segment_fixed_size 0
		.amdhsa_private_segment_fixed_size 0
		.amdhsa_kernarg_size 384
		.amdhsa_user_sgpr_count 6
		.amdhsa_user_sgpr_private_segment_buffer 1
		.amdhsa_user_sgpr_dispatch_ptr 0
		.amdhsa_user_sgpr_queue_ptr 0
		.amdhsa_user_sgpr_kernarg_segment_ptr 1
		.amdhsa_user_sgpr_dispatch_id 0
		.amdhsa_user_sgpr_flat_scratch_init 0
		.amdhsa_user_sgpr_kernarg_preload_length 0
		.amdhsa_user_sgpr_kernarg_preload_offset 0
		.amdhsa_user_sgpr_private_segment_size 0
		.amdhsa_uses_dynamic_stack 0
		.amdhsa_system_sgpr_private_segment_wavefront_offset 0
		.amdhsa_system_sgpr_workgroup_id_x 1
		.amdhsa_system_sgpr_workgroup_id_y 1
		.amdhsa_system_sgpr_workgroup_id_z 0
		.amdhsa_system_sgpr_workgroup_info 0
		.amdhsa_system_vgpr_workitem_id 0
		.amdhsa_next_free_vgpr 16
		.amdhsa_next_free_sgpr 36
		.amdhsa_accum_offset 16
		.amdhsa_reserve_vcc 1
		.amdhsa_reserve_flat_scratch 0
		.amdhsa_float_round_mode_32 0
		.amdhsa_float_round_mode_16_64 0
		.amdhsa_float_denorm_mode_32 3
		.amdhsa_float_denorm_mode_16_64 3
		.amdhsa_dx10_clamp 1
		.amdhsa_ieee_mode 1
		.amdhsa_fp16_overflow 0
		.amdhsa_tg_split 0
		.amdhsa_exception_fp_ieee_invalid_op 0
		.amdhsa_exception_fp_denorm_src 0
		.amdhsa_exception_fp_ieee_div_zero 0
		.amdhsa_exception_fp_ieee_overflow 0
		.amdhsa_exception_fp_ieee_underflow 0
		.amdhsa_exception_fp_ieee_inexact 0
		.amdhsa_exception_int_div_zero 0
	.end_amdhsa_kernel
	.section	.text._ZN9rocsolver6v33100L17bdsqr_lower2upperIffPfS2_EEviiiPT0_lS4_lT1_iilT2_iilPiS4_lS7_,"axG",@progbits,_ZN9rocsolver6v33100L17bdsqr_lower2upperIffPfS2_EEviiiPT0_lS4_lT1_iilT2_iilPiS4_lS7_,comdat
.Lfunc_end60:
	.size	_ZN9rocsolver6v33100L17bdsqr_lower2upperIffPfS2_EEviiiPT0_lS4_lT1_iilT2_iilPiS4_lS7_, .Lfunc_end60-_ZN9rocsolver6v33100L17bdsqr_lower2upperIffPfS2_EEviiiPT0_lS4_lT1_iilT2_iilPiS4_lS7_
                                        ; -- End function
	.section	.AMDGPU.csdata,"",@progbits
; Kernel info:
; codeLenInByte = 1948
; NumSgprs: 40
; NumVgprs: 16
; NumAgprs: 0
; TotalNumVgprs: 16
; ScratchSize: 0
; MemoryBound: 0
; FloatMode: 240
; IeeeMode: 1
; LDSByteSize: 0 bytes/workgroup (compile time only)
; SGPRBlocks: 4
; VGPRBlocks: 1
; NumSGPRsForWavesPerEU: 40
; NumVGPRsForWavesPerEU: 16
; AccumOffset: 16
; Occupancy: 8
; WaveLimiterHint : 0
; COMPUTE_PGM_RSRC2:SCRATCH_EN: 0
; COMPUTE_PGM_RSRC2:USER_SGPR: 6
; COMPUTE_PGM_RSRC2:TRAP_HANDLER: 0
; COMPUTE_PGM_RSRC2:TGID_X_EN: 1
; COMPUTE_PGM_RSRC2:TGID_Y_EN: 1
; COMPUTE_PGM_RSRC2:TGID_Z_EN: 0
; COMPUTE_PGM_RSRC2:TIDIG_COMP_CNT: 0
; COMPUTE_PGM_RSRC3_GFX90A:ACCUM_OFFSET: 3
; COMPUTE_PGM_RSRC3_GFX90A:TG_SPLIT: 0
	.section	.text._ZN9rocsolver6v33100L13bdsqr_computeILi256EffPfS2_S2_EEviiiiPT1_lS4_lT2_iilT3_iilT4_iiliS3_S3_S3_S3_PiS4_ilS8_,"axG",@progbits,_ZN9rocsolver6v33100L13bdsqr_computeILi256EffPfS2_S2_EEviiiiPT1_lS4_lT2_iilT3_iilT4_iiliS3_S3_S3_S3_PiS4_ilS8_,comdat
	.globl	_ZN9rocsolver6v33100L13bdsqr_computeILi256EffPfS2_S2_EEviiiiPT1_lS4_lT2_iilT3_iilT4_iiliS3_S3_S3_S3_PiS4_ilS8_ ; -- Begin function _ZN9rocsolver6v33100L13bdsqr_computeILi256EffPfS2_S2_EEviiiiPT1_lS4_lT2_iilT3_iilT4_iiliS3_S3_S3_S3_PiS4_ilS8_
	.p2align	8
	.type	_ZN9rocsolver6v33100L13bdsqr_computeILi256EffPfS2_S2_EEviiiiPT1_lS4_lT2_iilT3_iilT4_iiliS3_S3_S3_S3_PiS4_ilS8_,@function
_ZN9rocsolver6v33100L13bdsqr_computeILi256EffPfS2_S2_EEviiiiPT1_lS4_lT2_iilT3_iilT4_iiliS3_S3_S3_S3_PiS4_ilS8_: ; @_ZN9rocsolver6v33100L13bdsqr_computeILi256EffPfS2_S2_EEviiiiPT1_lS4_lT2_iilT3_iilT4_iiliS3_S3_S3_S3_PiS4_ilS8_
; %bb.0:
	s_load_dwordx4 s[0:3], s[4:5], 0xa8
	s_ashr_i32 s9, s8, 31
	s_lshl_b64 s[10:11], s[8:9], 2
	s_waitcnt lgkmcnt(0)
	s_add_u32 s2, s2, s10
	s_addc_u32 s3, s3, s11
	s_load_dword s2, s[2:3], 0x8
	s_waitcnt lgkmcnt(0)
	s_cmp_lg_u32 s2, 0
	s_cbranch_scc1 .LBB61_179
; %bb.1:
	s_load_dwordx8 s[20:27], s[4:5], 0x30
	s_mov_b64 s[34:35], 0
	s_mov_b64 s[40:41], 0
	s_waitcnt lgkmcnt(0)
	s_cmp_eq_u64 s[20:21], 0
	s_cbranch_scc1 .LBB61_3
; %bb.2:
	s_mul_i32 s6, s8, s25
	s_mul_hi_u32 s10, s8, s24
	s_add_i32 s6, s10, s6
	s_mul_i32 s10, s9, s24
	s_add_i32 s11, s6, s10
	s_mul_i32 s10, s8, s24
	s_ashr_i32 s3, s22, 31
	s_lshl_b64 s[10:11], s[10:11], 2
	s_mov_b32 s2, s22
	s_add_u32 s6, s20, s10
	s_addc_u32 s10, s21, s11
	s_lshl_b64 s[2:3], s[2:3], 2
	s_add_u32 s40, s6, s2
	s_addc_u32 s41, s10, s3
.LBB61_3:
	s_load_dwordx2 s[82:83], s[4:5], 0x50
	s_load_dwordx4 s[12:15], s[4:5], 0x58
	s_cmp_eq_u64 s[26:27], 0
	s_cbranch_scc1 .LBB61_5
; %bb.4:
	s_waitcnt lgkmcnt(0)
	s_mul_i32 s6, s8, s13
	s_mul_hi_u32 s10, s8, s12
	s_add_i32 s6, s10, s6
	s_mul_i32 s10, s9, s12
	s_add_i32 s11, s6, s10
	s_mul_i32 s10, s8, s12
	s_ashr_i32 s3, s82, 31
	s_lshl_b64 s[10:11], s[10:11], 2
	s_mov_b32 s2, s82
	s_add_u32 s6, s26, s10
	s_addc_u32 s10, s27, s11
	s_lshl_b64 s[2:3], s[2:3], 2
	s_add_u32 s34, s6, s2
	s_addc_u32 s35, s10, s3
.LBB61_5:
	s_load_dwordx2 s[42:43], s[4:5], 0x68
	s_waitcnt lgkmcnt(0)
	s_cmp_eq_u64 s[14:15], 0
	s_mov_b64 s[44:45], 0
	s_cbranch_scc1 .LBB61_7
; %bb.6:
	s_load_dwordx2 s[2:3], s[4:5], 0x70
	s_ashr_i32 s11, s42, 31
	s_mov_b32 s10, s42
	s_waitcnt lgkmcnt(0)
	s_mul_i32 s3, s8, s3
	s_mul_hi_u32 s6, s8, s2
	s_mul_i32 s12, s9, s2
	s_add_i32 s3, s6, s3
	s_add_i32 s3, s3, s12
	s_mul_i32 s2, s8, s2
	s_lshl_b64 s[2:3], s[2:3], 2
	s_add_u32 s6, s14, s2
	s_addc_u32 s12, s15, s3
	s_lshl_b64 s[2:3], s[10:11], 2
	s_add_u32 s44, s6, s2
	s_addc_u32 s45, s12, s3
.LBB61_7:
	s_load_dwordx4 s[12:15], s[4:5], 0x90
	s_mul_i32 s1, s8, s1
	s_mul_hi_u32 s2, s8, s0
	s_add_i32 s1, s2, s1
	s_mul_i32 s2, s9, s0
	s_add_i32 s1, s1, s2
	s_mul_i32 s0, s8, s0
	s_lshl_b64 s[60:61], s[0:1], 2
	s_waitcnt lgkmcnt(0)
	s_add_u32 s46, s14, s60
	s_addc_u32 s47, s15, s61
	s_load_dword s0, s[46:47], 0x8
	s_waitcnt lgkmcnt(0)
	v_cvt_i32_f32_e32 v1, s0
	v_cmp_ge_i32_e32 vcc, s7, v1
	s_cbranch_vccnz .LBB61_179
; %bb.8:
	s_load_dwordx4 s[36:39], s[4:5], 0x0
	s_load_dwordx8 s[24:31], s[4:5], 0x10
                                        ; implicit-def: $vgpr31 : SGPR spill to VGPR lane
	s_load_dwordx2 s[56:57], s[4:5], 0x78
	s_load_dwordx2 s[58:59], s[4:5], 0x84
	s_load_dword s82, s[4:5], 0xa0
	s_load_dword s18, s[4:5], 0xbc
	v_lshlrev_b32_e32 v8, 2, v0
	v_mul_lo_u32 v14, v0, s23
	s_waitcnt lgkmcnt(0)
	s_mul_i32 s0, s8, s36
	s_lshl_b32 s0, s0, 1
	s_ashr_i32 s1, s0, 31
	s_lshl_b64 s[0:1], s[0:1], 2
	s_mul_i32 s2, s8, s27
	s_mul_hi_u32 s3, s8, s26
	s_add_u32 s6, s12, s0
	s_addc_u32 s20, s13, s1
	s_add_i32 s0, s3, s2
	s_mul_i32 s1, s9, s26
	s_add_i32 s1, s0, s1
	s_mul_i32 s0, s8, s26
	s_lshl_b64 s[0:1], s[0:1], 2
	s_add_u32 s22, s24, s0
	s_addc_u32 s33, s25, s1
	s_mul_i32 s0, s8, s31
	s_mul_hi_u32 s1, s8, s30
	s_add_i32 s0, s1, s0
	s_mul_i32 s1, s9, s30
	s_add_i32 s1, s0, s1
	s_mul_i32 s0, s8, s30
	v_writelane_b32 v31, s0, 0
	s_lshl_b64 s[10:11], s[0:1], 2
	s_add_u32 s36, s28, s10
	s_addc_u32 s42, s29, s11
	s_cmp_lg_u32 s37, 0
	s_cselect_b64 s[26:27], -1, 0
	s_or_b32 s8, s39, s38
	s_cmp_eq_u32 s8, 0
	v_writelane_b32 v31, s1, 1
	s_cselect_b64 s[8:9], -1, 0
	v_writelane_b32 v31, s8, 2
	s_cmp_lg_u64 s[40:41], 0
	v_writelane_b32 v31, s9, 3
	s_cselect_b64 s[8:9], -1, 0
	s_and_b64 s[88:89], s[26:27], s[8:9]
	s_add_u32 s8, s4, 0xb8
	s_addc_u32 s9, s5, 0
	v_writelane_b32 v31, s8, 4
	s_cmp_lg_u64 s[34:35], 0
	v_writelane_b32 v31, s9, 5
	s_cselect_b64 s[8:9], -1, 0
	s_cmp_lg_u32 s38, 0
	s_cselect_b64 s[12:13], -1, 0
	s_and_b64 s[92:93], s[12:13], s[8:9]
	v_cmp_gt_i32_e64 s[8:9], s38, v0
	v_writelane_b32 v31, s8, 6
	s_cmp_lg_u64 s[44:45], 0
	v_writelane_b32 v31, s9, 7
	s_cselect_b64 s[8:9], -1, 0
	s_cmp_lg_u32 s39, 0
	s_cselect_b64 s[12:13], -1, 0
	s_and_b64 s[50:51], s[12:13], s[8:9]
	v_cmp_gt_i32_e64 s[8:9], s39, v0
	v_writelane_b32 v31, s8, 8
	s_add_u32 s19, s14, s60
	v_writelane_b32 v31, s9, 9
	s_addc_u32 s8, s15, s61
	s_add_u32 s4, s19, 12
	v_writelane_b32 v31, s4, 10
	s_addc_u32 s4, s8, 0
	v_writelane_b32 v31, s4, 11
	s_add_u32 s4, s28, -4
	s_addc_u32 s5, s29, -1
	v_writelane_b32 v31, s4, 12
	s_add_u32 s4, s4, s10
	v_writelane_b32 v31, s4, 13
	v_writelane_b32 v31, s5, 14
	s_addc_u32 s4, s5, s11
	v_mov_b32_e32 v2, s33
	v_add_co_u32_e32 v10, vcc, s22, v8
	v_writelane_b32 v31, s4, 15
	s_add_u32 s4, s22, -4
	v_addc_co_u32_e32 v11, vcc, 0, v2, vcc
	v_writelane_b32 v31, s4, 16
	s_addc_u32 s4, s33, -1
	s_movk_i32 s0, 0x80
	v_mov_b32_e32 v2, s42
	v_add_co_u32_e32 v12, vcc, s36, v8
	v_writelane_b32 v31, s4, 17
	s_add_u32 s4, s19, 20
	v_mul_lo_u32 v16, v0, s43
	v_cmp_gt_u32_e64 s[0:1], s0, v0
	v_cmp_gt_u32_e64 s[2:3], 64, v0
	v_cmp_eq_u32_e64 s[16:17], 0, v0
	v_cmp_gt_i32_e64 s[90:91], s37, v0
	v_mov_b32_e32 v9, 0
	v_addc_co_u32_e32 v13, vcc, 0, v2, vcc
	v_writelane_b32 v31, s4, 18
	s_addc_u32 s4, s8, 0
	v_add_u32_e32 v15, -1, v14
	v_add_u32_e32 v17, -1, v16
	s_mov_b32 s10, 0xf800000
	v_mov_b32_e32 v18, 0x260
	v_mov_b32_e32 v19, 1
	v_writelane_b32 v31, s4, 19
	s_branch .LBB61_11
.LBB61_9:                               ;   in Loop: Header=BB61_11 Depth=1
	s_or_b64 exec, exec, s[12:13]
.LBB61_10:                              ;   in Loop: Header=BB61_11 Depth=1
	s_add_i32 s7, s18, s7
	v_cmp_lt_i32_e32 vcc, s7, v1
	s_cbranch_vccz .LBB61_179
.LBB61_11:                              ; =>This Loop Header: Depth=1
                                        ;     Child Loop BB61_15 Depth 2
                                        ;     Child Loop BB61_40 Depth 2
	;; [unrolled: 1-line block ×5, first 2 shown]
                                        ;       Child Loop BB61_164 Depth 3
                                        ;     Child Loop BB61_169 Depth 2
                                        ;       Child Loop BB61_171 Depth 3
                                        ;     Child Loop BB61_176 Depth 2
                                        ;       Child Loop BB61_178 Depth 3
	s_lshl_b32 s4, s7, 2
	s_ashr_i32 s5, s4, 31
	s_lshl_b64 s[4:5], s[4:5], 2
	s_add_u32 s12, s6, s4
	s_addc_u32 s13, s20, s5
	global_load_dwordx2 v[2:3], v9, s[12:13] offset:4
	s_waitcnt vmcnt(0)
	v_readfirstlane_b32 s62, v2
	v_readfirstlane_b32 s60, v3
	s_cmp_le_i32 s60, s62
	s_cbranch_scc1 .LBB61_10
; %bb.12:                               ;   in Loop: Header=BB61_11 Depth=1
	global_load_dword v2, v9, s[12:13] offset:12
	s_waitcnt vmcnt(0)
	v_cmp_le_i32_e32 vcc, s56, v2
	s_cbranch_vccnz .LBB61_10
; %bb.13:                               ;   in Loop: Header=BB61_11 Depth=1
	s_sub_i32 s28, s60, s62
	s_ashr_i32 s63, s62, 31
	v_cmp_ge_i32_e32 vcc, s28, v0
	v_mov_b32_e32 v4, 0
	s_and_saveexec_b64 s[4:5], vcc
	s_cbranch_execz .LBB61_17
; %bb.14:                               ;   in Loop: Header=BB61_11 Depth=1
	s_lshl_b64 s[14:15], s[62:63], 2
	v_mov_b32_e32 v3, s15
	v_add_co_u32_e32 v2, vcc, s14, v10
	v_addc_co_u32_e32 v3, vcc, v11, v3, vcc
	s_mov_b64 s[14:15], 0
	v_mov_b32_e32 v4, 0
	v_mov_b32_e32 v5, v0
.LBB61_15:                              ;   Parent Loop BB61_11 Depth=1
                                        ; =>  This Inner Loop Header: Depth=2
	global_load_dword v6, v[2:3], off
	v_add_co_u32_e32 v2, vcc, 0x400, v2
	v_add_u32_e32 v5, 0x100, v5
	v_addc_co_u32_e32 v3, vcc, 0, v3, vcc
	v_cmp_lt_i32_e32 vcc, s28, v5
	s_or_b64 s[14:15], vcc, s[14:15]
	s_waitcnt vmcnt(0)
	v_cmp_lt_f32_e64 s[24:25], v4, |v6|
	v_cndmask_b32_e64 v4, v4, |v6|, s[24:25]
	s_andn2_b64 exec, exec, s[14:15]
	s_cbranch_execnz .LBB61_15
; %bb.16:                               ;   in Loop: Header=BB61_11 Depth=1
	s_or_b64 exec, exec, s[14:15]
.LBB61_17:                              ;   in Loop: Header=BB61_11 Depth=1
	s_or_b64 exec, exec, s[4:5]
	s_cmp_lt_i32 s28, 1
	ds_write_b32 v8, v4
	s_waitcnt lgkmcnt(0)
	s_barrier
	s_cbranch_scc1 .LBB61_38
; %bb.18:                               ;   in Loop: Header=BB61_11 Depth=1
	s_and_saveexec_b64 s[4:5], s[0:1]
	s_cbranch_execz .LBB61_22
; %bb.19:                               ;   in Loop: Header=BB61_11 Depth=1
	ds_read_b32 v2, v8 offset:512
	s_waitcnt lgkmcnt(0)
	v_cmp_lt_f32_e32 vcc, v4, v2
	s_and_saveexec_b64 s[14:15], vcc
	s_cbranch_execz .LBB61_21
; %bb.20:                               ;   in Loop: Header=BB61_11 Depth=1
	v_mov_b32_e32 v4, v2
	ds_write_b32 v8, v2
.LBB61_21:                              ;   in Loop: Header=BB61_11 Depth=1
	s_or_b64 exec, exec, s[14:15]
.LBB61_22:                              ;   in Loop: Header=BB61_11 Depth=1
	s_or_b64 exec, exec, s[4:5]
	s_waitcnt lgkmcnt(0)
	s_barrier
	s_and_saveexec_b64 s[4:5], s[2:3]
	s_cbranch_execz .LBB61_37
; %bb.23:                               ;   in Loop: Header=BB61_11 Depth=1
	ds_read_b32 v2, v8 offset:256
	s_waitcnt lgkmcnt(0)
	v_cmp_lt_f32_e32 vcc, v4, v2
	s_and_saveexec_b64 s[14:15], vcc
	s_cbranch_execz .LBB61_25
; %bb.24:                               ;   in Loop: Header=BB61_11 Depth=1
	v_mov_b32_e32 v4, v2
	ds_write_b32 v8, v2
.LBB61_25:                              ;   in Loop: Header=BB61_11 Depth=1
	s_or_b64 exec, exec, s[14:15]
	ds_read_b32 v2, v8 offset:128
	s_waitcnt lgkmcnt(0)
	v_cmp_lt_f32_e32 vcc, v4, v2
	s_and_saveexec_b64 s[14:15], vcc
	s_cbranch_execz .LBB61_27
; %bb.26:                               ;   in Loop: Header=BB61_11 Depth=1
	v_mov_b32_e32 v4, v2
	ds_write_b32 v8, v2
.LBB61_27:                              ;   in Loop: Header=BB61_11 Depth=1
	s_or_b64 exec, exec, s[14:15]
	;; [unrolled: 10-line block ×6, first 2 shown]
	ds_read_b32 v2, v8 offset:4
	s_waitcnt lgkmcnt(0)
	v_cmp_lt_f32_e32 vcc, v4, v2
	s_and_b64 exec, exec, vcc
	s_cbranch_execz .LBB61_37
; %bb.36:                               ;   in Loop: Header=BB61_11 Depth=1
	ds_write_b32 v8, v2
.LBB61_37:                              ;   in Loop: Header=BB61_11 Depth=1
	s_or_b64 exec, exec, s[4:5]
.LBB61_38:                              ;   in Loop: Header=BB61_11 Depth=1
	v_cmp_gt_i32_e32 vcc, s28, v0
	v_mov_b32_e32 v4, 0
	s_waitcnt lgkmcnt(0)
	s_barrier
	s_and_saveexec_b64 s[4:5], vcc
	s_cbranch_execz .LBB61_42
; %bb.39:                               ;   in Loop: Header=BB61_11 Depth=1
	s_lshl_b64 s[14:15], s[62:63], 2
	v_mov_b32_e32 v3, s15
	v_add_co_u32_e32 v2, vcc, s14, v12
	v_addc_co_u32_e32 v3, vcc, v13, v3, vcc
	s_mov_b64 s[14:15], 0
	v_mov_b32_e32 v4, 0
	v_mov_b32_e32 v5, v0
.LBB61_40:                              ;   Parent Loop BB61_11 Depth=1
                                        ; =>  This Inner Loop Header: Depth=2
	global_load_dword v6, v[2:3], off
	v_add_co_u32_e32 v2, vcc, 0x400, v2
	v_add_u32_e32 v5, 0x100, v5
	v_addc_co_u32_e32 v3, vcc, 0, v3, vcc
	v_cmp_le_i32_e32 vcc, s28, v5
	s_or_b64 s[14:15], vcc, s[14:15]
	s_waitcnt vmcnt(0)
	v_cmp_lt_f32_e64 s[24:25], v4, |v6|
	v_cndmask_b32_e64 v4, v4, |v6|, s[24:25]
	s_andn2_b64 exec, exec, s[14:15]
	s_cbranch_execnz .LBB61_40
; %bb.41:                               ;   in Loop: Header=BB61_11 Depth=1
	s_or_b64 exec, exec, s[14:15]
.LBB61_42:                              ;   in Loop: Header=BB61_11 Depth=1
	s_or_b64 exec, exec, s[4:5]
	s_cmp_lt_i32 s28, 2
	ds_write_b32 v8, v4 offset:4
	s_waitcnt lgkmcnt(0)
	s_barrier
	s_cbranch_scc1 .LBB61_63
; %bb.43:                               ;   in Loop: Header=BB61_11 Depth=1
	s_and_saveexec_b64 s[4:5], s[0:1]
	s_cbranch_execz .LBB61_47
; %bb.44:                               ;   in Loop: Header=BB61_11 Depth=1
	ds_read_b32 v2, v8 offset:516
	s_waitcnt lgkmcnt(0)
	v_cmp_lt_f32_e32 vcc, v4, v2
	s_and_saveexec_b64 s[14:15], vcc
	s_cbranch_execz .LBB61_46
; %bb.45:                               ;   in Loop: Header=BB61_11 Depth=1
	v_mov_b32_e32 v4, v2
	ds_write_b32 v8, v2 offset:4
.LBB61_46:                              ;   in Loop: Header=BB61_11 Depth=1
	s_or_b64 exec, exec, s[14:15]
.LBB61_47:                              ;   in Loop: Header=BB61_11 Depth=1
	s_or_b64 exec, exec, s[4:5]
	s_waitcnt lgkmcnt(0)
	s_barrier
	s_and_saveexec_b64 s[4:5], s[2:3]
	s_cbranch_execz .LBB61_62
; %bb.48:                               ;   in Loop: Header=BB61_11 Depth=1
	ds_read_b32 v2, v8 offset:260
	s_waitcnt lgkmcnt(0)
	v_cmp_lt_f32_e32 vcc, v4, v2
	s_and_saveexec_b64 s[14:15], vcc
	s_cbranch_execz .LBB61_50
; %bb.49:                               ;   in Loop: Header=BB61_11 Depth=1
	v_mov_b32_e32 v4, v2
	ds_write_b32 v8, v2 offset:4
.LBB61_50:                              ;   in Loop: Header=BB61_11 Depth=1
	s_or_b64 exec, exec, s[14:15]
	ds_read_b32 v2, v8 offset:132
	s_waitcnt lgkmcnt(0)
	v_cmp_lt_f32_e32 vcc, v4, v2
	s_and_saveexec_b64 s[14:15], vcc
	s_cbranch_execz .LBB61_52
; %bb.51:                               ;   in Loop: Header=BB61_11 Depth=1
	v_mov_b32_e32 v4, v2
	ds_write_b32 v8, v2 offset:4
.LBB61_52:                              ;   in Loop: Header=BB61_11 Depth=1
	s_or_b64 exec, exec, s[14:15]
	;; [unrolled: 10-line block ×6, first 2 shown]
	ds_read_b32 v2, v8 offset:8
	s_waitcnt lgkmcnt(0)
	v_cmp_lt_f32_e32 vcc, v4, v2
	s_and_b64 exec, exec, vcc
	s_cbranch_execz .LBB61_62
; %bb.61:                               ;   in Loop: Header=BB61_11 Depth=1
	ds_write_b32 v8, v2 offset:4
.LBB61_62:                              ;   in Loop: Header=BB61_11 Depth=1
	s_or_b64 exec, exec, s[4:5]
.LBB61_63:                              ;   in Loop: Header=BB61_11 Depth=1
	s_lshl_b64 s[64:65], s[62:63], 2
	s_add_u32 s11, s36, s64
	s_addc_u32 s9, s42, s65
	s_add_u32 s14, s22, s64
	s_addc_u32 s15, s33, s65
	s_waitcnt lgkmcnt(0)
	s_barrier
	s_and_saveexec_b64 s[66:67], s[16:17]
	s_cbranch_execz .LBB61_78
; %bb.64:                               ;   in Loop: Header=BB61_11 Depth=1
	s_ashr_i32 s61, s60, 31
	s_lshl_b64 s[4:5], s[60:61], 2
	s_add_u32 s4, s22, s4
	s_addc_u32 s5, s33, s5
	global_load_dword v3, v9, s[14:15]
	global_load_dword v4, v9, s[4:5]
	s_ashr_i32 s29, s28, 31
	s_lshl_b64 s[4:5], s[28:29], 2
	s_add_u32 s21, s14, s4
	s_addc_u32 s29, s15, s5
	s_waitcnt vmcnt(0)
	v_cmp_ge_f32_e64 s[4:5], |v3|, |v4|
	s_and_b64 s[24:25], s[4:5], exec
	s_cselect_b32 s25, s15, s29
	s_cselect_b32 s24, s14, s21
	global_load_dword v5, v9, s[24:25]
	v_cndmask_b32_e64 v2, 0, 1, s[4:5]
	ds_write_b32 v9, v2 offset:1028
	s_cmp_lt_i32 s28, 1
	s_waitcnt vmcnt(0)
	v_and_b32_e32 v2, 0x7fffffff, v5
	s_cbranch_scc1 .LBB61_71
; %bb.65:                               ;   in Loop: Header=BB61_11 Depth=1
	s_not_b32 s21, s62
	s_add_i32 s21, s21, s60
	s_mov_b32 s24, 0
	v_mov_b32_e32 v5, v2
	s_branch .LBB61_67
.LBB61_66:                              ;   in Loop: Header=BB61_67 Depth=2
	s_add_i32 s24, s24, 1
	s_and_b64 s[48:49], s[4:5], exec
	s_cselect_b32 s48, s24, s21
	s_ashr_i32 s49, s48, 31
	s_lshl_b64 s[48:49], s[48:49], 2
	s_add_u32 s48, s14, s48
	s_addc_u32 s49, s15, s49
	global_load_dword v7, v9, s[48:49]
	v_add_f32_e64 v6, v5, |v6|
	v_div_scale_f32 v20, s[48:49], v6, v6, v5
	v_rcp_f32_e32 v21, v20
	v_div_scale_f32 v22, vcc, v5, v6, v5
	s_add_i32 s21, s21, -1
	v_fma_f32 v23, -v20, v21, 1.0
	v_fmac_f32_e32 v21, v23, v21
	v_mul_f32_e32 v23, v22, v21
	v_fma_f32 v24, -v20, v23, v22
	v_fmac_f32_e32 v23, v24, v21
	v_fma_f32 v20, -v20, v23, v22
	v_div_fmas_f32 v20, v20, v21, v23
	v_div_fixup_f32 v5, v20, v6, v5
	s_cmp_eq_u32 s21, -1
	s_mov_b64 s[68:69], 0
	s_cselect_b64 s[70:71], -1, 0
	s_waitcnt vmcnt(0)
	v_mul_f32_e64 v5, v5, |v7|
	v_cmp_lt_f32_e32 vcc, v5, v2
	v_cndmask_b32_e32 v2, v2, v5, vcc
	s_andn2_b64 vcc, exec, s[70:71]
	s_cbranch_vccz .LBB61_69
.LBB61_67:                              ;   Parent Loop BB61_11 Depth=1
                                        ; =>  This Inner Loop Header: Depth=2
	s_and_b64 s[30:31], s[4:5], exec
	s_cselect_b32 s30, s24, s21
	s_ashr_i32 s31, s30, 31
	s_lshl_b64 s[30:31], s[30:31], 2
	s_add_u32 s30, s11, s30
	s_addc_u32 s31, s9, s31
	global_load_dword v6, v9, s[30:31]
	v_mul_f32_e32 v7, s58, v5
	s_waitcnt vmcnt(0)
	v_cmp_nle_f32_e64 s[48:49], |v6|, v7
	s_and_b64 vcc, exec, s[48:49]
	s_cbranch_vccnz .LBB61_66
; %bb.68:                               ;   in Loop: Header=BB61_11 Depth=1
	s_mov_b64 s[68:69], -1
                                        ; implicit-def: $vgpr5
                                        ; implicit-def: $sgpr21
                                        ; implicit-def: $sgpr24
                                        ; implicit-def: $vgpr2
.LBB61_69:                              ;   in Loop: Header=BB61_11 Depth=1
	s_and_b64 vcc, exec, s[68:69]
	s_cbranch_vccz .LBB61_71
; %bb.70:                               ;   in Loop: Header=BB61_11 Depth=1
	v_mov_b32_e32 v2, -1.0
	global_store_dword v9, v9, s[30:31]
.LBB61_71:                              ;   in Loop: Header=BB61_11 Depth=1
	v_cmp_nle_f32_e32 vcc, 0, v2
	v_and_b32_e32 v3, 0x7fffffff, v3
	v_and_b32_e32 v4, 0x7fffffff, v4
	ds_write_b32 v9, v2 offset:1032
	ds_write_b8 v9, v9 offset:1036
	s_cbranch_vccnz .LBB61_78
; %bb.72:                               ;   in Loop: Header=BB61_11 Depth=1
	ds_read_b64 v[6:7], v9
	s_mov_b64 s[30:31], -1
	s_waitcnt lgkmcnt(0)
	v_cmp_lt_f32_e32 vcc, v6, v7
	v_cndmask_b32_e32 v5, v6, v7, vcc
	v_div_scale_f32 v6, s[24:25], v5, v5, v2
	v_rcp_f32_e32 v7, v6
	v_div_scale_f32 v20, vcc, v2, v5, v2
	v_fma_f32 v21, -v6, v7, 1.0
	v_fmac_f32_e32 v7, v21, v7
	v_mul_f32_e32 v21, v20, v7
	v_fma_f32 v22, -v6, v21, v20
	v_fmac_f32_e32 v21, v22, v7
	v_fma_f32 v6, -v6, v21, v20
	v_div_fmas_f32 v6, v6, v7, v21
	v_div_fixup_f32 v5, v6, v5, v2
	v_cmp_ge_f32_e32 vcc, s59, v5
	s_cbranch_vccnz .LBB61_75
; %bb.73:                               ;   in Loop: Header=BB61_11 Depth=1
	v_cndmask_b32_e64 v3, v4, v3, s[4:5]
	v_cmp_lt_f32_e32 vcc, 0, v3
	s_mov_b64 s[30:31], 0
	s_cbranch_vccz .LBB61_75
; %bb.74:                               ;   in Loop: Header=BB61_11 Depth=1
	v_mul_f32_e32 v2, v2, v2
	v_div_scale_f32 v4, s[4:5], v3, v3, v2
	v_rcp_f32_e32 v5, v4
	v_div_scale_f32 v6, vcc, v2, v3, v2
	v_fma_f32 v7, -v4, v5, 1.0
	v_fmac_f32_e32 v5, v7, v5
	v_mul_f32_e32 v7, v6, v5
	v_fma_f32 v20, -v4, v7, v6
	v_fmac_f32_e32 v7, v20, v5
	v_fma_f32 v4, -v4, v7, v6
	v_div_fmas_f32 v4, v4, v5, v7
	v_div_fixup_f32 v2, v4, v3, v2
	v_div_scale_f32 v4, s[4:5], v3, v3, v2
	v_rcp_f32_e32 v5, v4
	v_fma_f32 v6, -v4, v5, 1.0
	v_fmac_f32_e32 v5, v6, v5
	v_div_scale_f32 v6, vcc, v2, v3, v2
	v_mul_f32_e32 v7, v6, v5
	v_fma_f32 v20, -v4, v7, v6
	v_fmac_f32_e32 v7, v20, v5
	v_fma_f32 v4, -v4, v7, v6
	v_div_fmas_f32 v4, v4, v5, v7
	v_div_fixup_f32 v2, v4, v3, v2
	v_cmp_gt_f32_e64 s[30:31], s57, v2
.LBB61_75:                              ;   in Loop: Header=BB61_11 Depth=1
	s_and_b64 vcc, exec, s[30:31]
	s_cbranch_vccz .LBB61_77
; %bb.76:                               ;   in Loop: Header=BB61_11 Depth=1
	ds_write_b32 v9, v9 offset:1032
.LBB61_77:                              ;   in Loop: Header=BB61_11 Depth=1
	ds_write_b8 v9, v19 offset:1036
.LBB61_78:                              ;   in Loop: Header=BB61_11 Depth=1
	s_or_b64 exec, exec, s[66:67]
	s_waitcnt lgkmcnt(0)
	s_barrier
	ds_read_u8 v2, v9 offset:1036
	s_mov_b64 s[4:5], -1
	s_waitcnt lgkmcnt(0)
	v_cmp_eq_u32_e32 vcc, 0, v2
	s_cbranch_vccz .LBB61_82
; %bb.79:                               ;   in Loop: Header=BB61_11 Depth=1
	s_and_saveexec_b64 s[4:5], s[16:17]
	s_cbranch_execz .LBB61_81
; %bb.80:                               ;   in Loop: Header=BB61_11 Depth=1
	global_store_dword v9, v9, s[12:13]
.LBB61_81:                              ;   in Loop: Header=BB61_11 Depth=1
	s_or_b64 exec, exec, s[4:5]
	s_mov_b64 s[4:5], 0
.LBB61_82:                              ;   in Loop: Header=BB61_11 Depth=1
	s_andn2_b64 vcc, exec, s[4:5]
	s_cbranch_vccnz .LBB61_10
; %bb.83:                               ;   in Loop: Header=BB61_11 Depth=1
	ds_read_b32 v2, v9 offset:1028
	s_waitcnt lgkmcnt(0)
	v_readfirstlane_b32 s66, v2
	s_and_saveexec_b64 s[4:5], s[16:17]
	s_cbranch_execz .LBB61_85
; %bb.84:                               ;   in Loop: Header=BB61_11 Depth=1
	s_cmp_eq_u32 s66, 0
	s_cselect_b32 s21, -1, 1
	v_mov_b32_e32 v2, s21
	global_store_dword v9, v2, s[12:13]
.LBB61_85:                              ;   in Loop: Header=BB61_11 Depth=1
	s_or_b64 exec, exec, s[4:5]
	s_add_i32 s78, s28, 1
	s_mul_i32 s68, s62, s82
	s_sub_i32 s76, 1, s66
	s_ashr_i32 s69, s68, 31
	s_sub_i32 s70, s66, s76
	s_lshl_b32 s12, s78, 1
	s_and_b64 s[4:5], s[26:27], exec
	s_cselect_b32 s29, s12, 0
	s_and_saveexec_b64 s[72:73], s[16:17]
	s_cbranch_execz .LBB61_156
; %bb.86:                               ;   in Loop: Header=BB61_11 Depth=1
	s_cmp_lg_u32 s66, 0
	s_cselect_b64 s[74:75], -1, 0
	s_and_b64 s[4:5], s[74:75], exec
	s_cselect_b32 s84, 0, s28
	s_ashr_i32 s85, s84, 31
	s_lshl_b64 s[4:5], s[84:85], 2
	s_add_u32 s14, s14, s4
	s_addc_u32 s15, s15, s5
	global_load_dword v2, v9, s[14:15]
	v_mov_b32_e32 v3, 0
	s_waitcnt vmcnt(0)
	v_cmp_eq_f32_e32 vcc, 0, v2
	s_cbranch_vccnz .LBB61_88
; %bb.87:                               ;   in Loop: Header=BB61_11 Depth=1
	ds_read_b32 v3, v9 offset:1032
	v_cmp_lt_f32_e32 vcc, 0, v2
	v_cndmask_b32_e64 v4, 0, 1, vcc
	v_cmp_gt_f32_e32 vcc, 0, v2
	v_subbrev_co_u32_e32 v4, vcc, 0, v4, vcc
	s_waitcnt lgkmcnt(0)
	v_div_scale_f32 v5, s[4:5], v2, v2, v3
	v_rcp_f32_e32 v6, v5
	v_cvt_f32_i32_e32 v4, v4
	v_sub_f32_e64 v7, |v2|, v3
	v_fma_f32 v20, -v5, v6, 1.0
	v_fmac_f32_e32 v6, v20, v6
	v_div_scale_f32 v20, vcc, v3, v2, v3
	v_mul_f32_e32 v21, v20, v6
	v_fma_f32 v22, -v5, v21, v20
	v_fmac_f32_e32 v21, v22, v6
	v_fma_f32 v5, -v5, v21, v20
	v_div_fmas_f32 v5, v5, v6, v21
	v_div_fixup_f32 v3, v5, v2, v3
	v_add_f32_e32 v3, v3, v4
	v_mul_f32_e32 v3, v7, v3
.LBB61_88:                              ;   in Loop: Header=BB61_11 Depth=1
	s_cmp_gt_i32 s28, 0
	s_cbranch_scc1 .LBB61_90
; %bb.89:                               ;   in Loop: Header=BB61_11 Depth=1
	s_add_i32 s61, s28, -1
	s_cbranch_execz .LBB61_91
	s_branch .LBB61_155
.LBB61_90:                              ;   in Loop: Header=BB61_11 Depth=1
                                        ; implicit-def: $sgpr61
.LBB61_91:                              ;   in Loop: Header=BB61_11 Depth=1
	s_ashr_i32 s67, s66, 31
	s_sub_u32 s12, 0, s66
	s_subb_u32 s13, 0, s67
	s_add_u32 s80, s84, s66
	s_addc_u32 s81, s85, s67
	v_writelane_b32 v31, s82, 20
	s_mov_b32 s55, s83
	s_lshl_b64 s[82:83], s[80:81], 2
	s_add_u32 s86, s11, s82
	s_addc_u32 s87, s9, s83
	global_load_dword v4, v9, s[86:87] offset:-4
	v_writelane_b32 v31, s88, 21
	v_writelane_b32 v31, s89, 22
	v_mov_b32_e32 v5, 0
	v_writelane_b32 v31, s90, 23
	v_writelane_b32 v31, s91, 24
	s_waitcnt vmcnt(0)
	v_cmp_eq_f32_e32 vcc, 0, v4
	s_cbranch_vccnz .LBB61_95
; %bb.92:                               ;   in Loop: Header=BB61_11 Depth=1
	v_cmp_eq_f32_e32 vcc, 0, v3
	v_mov_b32_e32 v6, 0
	s_cbranch_vccnz .LBB61_96
; %bb.93:                               ;   in Loop: Header=BB61_11 Depth=1
	v_cmp_gt_f32_e64 s[4:5], |v4|, |v3|
	s_and_b64 vcc, exec, s[4:5]
	s_cbranch_vccnz .LBB61_97
; %bb.94:                               ;   in Loop: Header=BB61_11 Depth=1
	v_div_scale_f32 v5, s[4:5], v3, v3, -v4
	v_rcp_f32_e32 v6, v5
	v_div_scale_f32 v7, vcc, -v4, v3, -v4
	v_fma_f32 v20, -v5, v6, 1.0
	v_fmac_f32_e32 v6, v20, v6
	v_mul_f32_e32 v20, v7, v6
	v_fma_f32 v21, -v5, v20, v7
	v_fmac_f32_e32 v20, v21, v6
	v_fma_f32 v5, -v5, v20, v7
	v_div_fmas_f32 v5, v5, v6, v20
	v_div_fixup_f32 v5, v5, v3, -v4
	v_fma_f32 v6, v5, v5, 1.0
	v_mul_f32_e32 v7, 0x4f800000, v6
	v_cmp_gt_f32_e32 vcc, s10, v6
	v_cndmask_b32_e32 v6, v6, v7, vcc
	v_sqrt_f32_e32 v7, v6
	v_add_u32_e32 v20, -1, v7
	v_fma_f32 v21, -v20, v7, v6
	v_cmp_ge_f32_e64 s[4:5], 0, v21
	v_add_u32_e32 v21, 1, v7
	v_cndmask_b32_e64 v20, v7, v20, s[4:5]
	v_fma_f32 v7, -v21, v7, v6
	v_cmp_lt_f32_e64 s[4:5], 0, v7
	v_cndmask_b32_e64 v7, v20, v21, s[4:5]
	v_mul_f32_e32 v20, 0x37800000, v7
	v_cndmask_b32_e32 v7, v7, v20, vcc
	v_cmp_class_f32_e32 vcc, v6, v18
	v_cndmask_b32_e32 v6, v7, v6, vcc
	v_div_scale_f32 v7, s[4:5], v6, v6, 1.0
	v_rcp_f32_e32 v20, v7
	s_mov_b64 s[4:5], 0
	v_fma_f32 v21, -v7, v20, 1.0
	v_fmac_f32_e32 v20, v21, v20
	v_div_scale_f32 v21, vcc, 1.0, v6, 1.0
	v_mul_f32_e32 v22, v21, v20
	v_fma_f32 v23, -v7, v22, v21
	v_fmac_f32_e32 v22, v23, v20
	v_fma_f32 v7, -v7, v22, v21
	v_div_fmas_f32 v7, v7, v20, v22
	v_div_fixup_f32 v6, v7, v6, 1.0
	v_mul_f32_e32 v5, v5, v6
	s_branch .LBB61_98
.LBB61_95:                              ;   in Loop: Header=BB61_11 Depth=1
	v_mov_b32_e32 v6, 1.0
	s_branch .LBB61_100
.LBB61_96:                              ;   in Loop: Header=BB61_11 Depth=1
	v_mov_b32_e32 v5, 1.0
	s_branch .LBB61_100
.LBB61_97:                              ;   in Loop: Header=BB61_11 Depth=1
	s_mov_b64 s[4:5], -1
                                        ; implicit-def: $vgpr5
                                        ; implicit-def: $vgpr6
.LBB61_98:                              ;   in Loop: Header=BB61_11 Depth=1
	s_andn2_b64 vcc, exec, s[4:5]
	s_cbranch_vccnz .LBB61_100
; %bb.99:                               ;   in Loop: Header=BB61_11 Depth=1
	v_div_scale_f32 v5, s[4:5], v4, v4, -v3
	v_rcp_f32_e32 v6, v5
	v_div_scale_f32 v7, vcc, -v3, v4, -v3
	v_fma_f32 v20, -v5, v6, 1.0
	v_fmac_f32_e32 v6, v20, v6
	v_mul_f32_e32 v20, v7, v6
	v_fma_f32 v21, -v5, v20, v7
	v_fmac_f32_e32 v20, v21, v6
	v_fma_f32 v5, -v5, v20, v7
	v_div_fmas_f32 v5, v5, v6, v20
	v_div_fixup_f32 v3, v5, v4, -v3
	v_fma_f32 v5, v3, v3, 1.0
	v_mul_f32_e32 v6, 0x4f800000, v5
	v_cmp_gt_f32_e32 vcc, s10, v5
	v_cndmask_b32_e32 v5, v5, v6, vcc
	v_sqrt_f32_e32 v6, v5
	v_add_u32_e32 v7, -1, v6
	v_fma_f32 v20, -v7, v6, v5
	v_cmp_ge_f32_e64 s[4:5], 0, v20
	v_add_u32_e32 v20, 1, v6
	v_cndmask_b32_e64 v7, v6, v7, s[4:5]
	v_fma_f32 v6, -v20, v6, v5
	v_cmp_lt_f32_e64 s[4:5], 0, v6
	v_cndmask_b32_e64 v6, v7, v20, s[4:5]
	v_mul_f32_e32 v7, 0x37800000, v6
	v_cndmask_b32_e32 v6, v6, v7, vcc
	v_cmp_class_f32_e32 vcc, v5, v18
	v_cndmask_b32_e32 v5, v6, v5, vcc
	v_div_scale_f32 v6, s[4:5], v5, v5, 1.0
	v_rcp_f32_e32 v7, v6
	v_fma_f32 v20, -v6, v7, 1.0
	v_fmac_f32_e32 v7, v20, v7
	v_div_scale_f32 v20, vcc, 1.0, v5, 1.0
	v_mul_f32_e32 v21, v20, v7
	v_fma_f32 v22, -v6, v21, v20
	v_fmac_f32_e32 v21, v22, v7
	v_fma_f32 v6, -v6, v21, v20
	v_div_fmas_f32 v6, v6, v7, v21
	v_div_fixup_f32 v5, v6, v5, 1.0
	v_mul_f32_e32 v6, v3, v5
.LBB61_100:                             ;   in Loop: Header=BB61_11 Depth=1
	s_lshl_b64 s[88:89], s[68:69], 2
	s_and_b64 s[4:5], s[26:27], s[74:75]
	s_add_u32 s21, s46, s88
	s_addc_u32 s24, s47, s89
	s_add_u32 s21, s21, 16
	s_addc_u32 s24, s24, 0
	s_sub_u32 s90, s66, s12
	s_subb_u32 s91, s67, s13
	v_mul_f32_e32 v3, v2, v5
	s_lshl_b64 s[12:13], s[90:91], 2
	v_fmac_f32_e32 v3, v4, v6
	s_add_u32 s94, s14, s12
	global_store_dword v9, v3, s[86:87] offset:-4
	s_addc_u32 s95, s15, s13
	global_load_dword v7, v9, s[94:95] offset:-4
	v_cndmask_b32_e64 v3, 0, 1, s[4:5]
	v_writelane_b32 v31, s92, 25
	v_cmp_ne_u32_e64 s[12:13], 1, v3
	s_andn2_b64 vcc, exec, s[4:5]
	v_writelane_b32 v31, s93, 26
	s_waitcnt vmcnt(0)
	v_mul_f32_e32 v3, v6, v7
	global_store_dword v9, v3, s[94:95] offset:-4
	s_cbranch_vccnz .LBB61_102
; %bb.101:                              ;   in Loop: Header=BB61_11 Depth=1
	s_add_u32 s4, s21, s82
	s_addc_u32 s5, s24, s83
	s_ashr_i32 s79, s78, 31
	s_lshl_b64 s[30:31], s[78:79], 2
	s_add_u32 s30, s4, s30
	s_addc_u32 s31, s5, s31
	global_store_dword v9, v6, s[4:5] offset:-4
	global_store_dword v9, v5, s[30:31] offset:-4
.LBB61_102:                             ;   in Loop: Header=BB61_11 Depth=1
	s_cmp_lg_u32 s66, 1
	s_cselect_b64 s[30:31], -1, 0
	s_cmp_eq_u32 s66, 1
	v_readlane_b32 s48, v31, 2
	s_cselect_b64 s[4:5], -1, 0
	v_readlane_b32 s49, v31, 3
	s_or_b64 s[92:93], s[48:49], s[4:5]
	s_and_b64 vcc, exec, s[92:93]
	s_cbranch_vccnz .LBB61_104
; %bb.103:                              ;   in Loop: Header=BB61_11 Depth=1
	s_ashr_i32 s5, s29, 31
	s_add_u32 s4, s80, s29
	s_addc_u32 s5, s81, s5
	s_lshl_b64 s[4:5], s[4:5], 2
	s_add_u32 s4, s21, s4
	s_addc_u32 s5, s24, s5
	s_ashr_i32 s79, s78, 31
	s_lshl_b64 s[48:49], s[78:79], 2
	s_add_u32 s48, s4, s48
	s_addc_u32 s49, s5, s49
	global_store_dword v9, v6, s[4:5] offset:-4
	global_store_dword v9, v5, s[48:49] offset:-4
.LBB61_104:                             ;   in Loop: Header=BB61_11 Depth=1
	v_mul_f32_e32 v3, v4, v5
	v_fma_f32 v3, v2, v6, -v3
	v_mul_f32_e64 v2, v7, -v5
	v_cmp_eq_f32_e32 vcc, 0, v2
	v_mov_b32_e32 v4, 0
	s_cbranch_vccnz .LBB61_108
; %bb.105:                              ;   in Loop: Header=BB61_11 Depth=1
	v_cmp_eq_f32_e32 vcc, 0, v3
	s_cbranch_vccnz .LBB61_109
; %bb.106:                              ;   in Loop: Header=BB61_11 Depth=1
	v_cmp_gt_f32_e64 s[4:5], |v2|, |v3|
	s_and_b64 vcc, exec, s[4:5]
	s_cbranch_vccnz .LBB61_110
; %bb.107:                              ;   in Loop: Header=BB61_11 Depth=1
	v_div_scale_f32 v4, s[4:5], v3, v3, -v2
	v_rcp_f32_e32 v5, v4
	v_div_scale_f32 v6, vcc, -v2, v3, -v2
	v_fma_f32 v7, -v4, v5, 1.0
	v_fmac_f32_e32 v5, v7, v5
	v_mul_f32_e32 v7, v6, v5
	v_fma_f32 v20, -v4, v7, v6
	v_fmac_f32_e32 v7, v20, v5
	v_fma_f32 v4, -v4, v7, v6
	v_div_fmas_f32 v4, v4, v5, v7
	v_div_fixup_f32 v4, v4, v3, -v2
	v_fma_f32 v5, v4, v4, 1.0
	v_mul_f32_e32 v6, 0x4f800000, v5
	v_cmp_gt_f32_e32 vcc, s10, v5
	v_cndmask_b32_e32 v5, v5, v6, vcc
	v_sqrt_f32_e32 v6, v5
	v_add_u32_e32 v7, -1, v6
	v_fma_f32 v21, -v7, v6, v5
	v_add_u32_e32 v20, 1, v6
	v_cmp_ge_f32_e64 s[4:5], 0, v21
	v_cndmask_b32_e64 v7, v6, v7, s[4:5]
	v_fma_f32 v6, -v20, v6, v5
	v_cmp_lt_f32_e64 s[4:5], 0, v6
	v_cndmask_b32_e64 v6, v7, v20, s[4:5]
	v_mul_f32_e32 v7, 0x37800000, v6
	v_cndmask_b32_e32 v6, v6, v7, vcc
	v_cmp_class_f32_e32 vcc, v5, v18
	v_cndmask_b32_e32 v5, v6, v5, vcc
	v_div_scale_f32 v6, s[4:5], v5, v5, 1.0
	v_rcp_f32_e32 v7, v6
	s_mov_b64 s[4:5], 0
	v_fma_f32 v20, -v6, v7, 1.0
	v_fmac_f32_e32 v7, v20, v7
	v_div_scale_f32 v20, vcc, 1.0, v5, 1.0
	v_mul_f32_e32 v21, v20, v7
	v_fma_f32 v22, -v6, v21, v20
	v_fmac_f32_e32 v21, v22, v7
	v_fma_f32 v6, -v6, v21, v20
	v_div_fmas_f32 v6, v6, v7, v21
	v_div_fixup_f32 v5, v6, v5, 1.0
	v_mul_f32_e32 v4, v4, v5
	s_branch .LBB61_111
.LBB61_108:                             ;   in Loop: Header=BB61_11 Depth=1
	v_mov_b32_e32 v5, 1.0
	s_branch .LBB61_115
.LBB61_109:                             ;   in Loop: Header=BB61_11 Depth=1
                                        ; implicit-def: $vgpr3
                                        ; implicit-def: $vgpr4
                                        ; implicit-def: $vgpr5
	s_cbranch_execnz .LBB61_114
	s_branch .LBB61_115
.LBB61_110:                             ;   in Loop: Header=BB61_11 Depth=1
	s_mov_b64 s[4:5], -1
                                        ; implicit-def: $vgpr4
                                        ; implicit-def: $vgpr5
.LBB61_111:                             ;   in Loop: Header=BB61_11 Depth=1
	s_andn2_b64 vcc, exec, s[4:5]
	s_cbranch_vccnz .LBB61_113
; %bb.112:                              ;   in Loop: Header=BB61_11 Depth=1
	v_div_scale_f32 v4, s[4:5], v2, v2, -v3
	v_rcp_f32_e32 v5, v4
	v_div_scale_f32 v6, vcc, -v3, v2, -v3
	v_fma_f32 v7, -v4, v5, 1.0
	v_fmac_f32_e32 v5, v7, v5
	v_mul_f32_e32 v7, v6, v5
	v_fma_f32 v20, -v4, v7, v6
	v_fmac_f32_e32 v7, v20, v5
	v_fma_f32 v4, -v4, v7, v6
	v_div_fmas_f32 v4, v4, v5, v7
	v_div_fixup_f32 v5, v4, v2, -v3
	v_fma_f32 v4, v5, v5, 1.0
	v_mul_f32_e32 v6, 0x4f800000, v4
	v_cmp_gt_f32_e32 vcc, s10, v4
	v_cndmask_b32_e32 v4, v4, v6, vcc
	v_sqrt_f32_e32 v6, v4
	v_add_u32_e32 v7, -1, v6
	v_fma_f32 v21, -v7, v6, v4
	v_add_u32_e32 v20, 1, v6
	v_cmp_ge_f32_e64 s[4:5], 0, v21
	v_cndmask_b32_e64 v7, v6, v7, s[4:5]
	v_fma_f32 v6, -v20, v6, v4
	v_cmp_lt_f32_e64 s[4:5], 0, v6
	v_cndmask_b32_e64 v6, v7, v20, s[4:5]
	v_mul_f32_e32 v7, 0x37800000, v6
	v_cndmask_b32_e32 v6, v6, v7, vcc
	v_cmp_class_f32_e32 vcc, v4, v18
	v_cndmask_b32_e32 v4, v6, v4, vcc
	v_div_scale_f32 v6, s[4:5], v4, v4, 1.0
	v_rcp_f32_e32 v7, v6
	v_fma_f32 v20, -v6, v7, 1.0
	v_fmac_f32_e32 v7, v20, v7
	v_div_scale_f32 v20, vcc, 1.0, v4, 1.0
	v_mul_f32_e32 v21, v20, v7
	v_fma_f32 v22, -v6, v21, v20
	v_fmac_f32_e32 v21, v22, v7
	v_fma_f32 v6, -v6, v21, v20
	v_div_fmas_f32 v6, v6, v7, v21
	v_div_fixup_f32 v4, v6, v4, 1.0
	v_mul_f32_e32 v5, v5, v4
.LBB61_113:                             ;   in Loop: Header=BB61_11 Depth=1
	v_mul_f32_e32 v6, v2, v4
	v_fma_f32 v3, v3, v5, -v6
	s_branch .LBB61_115
.LBB61_114:                             ;   in Loop: Header=BB61_11 Depth=1
	v_xor_b32_e32 v3, 0x80000000, v2
	v_mov_b32_e32 v5, 0
	v_mov_b32_e32 v4, 1.0
.LBB61_115:                             ;   in Loop: Header=BB61_11 Depth=1
	global_store_dword v9, v3, s[14:15]
	global_load_dword v6, v9, s[94:95] offset:-4
	s_nop 0
	global_load_dword v3, v9, s[86:87] offset:-4
	s_cmp_eq_u32 s78, 2
	s_waitcnt vmcnt(1)
	v_mul_f32_e32 v7, v5, v6
	s_waitcnt vmcnt(0)
	v_fmac_f32_e32 v7, v4, v3
	global_store_dword v9, v7, s[94:95] offset:-4
	s_cbranch_scc1 .LBB61_117
; %bb.116:                              ;   in Loop: Header=BB61_11 Depth=1
	s_ashr_i32 s71, s70, 31
	s_lshl_b64 s[4:5], s[70:71], 2
	s_add_u32 s4, s86, s4
	s_addc_u32 s5, s87, s5
	global_load_dword v7, v9, s[4:5] offset:-4
	s_waitcnt vmcnt(0)
	v_mul_f32_e64 v2, v7, -v4
	v_mul_f32_e32 v7, v5, v7
	global_store_dword v9, v7, s[4:5] offset:-4
.LBB61_117:                             ;   in Loop: Header=BB61_11 Depth=1
	s_and_b64 s[4:5], s[26:27], s[30:31]
	v_cndmask_b32_e64 v7, 0, 1, s[4:5]
	v_cmp_ne_u32_e64 s[14:15], 1, v7
	s_andn2_b64 vcc, exec, s[4:5]
	s_cbranch_vccnz .LBB61_119
; %bb.118:                              ;   in Loop: Header=BB61_11 Depth=1
	s_add_u32 s4, s21, s82
	s_addc_u32 s5, s24, s83
	s_ashr_i32 s79, s78, 31
	s_lshl_b64 s[30:31], s[78:79], 2
	s_add_u32 s30, s4, s30
	s_addc_u32 s31, s5, s31
	global_store_dword v9, v5, s[4:5] offset:-4
	global_store_dword v9, v4, s[30:31] offset:-4
.LBB61_119:                             ;   in Loop: Header=BB61_11 Depth=1
	v_readlane_b32 s30, v31, 2
	s_xor_b64 s[4:5], s[74:75], -1
	v_readlane_b32 s31, v31, 3
	s_or_b64 s[4:5], s[30:31], s[4:5]
	s_and_b64 vcc, exec, s[4:5]
	s_cbranch_vccnz .LBB61_121
; %bb.120:                              ;   in Loop: Header=BB61_11 Depth=1
	s_ashr_i32 s25, s29, 31
	s_add_u32 s30, s80, s29
	s_addc_u32 s31, s81, s25
	s_lshl_b64 s[30:31], s[30:31], 2
	s_add_u32 s30, s21, s30
	s_addc_u32 s31, s24, s31
	s_ashr_i32 s79, s78, 31
	s_lshl_b64 s[24:25], s[78:79], 2
	s_add_u32 s24, s30, s24
	s_addc_u32 s25, s31, s25
	global_store_dword v9, v5, s[30:31] offset:-4
	global_store_dword v9, v4, s[24:25] offset:-4
.LBB61_121:                             ;   in Loop: Header=BB61_11 Depth=1
	v_mul_f32_e32 v4, v4, v6
	v_fma_f32 v3, v5, v3, -v4
	s_cmp_eq_u32 s28, 1
	s_mov_b32 s61, 0
	s_cbranch_scc1 .LBB61_154
; %bb.122:                              ;   in Loop: Header=BB61_11 Depth=1
	s_xor_b64 s[80:81], s[92:93], -1
	s_xor_b64 s[82:83], s[4:5], -1
	s_add_i32 s4, s84, s70
	s_add_i32 s61, s28, -1
	s_sub_i32 s24, s84, s76
	s_ashr_i32 s5, s29, 31
	s_ashr_i32 s79, s78, 31
	s_add_u32 s21, s90, s29
	s_addc_u32 s5, s91, s5
	s_ashr_i32 s25, s24, 31
	s_add_u32 s30, s21, s24
	s_addc_u32 s31, s5, s25
	s_lshl_b64 s[30:31], s[30:31], 2
	s_add_u32 s5, s30, s88
	s_addc_u32 s21, s31, s89
	s_lshl_b64 s[30:31], s[78:79], 2
	s_add_u32 s48, s5, s30
	s_addc_u32 s49, s21, s31
	v_readlane_b32 s54, v31, 10
	s_add_u32 s71, s54, s48
	v_readlane_b32 s77, v31, 11
	s_addc_u32 s90, s77, s49
	s_lshl_b32 s48, s66, 1
	s_add_i32 s48, s48, -2
	s_ashr_i32 s49, s48, 31
	s_lshl_b64 s[78:79], s[48:49], 2
	s_or_b32 s78, s78, 4
	s_add_u32 s92, s54, s5
	s_addc_u32 s93, s77, s21
	s_lshl_b64 s[48:49], s[66:67], 3
	s_add_u32 s5, s48, s88
	s_addc_u32 s21, s49, s89
	s_lshl_b64 s[52:53], s[24:25], 2
	s_add_u32 s5, s5, s52
	s_addc_u32 s21, s21, s53
	s_add_u32 s30, s5, s30
	s_addc_u32 s31, s21, s31
	;; [unrolled: 2-line block ×4, first 2 shown]
	v_readlane_b32 s30, v31, 0
	v_readlane_b32 s31, v31, 1
	s_add_u32 s30, s30, s62
	s_addc_u32 s31, s31, s63
	s_add_u32 s24, s30, s24
	s_addc_u32 s25, s31, s25
	s_mul_i32 s21, s66, 12
	s_lshl_b64 s[24:25], s[24:25], 2
	s_mul_hi_i32 s5, s66, 12
	s_add_u32 s21, s21, s24
	s_addc_u32 s5, s5, s25
	s_ashr_i32 s77, s76, 31
	s_lshl_b64 s[24:25], s[76:77], 2
	s_sub_u32 s21, s21, s24
	s_subb_u32 s5, s5, s25
	v_readlane_b32 s24, v31, 12
	s_add_u32 s63, s24, s21
	v_readlane_b32 s21, v31, 14
	s_addc_u32 s95, s21, s5
	s_add_u32 s30, s48, s64
	s_addc_u32 s31, s49, s65
	s_add_u32 s5, s30, s52
	s_addc_u32 s24, s31, s53
	v_readlane_b32 s21, v31, 13
	s_add_u32 s21, s21, s5
	v_readlane_b32 s5, v31, 15
	s_addc_u32 s24, s5, s24
	s_add_u32 s5, s64, s52
	s_addc_u32 s48, s65, s53
	s_add_u32 s25, s36, s5
	s_addc_u32 s48, s42, s48
	s_ashr_i32 s5, s4, 31
	s_lshl_b64 s[4:5], s[4:5], 2
	s_add_u32 s30, s30, s4
	s_addc_u32 s31, s31, s5
	v_readlane_b32 s49, v31, 16
	s_add_u32 s49, s49, s30
	v_readlane_b32 s30, v31, 17
	s_addc_u32 s52, s30, s31
	s_add_u32 s4, s64, s4
	s_addc_u32 s5, s65, s5
	s_add_u32 s53, s22, s4
	s_mov_b32 s91, 1
	s_addc_u32 s54, s33, s5
	s_mov_b64 s[76:77], 0
	s_branch .LBB61_124
.LBB61_123:                             ;   in Loop: Header=BB61_124 Depth=2
	s_add_i32 s91, s91, 1
	s_add_u32 s76, s76, s78
	v_mul_f32_e32 v5, v5, v6
	s_addc_u32 s77, s77, s79
	s_cmp_eq_u32 s28, s91
	v_fma_f32 v3, v4, v3, -v5
	s_cbranch_scc1 .LBB61_154
.LBB61_124:                             ;   Parent Loop BB61_11 Depth=1
                                        ; =>  This Inner Loop Header: Depth=2
	v_cmp_eq_f32_e32 vcc, 0, v2
	v_mov_b32_e32 v4, 0
	s_cbranch_vccnz .LBB61_128
; %bb.125:                              ;   in Loop: Header=BB61_124 Depth=2
	v_cmp_neq_f32_e32 vcc, 0, v3
	s_cbranch_vccz .LBB61_129
; %bb.126:                              ;   in Loop: Header=BB61_124 Depth=2
	v_cmp_ngt_f32_e64 s[4:5], |v2|, |v3|
	s_and_b64 vcc, exec, s[4:5]
	s_cbranch_vccz .LBB61_130
; %bb.127:                              ;   in Loop: Header=BB61_124 Depth=2
	v_div_scale_f32 v4, s[4:5], v3, v3, -v2
	v_rcp_f32_e32 v5, v4
	v_div_scale_f32 v6, vcc, -v2, v3, -v2
	v_fma_f32 v7, -v4, v5, 1.0
	v_fmac_f32_e32 v5, v7, v5
	v_mul_f32_e32 v7, v6, v5
	v_fma_f32 v20, -v4, v7, v6
	v_fmac_f32_e32 v7, v20, v5
	v_fma_f32 v4, -v4, v7, v6
	v_div_fmas_f32 v4, v4, v5, v7
	v_div_fixup_f32 v4, v4, v3, -v2
	v_fma_f32 v5, v4, v4, 1.0
	v_mul_f32_e32 v6, 0x4f800000, v5
	v_cmp_gt_f32_e32 vcc, s10, v5
	v_cndmask_b32_e32 v5, v5, v6, vcc
	v_sqrt_f32_e32 v6, v5
	v_add_u32_e32 v7, -1, v6
	v_fma_f32 v21, -v7, v6, v5
	v_add_u32_e32 v20, 1, v6
	v_cmp_ge_f32_e64 s[4:5], 0, v21
	v_cndmask_b32_e64 v7, v6, v7, s[4:5]
	v_fma_f32 v6, -v20, v6, v5
	v_cmp_lt_f32_e64 s[4:5], 0, v6
	v_cndmask_b32_e64 v6, v7, v20, s[4:5]
	v_mul_f32_e32 v7, 0x37800000, v6
	v_cndmask_b32_e32 v6, v6, v7, vcc
	v_cmp_class_f32_e32 vcc, v5, v18
	v_cndmask_b32_e32 v5, v6, v5, vcc
	v_div_scale_f32 v6, s[4:5], v5, v5, 1.0
	v_rcp_f32_e32 v7, v6
	v_fma_f32 v20, -v6, v7, 1.0
	v_fmac_f32_e32 v7, v20, v7
	v_div_scale_f32 v20, vcc, 1.0, v5, 1.0
	v_mul_f32_e32 v21, v20, v7
	v_fma_f32 v22, -v6, v21, v20
	v_fmac_f32_e32 v21, v22, v7
	v_fma_f32 v6, -v6, v21, v20
	v_div_fmas_f32 v6, v6, v7, v21
	v_div_fixup_f32 v5, v6, v5, 1.0
	v_mul_f32_e32 v4, v4, v5
	s_cbranch_execz .LBB61_131
	s_branch .LBB61_132
.LBB61_128:                             ;   in Loop: Header=BB61_124 Depth=2
	v_mov_b32_e32 v5, 1.0
	s_branch .LBB61_134
.LBB61_129:                             ;   in Loop: Header=BB61_124 Depth=2
                                        ; implicit-def: $vgpr3
                                        ; implicit-def: $vgpr4
                                        ; implicit-def: $vgpr5
	s_cbranch_execnz .LBB61_133
	s_branch .LBB61_134
.LBB61_130:                             ;   in Loop: Header=BB61_124 Depth=2
                                        ; implicit-def: $vgpr4
                                        ; implicit-def: $vgpr5
.LBB61_131:                             ;   in Loop: Header=BB61_124 Depth=2
	v_div_scale_f32 v4, s[4:5], v2, v2, -v3
	v_rcp_f32_e32 v5, v4
	v_div_scale_f32 v6, vcc, -v3, v2, -v3
	v_fma_f32 v7, -v4, v5, 1.0
	v_fmac_f32_e32 v5, v7, v5
	v_mul_f32_e32 v7, v6, v5
	v_fma_f32 v20, -v4, v7, v6
	v_fmac_f32_e32 v7, v20, v5
	v_fma_f32 v4, -v4, v7, v6
	v_div_fmas_f32 v4, v4, v5, v7
	v_div_fixup_f32 v5, v4, v2, -v3
	v_fma_f32 v4, v5, v5, 1.0
	v_mul_f32_e32 v6, 0x4f800000, v4
	v_cmp_gt_f32_e32 vcc, s10, v4
	v_cndmask_b32_e32 v4, v4, v6, vcc
	v_sqrt_f32_e32 v6, v4
	v_add_u32_e32 v7, -1, v6
	v_fma_f32 v21, -v7, v6, v4
	v_add_u32_e32 v20, 1, v6
	v_cmp_ge_f32_e64 s[4:5], 0, v21
	v_cndmask_b32_e64 v7, v6, v7, s[4:5]
	v_fma_f32 v6, -v20, v6, v4
	v_cmp_lt_f32_e64 s[4:5], 0, v6
	v_cndmask_b32_e64 v6, v7, v20, s[4:5]
	v_mul_f32_e32 v7, 0x37800000, v6
	v_cndmask_b32_e32 v6, v6, v7, vcc
	v_cmp_class_f32_e32 vcc, v4, v18
	v_cndmask_b32_e32 v4, v6, v4, vcc
	v_div_scale_f32 v6, s[4:5], v4, v4, 1.0
	v_rcp_f32_e32 v7, v6
	v_fma_f32 v20, -v6, v7, 1.0
	v_fmac_f32_e32 v7, v20, v7
	v_div_scale_f32 v20, vcc, 1.0, v4, 1.0
	v_mul_f32_e32 v21, v20, v7
	v_fma_f32 v22, -v6, v21, v20
	v_fmac_f32_e32 v21, v22, v7
	v_fma_f32 v6, -v6, v21, v20
	v_div_fmas_f32 v6, v6, v7, v21
	v_div_fixup_f32 v4, v6, v4, 1.0
	v_mul_f32_e32 v5, v5, v4
.LBB61_132:                             ;   in Loop: Header=BB61_124 Depth=2
	v_mul_f32_e32 v6, v2, v4
	v_fma_f32 v3, v3, v5, -v6
	s_branch .LBB61_134
.LBB61_133:                             ;   in Loop: Header=BB61_124 Depth=2
	v_xor_b32_e32 v3, 0x80000000, v2
	v_mov_b32_e32 v5, 0
	v_mov_b32_e32 v4, 1.0
.LBB61_134:                             ;   in Loop: Header=BB61_124 Depth=2
	s_add_u32 s4, s25, s76
	s_addc_u32 s5, s48, s77
	s_add_u32 s84, s53, s76
	s_addc_u32 s85, s54, s77
	s_add_u32 s30, s21, s76
	global_store_dword v9, v3, s[4:5]
	s_addc_u32 s31, s24, s77
	global_load_dword v3, v9, s[30:31]
	global_load_dword v2, v9, s[84:85]
	s_add_u32 s86, s49, s76
	s_addc_u32 s87, s52, s77
	s_and_b64 vcc, exec, s[12:13]
	s_waitcnt vmcnt(1)
	v_mul_f32_e32 v6, v5, v3
	s_waitcnt vmcnt(0)
	v_fmac_f32_e32 v6, v4, v2
	global_store_dword v9, v6, s[30:31]
	global_load_dword v6, v9, s[86:87]
	s_waitcnt vmcnt(0)
	v_mul_f32_e32 v7, v5, v6
	global_store_dword v9, v7, s[86:87]
	s_cbranch_vccnz .LBB61_136
; %bb.135:                              ;   in Loop: Header=BB61_124 Depth=2
	s_add_u32 s4, s89, s76
	s_addc_u32 s5, s94, s77
	s_add_u32 vcc_lo, s67, s76
	s_addc_u32 vcc_hi, s88, s77
	global_store_dword v9, v5, s[4:5]
	global_store_dword v9, v4, vcc
.LBB61_136:                             ;   in Loop: Header=BB61_124 Depth=2
	s_andn2_b64 vcc, exec, s[80:81]
	s_cbranch_vccnz .LBB61_138
; %bb.137:                              ;   in Loop: Header=BB61_124 Depth=2
	s_add_u32 s4, s92, s76
	s_addc_u32 s5, s93, s77
	s_add_u32 vcc_lo, s71, s76
	s_addc_u32 vcc_hi, s90, s77
	global_store_dword v9, v5, s[4:5]
	global_store_dword v9, v4, vcc
.LBB61_138:                             ;   in Loop: Header=BB61_124 Depth=2
	v_mul_f32_e32 v3, v4, v3
	v_fma_f32 v3, v5, v2, -v3
	v_mul_f32_e64 v2, v6, -v4
	v_cmp_eq_f32_e32 vcc, 0, v2
	v_mov_b32_e32 v5, 0
	s_cbranch_vccnz .LBB61_142
; %bb.139:                              ;   in Loop: Header=BB61_124 Depth=2
	v_cmp_neq_f32_e32 vcc, 0, v3
	s_cbranch_vccz .LBB61_143
; %bb.140:                              ;   in Loop: Header=BB61_124 Depth=2
	v_cmp_ngt_f32_e64 s[4:5], |v2|, |v3|
	s_and_b64 vcc, exec, s[4:5]
	s_cbranch_vccz .LBB61_144
; %bb.141:                              ;   in Loop: Header=BB61_124 Depth=2
	v_div_scale_f32 v4, s[4:5], v3, v3, -v2
	v_rcp_f32_e32 v5, v4
	v_div_scale_f32 v6, vcc, -v2, v3, -v2
	v_fma_f32 v7, -v4, v5, 1.0
	v_fmac_f32_e32 v5, v7, v5
	v_mul_f32_e32 v7, v6, v5
	v_fma_f32 v20, -v4, v7, v6
	v_fmac_f32_e32 v7, v20, v5
	v_fma_f32 v4, -v4, v7, v6
	v_div_fmas_f32 v4, v4, v5, v7
	v_div_fixup_f32 v5, v4, v3, -v2
	v_fma_f32 v4, v5, v5, 1.0
	v_mul_f32_e32 v6, 0x4f800000, v4
	v_cmp_gt_f32_e32 vcc, s10, v4
	v_cndmask_b32_e32 v4, v4, v6, vcc
	v_sqrt_f32_e32 v6, v4
	v_add_u32_e32 v7, -1, v6
	v_fma_f32 v21, -v7, v6, v4
	v_add_u32_e32 v20, 1, v6
	v_cmp_ge_f32_e64 s[4:5], 0, v21
	v_cndmask_b32_e64 v7, v6, v7, s[4:5]
	v_fma_f32 v6, -v20, v6, v4
	v_cmp_lt_f32_e64 s[4:5], 0, v6
	v_cndmask_b32_e64 v6, v7, v20, s[4:5]
	v_mul_f32_e32 v7, 0x37800000, v6
	v_cndmask_b32_e32 v6, v6, v7, vcc
	v_cmp_class_f32_e32 vcc, v4, v18
	v_cndmask_b32_e32 v4, v6, v4, vcc
	v_div_scale_f32 v6, s[4:5], v4, v4, 1.0
	v_rcp_f32_e32 v7, v6
	v_fma_f32 v20, -v6, v7, 1.0
	v_fmac_f32_e32 v7, v20, v7
	v_div_scale_f32 v20, vcc, 1.0, v4, 1.0
	v_mul_f32_e32 v21, v20, v7
	v_fma_f32 v22, -v6, v21, v20
	v_fmac_f32_e32 v21, v22, v7
	v_fma_f32 v6, -v6, v21, v20
	v_div_fmas_f32 v6, v6, v7, v21
	v_div_fixup_f32 v4, v6, v4, 1.0
	v_mul_f32_e32 v5, v5, v4
	s_cbranch_execz .LBB61_145
	s_branch .LBB61_146
.LBB61_142:                             ;   in Loop: Header=BB61_124 Depth=2
	v_mov_b32_e32 v4, 1.0
	s_branch .LBB61_148
.LBB61_143:                             ;   in Loop: Header=BB61_124 Depth=2
                                        ; implicit-def: $vgpr3
                                        ; implicit-def: $vgpr5
                                        ; implicit-def: $vgpr4
	s_cbranch_execnz .LBB61_147
	s_branch .LBB61_148
.LBB61_144:                             ;   in Loop: Header=BB61_124 Depth=2
                                        ; implicit-def: $vgpr5
                                        ; implicit-def: $vgpr4
.LBB61_145:                             ;   in Loop: Header=BB61_124 Depth=2
	v_div_scale_f32 v4, s[4:5], v2, v2, -v3
	v_rcp_f32_e32 v5, v4
	v_div_scale_f32 v6, vcc, -v3, v2, -v3
	v_fma_f32 v7, -v4, v5, 1.0
	v_fmac_f32_e32 v5, v7, v5
	v_mul_f32_e32 v7, v6, v5
	v_fma_f32 v20, -v4, v7, v6
	v_fmac_f32_e32 v7, v20, v5
	v_fma_f32 v4, -v4, v7, v6
	v_div_fmas_f32 v4, v4, v5, v7
	v_div_fixup_f32 v4, v4, v2, -v3
	v_fma_f32 v5, v4, v4, 1.0
	v_mul_f32_e32 v6, 0x4f800000, v5
	v_cmp_gt_f32_e32 vcc, s10, v5
	v_cndmask_b32_e32 v5, v5, v6, vcc
	v_sqrt_f32_e32 v6, v5
	v_add_u32_e32 v7, -1, v6
	v_fma_f32 v21, -v7, v6, v5
	v_add_u32_e32 v20, 1, v6
	v_cmp_ge_f32_e64 s[4:5], 0, v21
	v_cndmask_b32_e64 v7, v6, v7, s[4:5]
	v_fma_f32 v6, -v20, v6, v5
	v_cmp_lt_f32_e64 s[4:5], 0, v6
	v_cndmask_b32_e64 v6, v7, v20, s[4:5]
	v_mul_f32_e32 v7, 0x37800000, v6
	v_cndmask_b32_e32 v6, v6, v7, vcc
	v_cmp_class_f32_e32 vcc, v5, v18
	v_cndmask_b32_e32 v5, v6, v5, vcc
	v_div_scale_f32 v6, s[4:5], v5, v5, 1.0
	v_rcp_f32_e32 v7, v6
	v_fma_f32 v20, -v6, v7, 1.0
	v_fmac_f32_e32 v7, v20, v7
	v_div_scale_f32 v20, vcc, 1.0, v5, 1.0
	v_mul_f32_e32 v21, v20, v7
	v_fma_f32 v22, -v6, v21, v20
	v_fmac_f32_e32 v21, v22, v7
	v_fma_f32 v6, -v6, v21, v20
	v_div_fmas_f32 v6, v6, v7, v21
	v_div_fixup_f32 v5, v6, v5, 1.0
	v_mul_f32_e32 v4, v4, v5
.LBB61_146:                             ;   in Loop: Header=BB61_124 Depth=2
	v_mul_f32_e32 v6, v2, v5
	v_fma_f32 v3, v3, v4, -v6
	s_branch .LBB61_148
.LBB61_147:                             ;   in Loop: Header=BB61_124 Depth=2
	v_xor_b32_e32 v3, 0x80000000, v2
	v_mov_b32_e32 v4, 0
	v_mov_b32_e32 v5, 1.0
.LBB61_148:                             ;   in Loop: Header=BB61_124 Depth=2
	global_store_dword v9, v3, s[84:85]
	global_load_dword v6, v9, s[86:87]
	s_nop 0
	global_load_dword v3, v9, s[30:31]
	s_cmp_ge_i32 s91, s61
	s_waitcnt vmcnt(1)
	v_mul_f32_e32 v7, v4, v6
	s_waitcnt vmcnt(0)
	v_fmac_f32_e32 v7, v5, v3
	global_store_dword v9, v7, s[86:87]
	s_cbranch_scc0 .LBB61_151
; %bb.149:                              ;   in Loop: Header=BB61_124 Depth=2
	s_and_b64 vcc, exec, s[14:15]
	s_cbranch_vccz .LBB61_152
.LBB61_150:                             ;   in Loop: Header=BB61_124 Depth=2
	s_andn2_b64 vcc, exec, s[82:83]
	s_cbranch_vccnz .LBB61_123
	s_branch .LBB61_153
.LBB61_151:                             ;   in Loop: Header=BB61_124 Depth=2
	s_add_u32 s4, s63, s76
	s_addc_u32 s5, s95, s77
	global_load_dword v7, v9, s[4:5]
	s_waitcnt vmcnt(0)
	v_mul_f32_e64 v2, v7, -v5
	v_mul_f32_e32 v7, v4, v7
	global_store_dword v9, v7, s[4:5]
	s_and_b64 vcc, exec, s[14:15]
	s_cbranch_vccnz .LBB61_150
.LBB61_152:                             ;   in Loop: Header=BB61_124 Depth=2
	s_add_u32 s4, s89, s76
	s_addc_u32 s5, s94, s77
	s_add_u32 s30, s67, s76
	s_addc_u32 s31, s88, s77
	global_store_dword v9, v4, s[4:5]
	global_store_dword v9, v5, s[30:31]
	s_andn2_b64 vcc, exec, s[82:83]
	s_cbranch_vccnz .LBB61_123
.LBB61_153:                             ;   in Loop: Header=BB61_124 Depth=2
	s_add_u32 s4, s92, s76
	s_addc_u32 s5, s93, s77
	s_add_u32 s30, s71, s76
	s_addc_u32 s31, s90, s77
	global_store_dword v9, v4, s[4:5]
	global_store_dword v9, v5, s[30:31]
	s_branch .LBB61_123
.LBB61_154:                             ;   in Loop: Header=BB61_11 Depth=1
	v_readlane_b32 s88, v31, 21
	v_readlane_b32 s90, v31, 23
	;; [unrolled: 1-line block ×3, first 2 shown]
	s_mov_b32 s83, s55
	v_readlane_b32 s89, v31, 22
	v_readlane_b32 s82, v31, 20
	;; [unrolled: 1-line block ×4, first 2 shown]
.LBB61_155:                             ;   in Loop: Header=BB61_11 Depth=1
	s_and_b64 s[4:5], s[74:75], exec
	s_cselect_b32 s4, s61, 0
	s_ashr_i32 s5, s4, 31
	s_lshl_b64 s[4:5], s[4:5], 2
	s_add_u32 s4, s11, s4
	s_addc_u32 s5, s9, s5
	global_store_dword v9, v3, s[4:5]
.LBB61_156:                             ;   in Loop: Header=BB61_11 Depth=1
	s_or_b64 exec, exec, s[72:73]
	s_andn2_b64 vcc, exec, s[88:89]
	s_barrier
	s_cbranch_vccz .LBB61_159
; %bb.157:                              ;   in Loop: Header=BB61_11 Depth=1
	s_andn2_b64 vcc, exec, s[92:93]
	s_cbranch_vccz .LBB61_166
.LBB61_158:                             ;   in Loop: Header=BB61_11 Depth=1
	s_andn2_b64 vcc, exec, s[50:51]
	s_cbranch_vccnz .LBB61_10
	s_branch .LBB61_173
.LBB61_159:                             ;   in Loop: Header=BB61_11 Depth=1
	s_and_saveexec_b64 s[12:13], s[90:91]
	s_cbranch_execz .LBB61_165
; %bb.160:                              ;   in Loop: Header=BB61_11 Depth=1
	v_readlane_b32 s14, v31, 4
	v_readlane_b32 s15, v31, 5
	s_load_dword s5, s[14:15], 0xc
	s_add_u32 s9, s40, s64
	s_addc_u32 s11, s41, s65
	s_add_i32 s4, s28, -1
	s_cmp_eq_u32 s66, 0
	s_cselect_b32 s21, s28, 0
	s_cselect_b32 s4, s4, 0
	s_cmp_gt_i32 s28, 0
	s_cselect_b64 s[14:15], -1, 0
	s_waitcnt lgkmcnt(0)
	s_and_b32 s24, s5, 0xffff
	s_ashr_i32 s5, s4, 31
	s_lshl_b64 s[4:5], s[4:5], 2
	s_lshl_b64 s[30:31], s[68:69], 2
	s_add_u32 s49, s4, s30
	s_addc_u32 s52, s5, s31
	s_add_u32 s25, s19, s49
	s_addc_u32 s48, s8, s52
	s_lshl_b32 s54, s66, 1
	s_add_i32 s30, s54, -2
	s_ashr_i32 s31, s30, 31
	s_lshl_b64 s[72:73], s[30:31], 2
	s_ashr_i32 s61, s60, 31
	s_or_b32 s72, s72, 4
	s_lshl_b64 s[4:5], s[60:61], 2
	s_add_u32 s4, s49, s4
	s_addc_u32 s5, s52, s5
	s_sub_u32 s4, s4, s64
	s_subb_u32 s5, s5, s65
	v_readlane_b32 s49, v31, 18
	s_add_u32 s49, s49, s4
	v_readlane_b32 s4, v31, 19
	s_addc_u32 s52, s4, s5
	s_add_i32 s54, s54, s21
	v_add_u32_e32 v2, s21, v14
	s_mul_i32 s53, s23, s24
	s_not_b64 s[74:75], s[30:31]
	v_add_u32_e32 v4, s54, v15
	s_or_b32 s30, s30, 1
	s_mov_b64 s[76:77], 0
	v_mov_b32_e32 v20, v0
	s_branch .LBB61_162
.LBB61_161:                             ;   in Loop: Header=BB61_162 Depth=2
	v_lshlrev_b64 v[6:7], 2, v[6:7]
	v_mov_b32_e32 v3, s11
	v_add_co_u32_e32 v6, vcc, s9, v6
	v_addc_co_u32_e32 v7, vcc, v3, v7, vcc
	v_add_u32_e32 v20, s24, v20
	v_cmp_le_i32_e32 vcc, s37, v20
	v_add_u32_e32 v2, s53, v2
	s_or_b64 s[76:77], vcc, s[76:77]
	v_add_u32_e32 v4, s53, v4
	s_waitcnt vmcnt(0) lgkmcnt(0)
	flat_store_dword v[6:7], v21
	s_andn2_b64 exec, exec, s[76:77]
	s_cbranch_execz .LBB61_165
.LBB61_162:                             ;   Parent Loop BB61_11 Depth=1
                                        ; =>  This Loop Header: Depth=2
                                        ;       Child Loop BB61_164 Depth 3
	v_mul_lo_u32 v3, v20, s23
	v_add_u32_e32 v6, s21, v3
	v_ashrrev_i32_e32 v7, 31, v6
	v_lshlrev_b64 v[22:23], 2, v[6:7]
	v_mov_b32_e32 v3, s11
	v_add_co_u32_e32 v22, vcc, s9, v22
	v_addc_co_u32_e32 v23, vcc, v3, v23, vcc
	flat_load_dword v21, v[22:23]
	s_andn2_b64 vcc, exec, s[14:15]
	s_cbranch_vccnz .LBB61_161
; %bb.163:                              ;   in Loop: Header=BB61_162 Depth=2
	v_ashrrev_i32_e32 v3, 31, v2
	v_lshlrev_b64 v[6:7], 2, v[2:3]
	v_mov_b32_e32 v23, s11
	v_add_co_u32_e32 v3, vcc, s9, v6
	v_addc_co_u32_e32 v22, vcc, v23, v7, vcc
	v_ashrrev_i32_e32 v5, 31, v4
	v_mov_b32_e32 v7, s75
	v_add_co_u32_e32 v6, vcc, s74, v4
	v_addc_co_u32_e32 v7, vcc, v7, v5, vcc
	v_lshlrev_b64 v[24:25], 2, v[4:5]
	v_add_co_u32_e32 v5, vcc, s9, v24
	v_addc_co_u32_e32 v23, vcc, v23, v25, vcc
	s_mov_b64 s[78:79], 0
	s_mov_b32 s54, s28
.LBB61_164:                             ;   Parent Loop BB61_11 Depth=1
                                        ;     Parent Loop BB61_162 Depth=2
                                        ; =>    This Inner Loop Header: Depth=3
	s_add_u32 s4, s25, s78
	v_mov_b32_e32 v26, s79
	v_add_co_u32_e32 v24, vcc, s78, v5
	s_addc_u32 s5, s48, s79
	v_addc_co_u32_e32 v25, vcc, v23, v26, vcc
	s_add_u32 s80, s49, s78
	flat_load_dword v27, v[24:25]
	s_addc_u32 s81, s52, s79
	global_load_dword v28, v9, s[80:81]
	global_load_dword v29, v9, s[4:5] offset:16
	v_add_co_u32_e64 v24, s[4:5], s78, v3
	s_add_i32 s54, s54, -1
	v_addc_co_u32_e64 v25, s[4:5], v22, v26, s[4:5]
	s_add_u32 s78, s78, s72
	v_mov_b32_e32 v30, s31
	v_add_co_u32_e32 v6, vcc, s30, v6
	s_addc_u32 s79, s79, s73
	v_addc_co_u32_e32 v7, vcc, v7, v30, vcc
	s_cmp_eq_u32 s54, 0
	s_waitcnt vmcnt(0) lgkmcnt(0)
	v_mul_f32_e32 v26, v27, v28
	v_fma_f32 v26, v21, v29, -v26
	v_mul_f32_e32 v21, v21, v28
	v_fmac_f32_e32 v21, v27, v29
	flat_store_dword v[24:25], v26
	s_cbranch_scc0 .LBB61_164
	s_branch .LBB61_161
.LBB61_165:                             ;   in Loop: Header=BB61_11 Depth=1
	s_or_b64 exec, exec, s[12:13]
	s_andn2_b64 vcc, exec, s[92:93]
	s_cbranch_vccnz .LBB61_158
.LBB61_166:                             ;   in Loop: Header=BB61_11 Depth=1
	s_mov_b64 s[4:5], exec
	v_readlane_b32 s12, v31, 6
	v_readlane_b32 s13, v31, 7
	s_and_b64 s[12:13], s[4:5], s[12:13]
	s_mov_b64 exec, s[12:13]
	s_cbranch_execz .LBB61_172
; %bb.167:                              ;   in Loop: Header=BB61_11 Depth=1
	s_mul_i32 s12, s62, s83
	s_ashr_i32 s13, s12, 31
	s_lshl_b64 s[12:13], s[12:13], 2
	v_readlane_b32 s14, v31, 4
	s_add_u32 s9, s34, s12
	v_readlane_b32 s15, v31, 5
	s_addc_u32 s11, s35, s13
	s_add_i32 s12, s28, -1
	s_load_dword s15, s[14:15], 0xc
	s_cmp_eq_u32 s66, 0
	s_cselect_b32 s12, s12, 0
	s_cselect_b32 s52, s28, 0
	s_add_i32 s14, s12, s29
	s_cmp_gt_i32 s28, 0
	s_cselect_b64 s[12:13], -1, 0
	s_waitcnt lgkmcnt(0)
	s_and_b32 s24, s15, 0xffff
	s_ashr_i32 s15, s14, 31
	s_lshl_b64 s[30:31], s[68:69], 2
	s_lshl_b64 s[14:15], s[14:15], 2
	s_add_u32 s14, s30, s14
	s_addc_u32 s15, s31, s15
	s_add_u32 s14, s19, s14
	s_addc_u32 s15, s8, s15
	s_lshl_b32 s53, s66, 1
	s_add_i32 s30, s53, -2
	s_ashr_i32 s31, s30, 31
	s_lshl_b64 s[30:31], s[30:31], 2
	s_ashr_i32 s61, s60, 31
	s_or_b32 s30, s30, 4
	s_lshl_b64 s[48:49], s[60:61], 2
	s_sub_u32 s25, s48, s64
	s_subb_u32 s48, s49, s65
	s_add_u32 s25, s25, 20
	s_mul_i32 s21, s52, s83
	s_addc_u32 s48, s48, 0
	s_add_i32 s52, s52, s53
	s_add_i32 s52, s52, -1
	s_mul_i32 s52, s83, s52
	v_add_u32_e32 v4, s21, v0
	s_mul_i32 s49, s83, s70
	v_add_u32_e32 v5, s52, v0
	s_mov_b64 s[62:63], 0
	v_mov_b32_e32 v6, v0
	s_branch .LBB61_169
.LBB61_168:                             ;   in Loop: Header=BB61_169 Depth=2
	v_lshlrev_b64 v[2:3], 2, v[2:3]
	v_mov_b32_e32 v20, s11
	v_add_co_u32_e32 v2, vcc, s9, v2
	v_addc_co_u32_e32 v3, vcc, v20, v3, vcc
	v_add_u32_e32 v6, s24, v6
	v_cmp_le_i32_e32 vcc, s38, v6
	v_add_u32_e32 v4, s24, v4
	s_or_b64 s[62:63], vcc, s[62:63]
	v_add_u32_e32 v5, s24, v5
	s_waitcnt vmcnt(0) lgkmcnt(0)
	flat_store_dword v[2:3], v7
	s_andn2_b64 exec, exec, s[62:63]
	s_cbranch_execz .LBB61_172
.LBB61_169:                             ;   Parent Loop BB61_11 Depth=1
                                        ; =>  This Loop Header: Depth=2
                                        ;       Child Loop BB61_171 Depth 3
	v_add_u32_e32 v2, s21, v6
	v_ashrrev_i32_e32 v3, 31, v2
	v_lshlrev_b64 v[20:21], 2, v[2:3]
	v_mov_b32_e32 v7, s11
	v_add_co_u32_e32 v20, vcc, s9, v20
	v_addc_co_u32_e32 v21, vcc, v7, v21, vcc
	flat_load_dword v7, v[20:21]
	s_andn2_b64 vcc, exec, s[12:13]
	s_cbranch_vccnz .LBB61_168
; %bb.170:                              ;   in Loop: Header=BB61_169 Depth=2
	s_mov_b32 s52, 0
	s_mov_b64 s[70:71], s[14:15]
	s_mov_b32 s53, s28
.LBB61_171:                             ;   Parent Loop BB61_11 Depth=1
                                        ;     Parent Loop BB61_169 Depth=2
                                        ; =>    This Inner Loop Header: Depth=3
	v_add_u32_e32 v2, s52, v5
	v_ashrrev_i32_e32 v3, 31, v2
	v_lshlrev_b64 v[20:21], 2, v[2:3]
	v_mov_b32_e32 v22, s11
	s_add_u32 s54, s70, s25
	v_add_co_u32_e32 v20, vcc, s9, v20
	s_addc_u32 s55, s71, s48
	v_addc_co_u32_e32 v21, vcc, v22, v21, vcc
	global_load_dword v23, v9, s[70:71] offset:16
	global_load_dword v24, v9, s[54:55]
	flat_load_dword v25, v[20:21]
	v_add_u32_e32 v20, s52, v4
	v_ashrrev_i32_e32 v21, 31, v20
	v_lshlrev_b64 v[20:21], 2, v[20:21]
	s_add_i32 s53, s53, -1
	v_add_co_u32_e32 v20, vcc, s9, v20
	s_add_u32 s70, s70, s30
	v_addc_co_u32_e32 v21, vcc, v22, v21, vcc
	s_addc_u32 s71, s71, s31
	s_add_i32 s52, s52, s49
	s_cmp_eq_u32 s53, 0
	s_waitcnt vmcnt(0) lgkmcnt(0)
	v_mul_f32_e32 v22, v25, v24
	v_fma_f32 v22, v7, v23, -v22
	v_mul_f32_e32 v7, v7, v24
	v_fmac_f32_e32 v7, v25, v23
	flat_store_dword v[20:21], v22
	s_cbranch_scc0 .LBB61_171
	s_branch .LBB61_168
.LBB61_172:                             ;   in Loop: Header=BB61_11 Depth=1
	s_or_b64 exec, exec, s[4:5]
	s_andn2_b64 vcc, exec, s[50:51]
	s_cbranch_vccnz .LBB61_10
.LBB61_173:                             ;   in Loop: Header=BB61_11 Depth=1
	s_mov_b64 s[12:13], exec
	v_readlane_b32 s4, v31, 8
	v_readlane_b32 s5, v31, 9
	s_and_b64 s[4:5], s[12:13], s[4:5]
	s_mov_b64 exec, s[4:5]
	s_cbranch_execz .LBB61_9
; %bb.174:                              ;   in Loop: Header=BB61_11 Depth=1
	v_readlane_b32 s14, v31, 4
	s_add_u32 s9, s44, s64
	v_readlane_b32 s15, v31, 5
	s_addc_u32 s11, s45, s65
	s_add_i32 s4, s28, -1
	s_load_dword s5, s[14:15], 0xc
	s_cmp_eq_u32 s66, 0
	s_cselect_b32 s4, s4, 0
	s_cselect_b32 s21, s28, 0
	s_add_i32 s4, s4, s29
	s_cmp_gt_i32 s28, 0
	s_cselect_b64 s[14:15], -1, 0
	s_waitcnt lgkmcnt(0)
	s_and_b32 s24, s5, 0xffff
	s_ashr_i32 s5, s4, 31
	s_lshl_b64 s[30:31], s[68:69], 2
	s_lshl_b64 s[4:5], s[4:5], 2
	s_add_u32 s48, s30, s4
	s_addc_u32 s49, s31, s5
	s_add_u32 s25, s19, s48
	s_addc_u32 s29, s8, s49
	s_lshl_b32 s53, s66, 1
	s_add_i32 s30, s53, -2
	s_ashr_i32 s31, s30, 31
	s_lshl_b64 s[62:63], s[30:31], 2
	s_ashr_i32 s61, s60, 31
	s_or_b32 s62, s62, 4
	s_lshl_b64 s[4:5], s[60:61], 2
	s_add_u32 s4, s48, s4
	s_addc_u32 s5, s49, s5
	s_sub_u32 s4, s4, s64
	s_subb_u32 s5, s5, s65
	v_readlane_b32 s48, v31, 18
	s_add_u32 s48, s48, s4
	v_readlane_b32 s4, v31, 19
	s_addc_u32 s49, s4, s5
	s_add_i32 s53, s53, s21
	v_add_u32_e32 v2, s21, v16
	s_mul_i32 s52, s43, s24
	s_not_b64 s[60:61], s[30:31]
	v_add_u32_e32 v4, s53, v17
	s_or_b32 s30, s30, 1
	s_mov_b64 s[64:65], 0
	v_mov_b32_e32 v20, v0
	s_branch .LBB61_176
.LBB61_175:                             ;   in Loop: Header=BB61_176 Depth=2
	v_lshlrev_b64 v[6:7], 2, v[6:7]
	v_mov_b32_e32 v3, s11
	v_add_co_u32_e32 v6, vcc, s9, v6
	v_addc_co_u32_e32 v7, vcc, v3, v7, vcc
	v_add_u32_e32 v20, s24, v20
	v_cmp_le_i32_e32 vcc, s39, v20
	v_add_u32_e32 v2, s52, v2
	s_or_b64 s[64:65], vcc, s[64:65]
	v_add_u32_e32 v4, s52, v4
	s_waitcnt vmcnt(0) lgkmcnt(0)
	flat_store_dword v[6:7], v21
	s_andn2_b64 exec, exec, s[64:65]
	s_cbranch_execz .LBB61_9
.LBB61_176:                             ;   Parent Loop BB61_11 Depth=1
                                        ; =>  This Loop Header: Depth=2
                                        ;       Child Loop BB61_178 Depth 3
	v_mul_lo_u32 v3, v20, s43
	v_add_u32_e32 v6, s21, v3
	v_ashrrev_i32_e32 v7, 31, v6
	v_lshlrev_b64 v[22:23], 2, v[6:7]
	v_mov_b32_e32 v3, s11
	v_add_co_u32_e32 v22, vcc, s9, v22
	v_addc_co_u32_e32 v23, vcc, v3, v23, vcc
	flat_load_dword v21, v[22:23]
	s_andn2_b64 vcc, exec, s[14:15]
	s_cbranch_vccnz .LBB61_175
; %bb.177:                              ;   in Loop: Header=BB61_176 Depth=2
	v_ashrrev_i32_e32 v3, 31, v2
	v_lshlrev_b64 v[6:7], 2, v[2:3]
	v_mov_b32_e32 v23, s11
	v_add_co_u32_e32 v3, vcc, s9, v6
	v_addc_co_u32_e32 v22, vcc, v23, v7, vcc
	v_ashrrev_i32_e32 v5, 31, v4
	v_mov_b32_e32 v7, s61
	v_add_co_u32_e32 v6, vcc, s60, v4
	v_addc_co_u32_e32 v7, vcc, v7, v5, vcc
	v_lshlrev_b64 v[24:25], 2, v[4:5]
	v_add_co_u32_e32 v5, vcc, s9, v24
	v_addc_co_u32_e32 v23, vcc, v23, v25, vcc
	s_mov_b64 s[66:67], 0
	s_mov_b32 s53, s28
.LBB61_178:                             ;   Parent Loop BB61_11 Depth=1
                                        ;     Parent Loop BB61_176 Depth=2
                                        ; =>    This Inner Loop Header: Depth=3
	s_add_u32 s4, s25, s66
	s_addc_u32 s5, s29, s67
	v_mov_b32_e32 v26, s67
	v_add_co_u32_e32 v24, vcc, s66, v5
	s_add_u32 s54, s48, s66
	v_addc_co_u32_e32 v25, vcc, v23, v26, vcc
	s_addc_u32 s55, s49, s67
	flat_load_dword v27, v[24:25]
	global_load_dword v28, v9, s[4:5] offset:16
	global_load_dword v29, v9, s[54:55]
	v_add_co_u32_e64 v24, s[4:5], s66, v3
	s_add_i32 s53, s53, -1
	v_addc_co_u32_e64 v25, s[4:5], v22, v26, s[4:5]
	s_add_u32 s66, s66, s62
	v_mov_b32_e32 v30, s31
	v_add_co_u32_e32 v6, vcc, s30, v6
	s_addc_u32 s67, s67, s63
	v_addc_co_u32_e32 v7, vcc, v7, v30, vcc
	s_cmp_eq_u32 s53, 0
	s_waitcnt vmcnt(0) lgkmcnt(0)
	v_mul_f32_e32 v26, v27, v29
	v_fma_f32 v26, v21, v28, -v26
	v_mul_f32_e32 v21, v21, v29
	v_fmac_f32_e32 v21, v27, v28
	flat_store_dword v[24:25], v26
	s_cbranch_scc0 .LBB61_178
	s_branch .LBB61_175
.LBB61_179:
	s_endpgm
	.section	.rodata,"a",@progbits
	.p2align	6, 0x0
	.amdhsa_kernel _ZN9rocsolver6v33100L13bdsqr_computeILi256EffPfS2_S2_EEviiiiPT1_lS4_lT2_iilT3_iilT4_iiliS3_S3_S3_S3_PiS4_ilS8_
		.amdhsa_group_segment_fixed_size 1040
		.amdhsa_private_segment_fixed_size 0
		.amdhsa_kernarg_size 440
		.amdhsa_user_sgpr_count 6
		.amdhsa_user_sgpr_private_segment_buffer 1
		.amdhsa_user_sgpr_dispatch_ptr 0
		.amdhsa_user_sgpr_queue_ptr 0
		.amdhsa_user_sgpr_kernarg_segment_ptr 1
		.amdhsa_user_sgpr_dispatch_id 0
		.amdhsa_user_sgpr_flat_scratch_init 0
		.amdhsa_user_sgpr_kernarg_preload_length 0
		.amdhsa_user_sgpr_kernarg_preload_offset 0
		.amdhsa_user_sgpr_private_segment_size 0
		.amdhsa_uses_dynamic_stack 0
		.amdhsa_system_sgpr_private_segment_wavefront_offset 0
		.amdhsa_system_sgpr_workgroup_id_x 1
		.amdhsa_system_sgpr_workgroup_id_y 1
		.amdhsa_system_sgpr_workgroup_id_z 1
		.amdhsa_system_sgpr_workgroup_info 0
		.amdhsa_system_vgpr_workitem_id 0
		.amdhsa_next_free_vgpr 32
		.amdhsa_next_free_sgpr 96
		.amdhsa_accum_offset 32
		.amdhsa_reserve_vcc 1
		.amdhsa_reserve_flat_scratch 0
		.amdhsa_float_round_mode_32 0
		.amdhsa_float_round_mode_16_64 0
		.amdhsa_float_denorm_mode_32 3
		.amdhsa_float_denorm_mode_16_64 3
		.amdhsa_dx10_clamp 1
		.amdhsa_ieee_mode 1
		.amdhsa_fp16_overflow 0
		.amdhsa_tg_split 0
		.amdhsa_exception_fp_ieee_invalid_op 0
		.amdhsa_exception_fp_denorm_src 0
		.amdhsa_exception_fp_ieee_div_zero 0
		.amdhsa_exception_fp_ieee_overflow 0
		.amdhsa_exception_fp_ieee_underflow 0
		.amdhsa_exception_fp_ieee_inexact 0
		.amdhsa_exception_int_div_zero 0
	.end_amdhsa_kernel
	.section	.text._ZN9rocsolver6v33100L13bdsqr_computeILi256EffPfS2_S2_EEviiiiPT1_lS4_lT2_iilT3_iilT4_iiliS3_S3_S3_S3_PiS4_ilS8_,"axG",@progbits,_ZN9rocsolver6v33100L13bdsqr_computeILi256EffPfS2_S2_EEviiiiPT1_lS4_lT2_iilT3_iilT4_iiliS3_S3_S3_S3_PiS4_ilS8_,comdat
.Lfunc_end61:
	.size	_ZN9rocsolver6v33100L13bdsqr_computeILi256EffPfS2_S2_EEviiiiPT1_lS4_lT2_iilT3_iilT4_iiliS3_S3_S3_S3_PiS4_ilS8_, .Lfunc_end61-_ZN9rocsolver6v33100L13bdsqr_computeILi256EffPfS2_S2_EEviiiiPT1_lS4_lT2_iilT3_iilT4_iiliS3_S3_S3_S3_PiS4_ilS8_
                                        ; -- End function
	.section	.AMDGPU.csdata,"",@progbits
; Kernel info:
; codeLenInByte = 8712
; NumSgprs: 100
; NumVgprs: 32
; NumAgprs: 0
; TotalNumVgprs: 32
; ScratchSize: 0
; MemoryBound: 0
; FloatMode: 240
; IeeeMode: 1
; LDSByteSize: 1040 bytes/workgroup (compile time only)
; SGPRBlocks: 12
; VGPRBlocks: 3
; NumSGPRsForWavesPerEU: 100
; NumVGPRsForWavesPerEU: 32
; AccumOffset: 32
; Occupancy: 8
; WaveLimiterHint : 1
; COMPUTE_PGM_RSRC2:SCRATCH_EN: 0
; COMPUTE_PGM_RSRC2:USER_SGPR: 6
; COMPUTE_PGM_RSRC2:TRAP_HANDLER: 0
; COMPUTE_PGM_RSRC2:TGID_X_EN: 1
; COMPUTE_PGM_RSRC2:TGID_Y_EN: 1
; COMPUTE_PGM_RSRC2:TGID_Z_EN: 1
; COMPUTE_PGM_RSRC2:TIDIG_COMP_CNT: 0
; COMPUTE_PGM_RSRC3_GFX90A:ACCUM_OFFSET: 7
; COMPUTE_PGM_RSRC3_GFX90A:TG_SPLIT: 0
	.section	.text._ZN9rocsolver6v33100L12bdsqr_rotateIffPfS2_S2_EEviiiiT1_iilT2_iilT3_iiliPiPT0_ilS6_,"axG",@progbits,_ZN9rocsolver6v33100L12bdsqr_rotateIffPfS2_S2_EEviiiiT1_iilT2_iilT3_iiliPiPT0_ilS6_,comdat
	.globl	_ZN9rocsolver6v33100L12bdsqr_rotateIffPfS2_S2_EEviiiiT1_iilT2_iilT3_iiliPiPT0_ilS6_ ; -- Begin function _ZN9rocsolver6v33100L12bdsqr_rotateIffPfS2_S2_EEviiiiT1_iilT2_iilT3_iiliPiPT0_ilS6_
	.p2align	8
	.type	_ZN9rocsolver6v33100L12bdsqr_rotateIffPfS2_S2_EEviiiiT1_iilT2_iilT3_iiliPiPT0_ilS6_,@function
_ZN9rocsolver6v33100L12bdsqr_rotateIffPfS2_S2_EEviiiiT1_iilT2_iilT3_iiliPiPT0_ilS6_: ; @_ZN9rocsolver6v33100L12bdsqr_rotateIffPfS2_S2_EEviiiiT1_iilT2_iilT3_iiliPiPT0_ilS6_
; %bb.0:
	s_load_dwordx4 s[0:3], s[4:5], 0x78
	s_ashr_i32 s9, s8, 31
	s_lshl_b64 s[10:11], s[8:9], 2
	s_waitcnt lgkmcnt(0)
	s_add_u32 s2, s2, s10
	s_addc_u32 s3, s3, s11
	s_load_dword s2, s[2:3], 0x8
	s_waitcnt lgkmcnt(0)
	s_cmp_lg_u32 s2, 0
	s_cbranch_scc1 .LBB62_25
; %bb.1:
	s_load_dwordx8 s[12:19], s[4:5], 0x10
	s_add_u32 s24, s4, 0x88
	s_addc_u32 s25, s5, 0
	s_mov_b64 s[2:3], 0
	s_mov_b64 s[10:11], 0
	s_waitcnt lgkmcnt(0)
	s_cmp_eq_u64 s[12:13], 0
	s_cbranch_scc1 .LBB62_3
; %bb.2:
	s_ashr_i32 s11, s14, 31
	s_mov_b32 s10, s14
	s_mul_i32 s14, s8, s17
	s_mul_hi_u32 s17, s8, s16
	s_add_i32 s14, s17, s14
	s_mul_i32 s17, s9, s16
	s_add_i32 s17, s14, s17
	s_mul_i32 s16, s8, s16
	s_lshl_b64 s[16:17], s[16:17], 2
	s_add_u32 s12, s12, s16
	s_addc_u32 s13, s13, s17
	s_lshl_b64 s[10:11], s[10:11], 2
	s_add_u32 s10, s12, s10
	s_addc_u32 s11, s13, s11
.LBB62_3:
	s_load_dwordx2 s[12:13], s[4:5], 0x30
	s_load_dwordx4 s[20:23], s[4:5], 0x38
	s_cmp_eq_u64 s[18:19], 0
	s_cbranch_scc1 .LBB62_5
; %bb.4:
	s_waitcnt lgkmcnt(0)
	s_ashr_i32 s3, s12, 31
	s_mov_b32 s2, s12
	s_mul_i32 s12, s8, s21
	s_mul_hi_u32 s14, s8, s20
	s_add_i32 s12, s14, s12
	s_mul_i32 s14, s9, s20
	s_add_i32 s17, s12, s14
	s_mul_i32 s16, s8, s20
	s_lshl_b64 s[16:17], s[16:17], 2
	s_add_u32 s12, s18, s16
	s_addc_u32 s14, s19, s17
	s_lshl_b64 s[2:3], s[2:3], 2
	s_add_u32 s2, s12, s2
	s_addc_u32 s3, s14, s3
.LBB62_5:
	s_load_dwordx2 s[26:27], s[4:5], 0x48
	s_waitcnt lgkmcnt(0)
	s_cmp_eq_u64 s[22:23], 0
	s_mov_b64 s[20:21], 0
	s_cbranch_scc1 .LBB62_7
; %bb.6:
	s_load_dwordx2 s[16:17], s[4:5], 0x50
	s_ashr_i32 s19, s26, 31
	s_mov_b32 s18, s26
	s_waitcnt lgkmcnt(0)
	s_mul_i32 s12, s8, s17
	s_mul_hi_u32 s14, s8, s16
	s_mul_i32 s17, s9, s16
	s_add_i32 s12, s14, s12
	s_add_i32 s17, s12, s17
	s_mul_i32 s16, s8, s16
	s_lshl_b64 s[16:17], s[16:17], 2
	s_add_u32 s12, s22, s16
	s_addc_u32 s14, s23, s17
	s_lshl_b64 s[16:17], s[18:19], 2
	s_add_u32 s20, s12, s16
	s_addc_u32 s21, s14, s17
.LBB62_7:
	s_load_dwordx4 s[16:19], s[4:5], 0x60
	s_mul_i32 s1, s8, s1
	s_mul_hi_u32 s12, s8, s0
	s_add_i32 s1, s12, s1
	s_mul_i32 s9, s9, s0
	s_add_i32 s1, s1, s9
	s_mul_i32 s0, s8, s0
	s_lshl_b64 s[22:23], s[0:1], 2
	s_waitcnt lgkmcnt(0)
	s_add_u32 s0, s18, s22
	s_addc_u32 s1, s19, s23
	s_load_dword s0, s[0:1], 0x8
	s_waitcnt lgkmcnt(0)
	v_cvt_i32_f32_e32 v4, s0
	v_cmp_ge_i32_e32 vcc, s7, v4
	s_cbranch_vccnz .LBB62_25
; %bb.8:
	s_load_dwordx4 s[28:31], s[4:5], 0x0
	s_load_dword s12, s[4:5], 0x58
	s_load_dword s9, s[4:5], 0x94
	;; [unrolled: 1-line block ×3, first 2 shown]
	v_mov_b32_e32 v8, 0
	s_waitcnt lgkmcnt(0)
	s_mul_i32 s0, s8, s28
	s_lshl_b32 s0, s0, 1
	s_ashr_i32 s1, s0, 31
	s_lshl_b64 s[0:1], s[0:1], 2
	s_add_u32 s36, s16, s0
	s_addc_u32 s37, s17, s1
	s_and_b32 s0, 0xffff, s9
	s_mul_i32 s6, s6, s0
	s_cmp_eq_u32 s29, 0
	v_add_u32_e32 v5, s6, v0
	s_cselect_b64 s[0:1], -1, 0
	s_cmp_lg_u64 s[10:11], 0
	s_cselect_b64 s[4:5], -1, 0
	v_cmp_gt_i32_e32 vcc, s29, v5
	s_and_b64 s[4:5], vcc, s[4:5]
	s_cmp_lg_u64 s[2:3], 0
	s_cselect_b64 s[8:9], -1, 0
	v_cmp_gt_i32_e32 vcc, s30, v5
	s_and_b64 s[8:9], vcc, s[8:9]
	s_cmp_lg_u64 s[20:21], 0
	v_mul_lo_u32 v6, v5, s15
	s_cselect_b64 s[14:15], -1, 0
	v_cmp_gt_i32_e32 vcc, s31, v5
	s_and_b64 s[14:15], vcc, s[14:15]
	s_load_dword s6, s[24:25], 0x4
	s_add_u32 s38, s18, s22
	s_addc_u32 s39, s19, s23
	s_add_u32 s40, s38, 20
	v_mul_lo_u32 v7, v5, s27
	s_addc_u32 s41, s39, 0
	s_branch .LBB62_12
.LBB62_9:                               ;   in Loop: Header=BB62_12 Depth=1
	v_mov_b32_e32 v0, s23
	v_subrev_co_u32_e32 v1, vcc, s22, v2
	s_add_u32 s16, s18, s20
	v_subb_co_u32_e32 v2, vcc, v3, v0, vcc
	s_addc_u32 s17, s19, s21
	v_mov_b32_e32 v3, s17
	v_add_co_u32_e32 v0, vcc, s16, v1
	v_addc_co_u32_e32 v1, vcc, v3, v2, vcc
	flat_store_dword v[0:1], v9
.LBB62_10:                              ;   in Loop: Header=BB62_12 Depth=1
	s_or_b64 exec, exec, s[28:29]
.LBB62_11:                              ;   in Loop: Header=BB62_12 Depth=1
	s_add_i32 s7, s6, s7
	v_cmp_lt_i32_e32 vcc, s7, v4
	s_cbranch_vccz .LBB62_25
.LBB62_12:                              ; =>This Loop Header: Depth=1
                                        ;     Child Loop BB62_16 Depth 2
                                        ;     Child Loop BB62_20 Depth 2
	;; [unrolled: 1-line block ×3, first 2 shown]
	s_lshl_b32 s16, s7, 2
	s_ashr_i32 s17, s16, 31
	s_lshl_b64 s[16:17], s[16:17], 2
	s_add_u32 s16, s36, s16
	s_addc_u32 s17, s37, s17
	s_load_dwordx2 s[18:19], s[16:17], 0x0
	s_load_dword s24, s[16:17], 0x8
	s_waitcnt lgkmcnt(0)
	s_cmp_le_i32 s24, s19
	s_cbranch_scc1 .LBB62_11
; %bb.13:                               ;   in Loop: Header=BB62_12 Depth=1
	s_load_dword s16, s[16:17], 0xc
	s_waitcnt lgkmcnt(0)
	s_cmp_lt_i32 s16, s12
	s_cselect_b64 s[16:17], -1, 0
	s_cmp_lg_u32 s18, 0
	s_cselect_b64 s[22:23], -1, 0
	s_and_b64 s[16:17], s[16:17], s[22:23]
	s_andn2_b64 vcc, exec, s[16:17]
	s_cbranch_vccnz .LBB62_11
; %bb.14:                               ;   in Loop: Header=BB62_12 Depth=1
	s_mul_i32 s22, s19, s33
	s_ashr_i32 s23, s22, 31
	s_cmp_gt_i32 s18, 0
	s_cselect_b64 s[26:27], -1, 0
	s_sub_i32 s16, s24, s19
	s_and_saveexec_b64 s[28:29], s[4:5]
	s_cbranch_execz .LBB62_18
; %bb.15:                               ;   in Loop: Header=BB62_12 Depth=1
	s_and_b64 s[30:31], s[26:27], exec
	s_cselect_b32 s17, s19, s24
	v_add_u32_e32 v2, s17, v6
	v_ashrrev_i32_e32 v3, 31, v2
	v_lshlrev_b64 v[0:1], 2, v[2:3]
	v_mov_b32_e32 v11, s11
	v_add_co_u32_e32 v0, vcc, s10, v0
	v_addc_co_u32_e32 v1, vcc, v11, v1, vcc
	flat_load_dword v9, v[0:1]
	s_add_i32 s17, s16, -1
	s_and_b64 s[30:31], s[26:27], exec
	s_cselect_b32 s30, 0, s17
	s_ashr_i32 s31, s30, 31
	s_lshl_b64 s[30:31], s[30:31], 2
	s_lshl_b64 s[34:35], s[22:23], 2
	s_add_u32 s43, s30, s34
	s_addc_u32 s44, s31, s35
	s_add_u32 s17, s38, s43
	s_addc_u32 s42, s39, s44
	s_ashr_i32 s31, s18, 31
	s_mov_b32 s30, s18
	s_ashr_i32 s25, s24, 31
	s_lshl_b64 s[30:31], s[30:31], 2
	s_lshl_b64 s[34:35], s[24:25], 2
	s_add_u32 s25, s43, s34
	s_addc_u32 s43, s44, s35
	s_ashr_i32 s35, s19, 31
	s_mov_b32 s34, s19
	s_lshl_b64 s[34:35], s[34:35], 2
	v_add_u32_e32 v2, s18, v2
	s_sub_u32 s25, s25, s34
	v_ashrrev_i32_e32 v3, 31, v2
	s_subb_u32 s34, s43, s35
	v_lshlrev_b64 v[2:3], 2, v[2:3]
	s_add_u32 s25, s40, s25
	v_add_co_u32_e32 v10, vcc, s10, v2
	s_addc_u32 s43, s41, s34
	v_addc_co_u32_e32 v11, vcc, v11, v3, vcc
	s_mov_b64 s[34:35], 0
	s_mov_b32 s44, s16
.LBB62_16:                              ;   Parent Loop BB62_12 Depth=1
                                        ; =>  This Inner Loop Header: Depth=2
	s_add_u32 s46, s17, s34
	s_addc_u32 s47, s42, s35
	v_mov_b32_e32 v14, s35
	v_add_co_u32_e32 v12, vcc, s34, v10
	s_add_u32 s48, s25, s34
	v_addc_co_u32_e32 v13, vcc, v11, v14, vcc
	s_addc_u32 s49, s43, s35
	flat_load_dword v15, v[12:13]
	global_load_dword v16, v8, s[46:47] offset:16
	global_load_dword v17, v8, s[48:49]
	v_add_co_u32_e32 v12, vcc, s34, v0
	s_add_i32 s44, s44, -1
	v_addc_co_u32_e32 v13, vcc, v1, v14, vcc
	s_add_u32 s34, s34, s30
	s_addc_u32 s35, s35, s31
	s_cmp_eq_u32 s44, 0
	s_waitcnt vmcnt(0) lgkmcnt(0)
	v_mul_f32_e32 v14, v15, v17
	v_fma_f32 v14, v9, v16, -v14
	v_mul_f32_e32 v9, v9, v17
	v_fmac_f32_e32 v9, v15, v16
	flat_store_dword v[12:13], v14
	s_cbranch_scc0 .LBB62_16
; %bb.17:                               ;   in Loop: Header=BB62_12 Depth=1
	v_mov_b32_e32 v0, s31
	v_subrev_co_u32_e32 v1, vcc, s30, v2
	s_add_u32 s17, s34, s10
	v_subb_co_u32_e32 v2, vcc, v3, v0, vcc
	s_addc_u32 s25, s35, s11
	v_mov_b32_e32 v3, s25
	v_add_co_u32_e32 v0, vcc, s17, v1
	v_addc_co_u32_e32 v1, vcc, v3, v2, vcc
	flat_store_dword v[0:1], v9
.LBB62_18:                              ;   in Loop: Header=BB62_12 Depth=1
	s_or_b64 exec, exec, s[28:29]
	s_lshl_b32 s17, s16, 1
	s_add_i32 s17, s17, 2
	s_and_b64 s[28:29], s[0:1], exec
	s_cselect_b32 s25, 0, s17
	s_and_saveexec_b64 s[28:29], s[8:9]
	s_cbranch_execz .LBB62_22
; %bb.19:                               ;   in Loop: Header=BB62_12 Depth=1
	s_and_b64 s[30:31], s[26:27], exec
	s_cselect_b32 s46, s19, s24
	s_mul_i32 s42, s46, s13
	v_add_u32_e32 v0, s42, v5
	v_ashrrev_i32_e32 v1, 31, v0
	v_lshlrev_b64 v[0:1], 2, v[0:1]
	v_mov_b32_e32 v2, s3
	v_add_co_u32_e32 v0, vcc, s2, v0
	v_addc_co_u32_e32 v1, vcc, v2, v1, vcc
	flat_load_dword v2, v[0:1]
	s_add_i32 s17, s16, -1
	s_and_b64 s[30:31], s[26:27], exec
	s_cselect_b32 s17, 0, s17
	s_add_i32 s30, s25, s17
	s_ashr_i32 s31, s30, 31
	s_ashr_i32 s17, s16, 31
	s_lshl_b64 s[34:35], s[22:23], 2
	s_lshl_b64 s[30:31], s[30:31], 2
	s_add_u32 s30, s34, s30
	s_addc_u32 s31, s35, s31
	s_add_u32 s30, s38, s30
	s_addc_u32 s31, s39, s31
	s_ashr_i32 s35, s18, 31
	s_mov_b32 s34, s18
	s_lshl_b64 s[34:35], s[34:35], 2
	s_lshl_b64 s[44:45], s[16:17], 2
	s_add_u32 s17, s44, 20
	s_addc_u32 s43, s45, 0
	s_add_i32 s46, s46, s18
	s_mul_i32 s44, s13, s46
	s_mul_i32 s45, s13, s18
	v_mov_b32_e32 v3, v5
	s_mov_b32 s46, s16
.LBB62_20:                              ;   Parent Loop BB62_12 Depth=1
                                        ; =>  This Inner Loop Header: Depth=2
	v_add_u32_e32 v0, s44, v3
	v_ashrrev_i32_e32 v1, 31, v0
	v_lshlrev_b64 v[0:1], 2, v[0:1]
	v_mov_b32_e32 v9, s3
	s_add_u32 s48, s30, s17
	v_add_co_u32_e32 v0, vcc, s2, v0
	s_addc_u32 s49, s31, s43
	v_addc_co_u32_e32 v1, vcc, v9, v1, vcc
	global_load_dword v12, v8, s[30:31] offset:16
	global_load_dword v13, v8, s[48:49]
	flat_load_dword v14, v[0:1]
	v_add_u32_e32 v10, s42, v3
	v_ashrrev_i32_e32 v11, 31, v10
	v_lshlrev_b64 v[10:11], 2, v[10:11]
	s_add_i32 s46, s46, -1
	v_add_co_u32_e32 v10, vcc, s2, v10
	s_add_u32 s30, s30, s34
	v_addc_co_u32_e32 v11, vcc, v9, v11, vcc
	s_addc_u32 s31, s31, s35
	v_add_u32_e32 v3, s45, v3
	s_cmp_eq_u32 s46, 0
	s_waitcnt vmcnt(0) lgkmcnt(0)
	v_mul_f32_e32 v9, v14, v13
	v_fma_f32 v9, v2, v12, -v9
	v_mul_f32_e32 v2, v2, v13
	v_fmac_f32_e32 v2, v14, v12
	flat_store_dword v[10:11], v9
	s_cbranch_scc0 .LBB62_20
; %bb.21:                               ;   in Loop: Header=BB62_12 Depth=1
	flat_store_dword v[0:1], v2
.LBB62_22:                              ;   in Loop: Header=BB62_12 Depth=1
	s_or_b64 exec, exec, s[28:29]
	s_and_saveexec_b64 s[28:29], s[14:15]
	s_cbranch_execz .LBB62_10
; %bb.23:                               ;   in Loop: Header=BB62_12 Depth=1
	s_and_b64 s[30:31], s[26:27], exec
	s_cselect_b32 s17, s19, s24
	v_add_u32_e32 v2, s17, v7
	v_ashrrev_i32_e32 v3, 31, v2
	v_lshlrev_b64 v[0:1], 2, v[2:3]
	v_mov_b32_e32 v11, s21
	v_add_co_u32_e32 v0, vcc, s20, v0
	v_addc_co_u32_e32 v1, vcc, v11, v1, vcc
	flat_load_dword v9, v[0:1]
	s_add_i32 s17, s16, -1
	s_and_b64 s[26:27], s[26:27], exec
	s_cselect_b32 s17, 0, s17
	s_add_i32 s24, s25, s17
	s_ashr_i32 s25, s24, 31
	s_ashr_i32 s17, s16, 31
	s_lshl_b64 s[22:23], s[22:23], 2
	s_lshl_b64 s[24:25], s[24:25], 2
	s_add_u32 s30, s22, s24
	s_addc_u32 s31, s23, s25
	s_add_u32 s24, s38, s30
	s_addc_u32 s25, s39, s31
	s_ashr_i32 s19, s18, 31
	s_lshl_b64 s[22:23], s[18:19], 2
	s_lshl_b64 s[26:27], s[16:17], 2
	v_add_u32_e32 v2, s18, v2
	s_add_u32 s17, s30, s26
	v_ashrrev_i32_e32 v3, 31, v2
	s_addc_u32 s19, s31, s27
	v_lshlrev_b64 v[2:3], 2, v[2:3]
	s_add_u32 s17, s40, s17
	v_add_co_u32_e32 v10, vcc, s20, v2
	s_addc_u32 s26, s41, s19
	v_addc_co_u32_e32 v11, vcc, v11, v3, vcc
	s_mov_b64 s[18:19], 0
.LBB62_24:                              ;   Parent Loop BB62_12 Depth=1
                                        ; =>  This Inner Loop Header: Depth=2
	s_add_u32 s30, s24, s18
	s_addc_u32 s31, s25, s19
	v_mov_b32_e32 v14, s19
	v_add_co_u32_e32 v12, vcc, s18, v10
	s_add_u32 s34, s17, s18
	v_addc_co_u32_e32 v13, vcc, v11, v14, vcc
	s_addc_u32 s35, s26, s19
	flat_load_dword v15, v[12:13]
	global_load_dword v16, v8, s[30:31] offset:16
	global_load_dword v17, v8, s[34:35]
	v_add_co_u32_e32 v12, vcc, s18, v0
	s_add_i32 s16, s16, -1
	v_addc_co_u32_e32 v13, vcc, v1, v14, vcc
	s_add_u32 s18, s18, s22
	s_addc_u32 s19, s19, s23
	s_cmp_eq_u32 s16, 0
	s_waitcnt vmcnt(0) lgkmcnt(0)
	v_mul_f32_e32 v14, v15, v17
	v_fma_f32 v14, v9, v16, -v14
	v_mul_f32_e32 v9, v9, v17
	v_fmac_f32_e32 v9, v15, v16
	flat_store_dword v[12:13], v14
	s_cbranch_scc0 .LBB62_24
	s_branch .LBB62_9
.LBB62_25:
	s_endpgm
	.section	.rodata,"a",@progbits
	.p2align	6, 0x0
	.amdhsa_kernel _ZN9rocsolver6v33100L12bdsqr_rotateIffPfS2_S2_EEviiiiT1_iilT2_iilT3_iiliPiPT0_ilS6_
		.amdhsa_group_segment_fixed_size 0
		.amdhsa_private_segment_fixed_size 0
		.amdhsa_kernarg_size 392
		.amdhsa_user_sgpr_count 6
		.amdhsa_user_sgpr_private_segment_buffer 1
		.amdhsa_user_sgpr_dispatch_ptr 0
		.amdhsa_user_sgpr_queue_ptr 0
		.amdhsa_user_sgpr_kernarg_segment_ptr 1
		.amdhsa_user_sgpr_dispatch_id 0
		.amdhsa_user_sgpr_flat_scratch_init 0
		.amdhsa_user_sgpr_kernarg_preload_length 0
		.amdhsa_user_sgpr_kernarg_preload_offset 0
		.amdhsa_user_sgpr_private_segment_size 0
		.amdhsa_uses_dynamic_stack 0
		.amdhsa_system_sgpr_private_segment_wavefront_offset 0
		.amdhsa_system_sgpr_workgroup_id_x 1
		.amdhsa_system_sgpr_workgroup_id_y 1
		.amdhsa_system_sgpr_workgroup_id_z 1
		.amdhsa_system_sgpr_workgroup_info 0
		.amdhsa_system_vgpr_workitem_id 0
		.amdhsa_next_free_vgpr 18
		.amdhsa_next_free_sgpr 50
		.amdhsa_accum_offset 20
		.amdhsa_reserve_vcc 1
		.amdhsa_reserve_flat_scratch 0
		.amdhsa_float_round_mode_32 0
		.amdhsa_float_round_mode_16_64 0
		.amdhsa_float_denorm_mode_32 3
		.amdhsa_float_denorm_mode_16_64 3
		.amdhsa_dx10_clamp 1
		.amdhsa_ieee_mode 1
		.amdhsa_fp16_overflow 0
		.amdhsa_tg_split 0
		.amdhsa_exception_fp_ieee_invalid_op 0
		.amdhsa_exception_fp_denorm_src 0
		.amdhsa_exception_fp_ieee_div_zero 0
		.amdhsa_exception_fp_ieee_overflow 0
		.amdhsa_exception_fp_ieee_underflow 0
		.amdhsa_exception_fp_ieee_inexact 0
		.amdhsa_exception_int_div_zero 0
	.end_amdhsa_kernel
	.section	.text._ZN9rocsolver6v33100L12bdsqr_rotateIffPfS2_S2_EEviiiiT1_iilT2_iilT3_iiliPiPT0_ilS6_,"axG",@progbits,_ZN9rocsolver6v33100L12bdsqr_rotateIffPfS2_S2_EEviiiiT1_iilT2_iilT3_iiliPiPT0_ilS6_,comdat
.Lfunc_end62:
	.size	_ZN9rocsolver6v33100L12bdsqr_rotateIffPfS2_S2_EEviiiiT1_iilT2_iilT3_iiliPiPT0_ilS6_, .Lfunc_end62-_ZN9rocsolver6v33100L12bdsqr_rotateIffPfS2_S2_EEviiiiT1_iilT2_iilT3_iiliPiPT0_ilS6_
                                        ; -- End function
	.section	.AMDGPU.csdata,"",@progbits
; Kernel info:
; codeLenInByte = 1664
; NumSgprs: 54
; NumVgprs: 18
; NumAgprs: 0
; TotalNumVgprs: 18
; ScratchSize: 0
; MemoryBound: 0
; FloatMode: 240
; IeeeMode: 1
; LDSByteSize: 0 bytes/workgroup (compile time only)
; SGPRBlocks: 6
; VGPRBlocks: 2
; NumSGPRsForWavesPerEU: 54
; NumVGPRsForWavesPerEU: 18
; AccumOffset: 20
; Occupancy: 8
; WaveLimiterHint : 1
; COMPUTE_PGM_RSRC2:SCRATCH_EN: 0
; COMPUTE_PGM_RSRC2:USER_SGPR: 6
; COMPUTE_PGM_RSRC2:TRAP_HANDLER: 0
; COMPUTE_PGM_RSRC2:TGID_X_EN: 1
; COMPUTE_PGM_RSRC2:TGID_Y_EN: 1
; COMPUTE_PGM_RSRC2:TGID_Z_EN: 1
; COMPUTE_PGM_RSRC2:TIDIG_COMP_CNT: 0
; COMPUTE_PGM_RSRC3_GFX90A:ACCUM_OFFSET: 4
; COMPUTE_PGM_RSRC3_GFX90A:TG_SPLIT: 0
	.section	.text._ZN9rocsolver6v33100L14bdsqr_finalizeIffPfS2_S2_EEviiiiPT0_lS4_lT1_iilT2_iilT3_iilPiS8_S8_,"axG",@progbits,_ZN9rocsolver6v33100L14bdsqr_finalizeIffPfS2_S2_EEviiiiPT0_lS4_lT1_iilT2_iilT3_iilPiS8_S8_,comdat
	.globl	_ZN9rocsolver6v33100L14bdsqr_finalizeIffPfS2_S2_EEviiiiPT0_lS4_lT1_iilT2_iilT3_iilPiS8_S8_ ; -- Begin function _ZN9rocsolver6v33100L14bdsqr_finalizeIffPfS2_S2_EEviiiiPT0_lS4_lT1_iilT2_iilT3_iilPiS8_S8_
	.p2align	8
	.type	_ZN9rocsolver6v33100L14bdsqr_finalizeIffPfS2_S2_EEviiiiPT0_lS4_lT1_iilT2_iilT3_iilPiS8_S8_,@function
_ZN9rocsolver6v33100L14bdsqr_finalizeIffPfS2_S2_EEviiiiPT0_lS4_lT1_iilT2_iilT3_iilPiS8_S8_: ; @_ZN9rocsolver6v33100L14bdsqr_finalizeIffPfS2_S2_EEviiiiPT0_lS4_lT1_iilT2_iilT3_iilPiS8_S8_
; %bb.0:
	s_add_u32 flat_scratch_lo, s6, s10
	s_load_dwordx8 s[36:43], s[4:5], 0x70
	s_addc_u32 flat_scratch_hi, s7, 0
	s_add_u32 s0, s0, s10
	s_addc_u32 s1, s1, 0
	s_mov_b32 s12, s9
	s_ashr_i32 s13, s9, 31
	s_lshl_b64 s[26:27], s[12:13], 2
	s_waitcnt lgkmcnt(0)
	s_add_u32 s6, s42, s26
	s_addc_u32 s7, s43, s27
	s_load_dword s6, s[6:7], 0x8
	s_mov_b32 s32, 0
	s_waitcnt lgkmcnt(0)
	s_cmp_gt_i32 s6, 1
	s_cbranch_scc1 .LBB63_264
; %bb.1:
	s_load_dwordx2 s[6:7], s[4:5], 0x9c
	s_load_dwordx8 s[44:51], s[4:5], 0x30
	s_load_dwordx8 s[52:59], s[4:5], 0x10
	s_mov_b64 s[28:29], 0
	s_mov_b64 s[34:35], 0
	s_waitcnt lgkmcnt(0)
	s_and_b32 s7, s7, 0xffff
	s_cmp_eq_u64 s[44:45], 0
	s_cbranch_scc1 .LBB63_3
; %bb.2:
	s_mul_i32 s10, s12, s49
	s_mul_hi_u32 s11, s12, s48
	s_add_i32 s10, s11, s10
	s_mul_i32 s11, s13, s48
	s_add_i32 s11, s10, s11
	s_mul_i32 s10, s12, s48
	s_ashr_i32 s9, s46, 31
	s_lshl_b64 s[10:11], s[10:11], 2
	s_mov_b32 s8, s46
	s_add_u32 s10, s44, s10
	s_addc_u32 s11, s45, s11
	s_lshl_b64 s[8:9], s[8:9], 2
	s_add_u32 s34, s10, s8
	s_addc_u32 s35, s11, s9
.LBB63_3:
	s_load_dwordx2 s[42:43], s[4:5], 0x50
	s_load_dwordx4 s[8:11], s[4:5], 0x58
	s_cmp_eq_u64 s[50:51], 0
	s_cbranch_scc1 .LBB63_5
; %bb.4:
	s_waitcnt lgkmcnt(0)
	s_mul_i32 s9, s12, s9
	s_mul_hi_u32 s16, s12, s8
	s_add_i32 s9, s16, s9
	s_mul_i32 s16, s13, s8
	s_add_i32 s9, s9, s16
	s_mul_i32 s8, s12, s8
	s_ashr_i32 s15, s42, 31
	s_lshl_b64 s[8:9], s[8:9], 2
	s_mov_b32 s14, s42
	s_add_u32 s16, s50, s8
	s_addc_u32 s17, s51, s9
	s_lshl_b64 s[8:9], s[14:15], 2
	s_add_u32 s28, s16, s8
	s_addc_u32 s29, s17, s9
.LBB63_5:
	s_load_dwordx2 s[60:61], s[4:5], 0x68
	s_waitcnt lgkmcnt(0)
	s_cmp_eq_u64 s[10:11], 0
	s_mov_b64 s[44:45], 0
	s_cbranch_scc1 .LBB63_7
; %bb.6:
	s_mul_i32 s14, s12, s37
	s_mul_hi_u32 s15, s12, s36
	s_add_i32 s14, s15, s14
	s_mul_i32 s15, s13, s36
	s_add_i32 s15, s14, s15
	s_mul_i32 s14, s12, s36
	s_ashr_i32 s9, s60, 31
	s_lshl_b64 s[14:15], s[14:15], 2
	s_mov_b32 s8, s60
	s_add_u32 s10, s10, s14
	s_addc_u32 s11, s11, s15
	s_lshl_b64 s[8:9], s[8:9], 2
	s_add_u32 s44, s10, s8
	s_addc_u32 s45, s11, s9
.LBB63_7:
	s_mul_i32 s8, s12, s55
	s_mul_hi_u32 s9, s12, s54
	s_add_i32 s8, s9, s8
	s_mul_i32 s9, s13, s54
	s_add_i32 s9, s8, s9
	s_mul_i32 s8, s12, s54
	s_lshl_b64 s[54:55], s[8:9], 2
	s_add_u32 s36, s52, s54
	s_load_dwordx4 s[48:51], s[4:5], 0x0
	s_addc_u32 s37, s53, s55
	s_lshr_b32 s8, s6, 16
	s_and_b32 s42, s6, 0xffff
	v_bfe_u32 v43, v0, 10, 10
	v_bfe_u32 v44, v0, 20, 10
	s_mul_i32 s60, s8, s42
	v_and_b32_e32 v42, 0x3ff, v0
	v_mul_u32_u24_e32 v1, s42, v43
	v_mul_lo_u32 v0, s60, v44
	v_add3_u32 v41, v1, v42, v0
	s_and_b32 s6, s7, 0xffff
	s_mul_i32 s60, s60, s6
	s_waitcnt lgkmcnt(0)
	s_cmp_lt_i32 s48, 1
	v_cmp_eq_u32_e64 s[6:7], 0, v41
	s_cbranch_scc1 .LBB63_22
; %bb.8:
	s_mul_i32 s8, s12, s59
	s_mul_hi_u32 s9, s12, s58
	s_add_i32 s8, s9, s8
	s_mul_i32 s9, s13, s58
	s_add_i32 s9, s8, s9
	s_mul_i32 s8, s12, s58
	s_lshl_b64 s[8:9], s[8:9], 2
	s_add_u32 s13, s56, s8
	s_addc_u32 s22, s57, s9
	s_add_i32 s23, s48, -1
	s_cmp_lg_u32 s49, 0
	s_cselect_b64 s[10:11], -1, 0
	s_mov_b32 s15, 0
	v_cndmask_b32_e64 v0, 0, 1, s[10:11]
	v_cmp_gt_u32_e64 s[8:9], s49, v41
	s_ashr_i32 s24, s47, 31
	s_mov_b32 s25, s47
	v_mov_b32_e32 v2, 0
	v_cmp_ne_u32_e64 s[10:11], 1, v0
	v_mov_b32_e32 v3, s35
	s_mov_b32 s14, s15
	s_mov_b32 s46, s15
	s_branch .LBB63_11
.LBB63_9:                               ;   in Loop: Header=BB63_11 Depth=1
	s_or_b64 exec, exec, s[18:19]
.LBB63_10:                              ;   in Loop: Header=BB63_11 Depth=1
	s_add_i32 s14, s14, 1
	s_cmp_eq_u32 s14, s48
	s_cbranch_scc1 .LBB63_23
.LBB63_11:                              ; =>This Loop Header: Depth=1
                                        ;     Child Loop BB63_18 Depth 2
	s_cmp_ge_i32 s14, s23
	s_cbranch_scc1 .LBB63_14
; %bb.12:                               ;   in Loop: Header=BB63_11 Depth=1
	s_lshl_b64 s[16:17], s[14:15], 2
	s_add_u32 s16, s13, s16
	s_addc_u32 s17, s22, s17
	global_load_dword v0, v2, s[16:17]
	s_waitcnt vmcnt(0)
	v_cmp_eq_f32_e32 vcc, 0, v0
	s_cbranch_vccnz .LBB63_14
; %bb.13:                               ;   in Loop: Header=BB63_11 Depth=1
	s_add_i32 s46, s46, 1
.LBB63_14:                              ;   in Loop: Header=BB63_11 Depth=1
	s_lshl_b64 s[16:17], s[14:15], 2
	s_add_u32 s16, s36, s16
	s_addc_u32 s17, s37, s17
	global_load_dword v0, v2, s[16:17]
	s_waitcnt vmcnt(0)
	v_cmp_ngt_f32_e32 vcc, 0, v0
	s_cbranch_vccnz .LBB63_10
; %bb.15:                               ;   in Loop: Header=BB63_11 Depth=1
	s_and_b64 vcc, exec, s[10:11]
	s_cbranch_vccnz .LBB63_20
; %bb.16:                               ;   in Loop: Header=BB63_11 Depth=1
	s_and_saveexec_b64 s[18:19], s[8:9]
	s_cbranch_execz .LBB63_19
; %bb.17:                               ;   in Loop: Header=BB63_11 Depth=1
	s_mov_b64 s[20:21], 0
	v_pk_mov_b32 v[0:1], s[14:15], s[14:15] op_sel:[0,1]
	v_mov_b32_e32 v4, v41
.LBB63_18:                              ;   Parent Loop BB63_11 Depth=1
                                        ; =>  This Inner Loop Header: Depth=2
	v_mad_u64_u32 v[6:7], s[30:31], v4, s25, v[0:1]
	v_mov_b32_e32 v8, v7
	v_mad_u64_u32 v[8:9], s[30:31], v4, s24, v[8:9]
	v_mov_b32_e32 v7, v8
	v_lshlrev_b64 v[6:7], 2, v[6:7]
	v_add_co_u32_e32 v6, vcc, s34, v6
	v_addc_co_u32_e32 v7, vcc, v3, v7, vcc
	flat_load_dword v5, v[6:7]
	v_add_u32_e32 v4, s60, v4
	v_cmp_le_u32_e32 vcc, s49, v4
	s_or_b64 s[20:21], vcc, s[20:21]
	s_waitcnt vmcnt(0) lgkmcnt(0)
	v_xor_b32_e32 v5, 0x80000000, v5
	flat_store_dword v[6:7], v5
	s_andn2_b64 exec, exec, s[20:21]
	s_cbranch_execnz .LBB63_18
.LBB63_19:                              ;   in Loop: Header=BB63_11 Depth=1
	s_or_b64 exec, exec, s[18:19]
	s_waitcnt lgkmcnt(0)
	s_barrier
.LBB63_20:                              ;   in Loop: Header=BB63_11 Depth=1
	s_and_saveexec_b64 s[18:19], s[6:7]
	s_cbranch_execz .LBB63_9
; %bb.21:                               ;   in Loop: Header=BB63_11 Depth=1
	global_load_dword v0, v2, s[16:17]
	s_waitcnt vmcnt(0)
	v_xor_b32_e32 v0, 0x80000000, v0
	global_store_dword v2, v0, s[16:17]
	s_branch .LBB63_9
.LBB63_22:
	s_mov_b32 s46, 0
.LBB63_23:
	s_cmp_lt_i32 s46, 1
	s_mov_b64 s[6:7], -1
	s_cbranch_scc0 .LBB63_261
; %bb.24:
	s_mul_i32 s6, s12, s48
	s_lshl_b32 s6, s6, 1
	s_ashr_i32 s7, s6, 31
	s_lshl_b64 s[6:7], s[6:7], 2
	s_add_u32 s6, s40, s6
	s_addc_u32 s7, s41, s7
	s_cmp_lg_u64 s[40:41], 0
	s_cselect_b32 s57, s7, 0
	s_cselect_b32 s56, s6, 0
	s_mov_b64 s[62:63], 0
	s_cmp_lg_u64 s[56:57], 0
	s_barrier
	s_cbranch_scc0 .LBB63_40
; %bb.25:
	s_or_b32 s6, s50, s49
	s_or_b32 s8, s6, s51
	s_cmp_gt_i32 s48, 0
	s_cselect_b64 s[64:65], -1, 0
	s_cmp_lg_u64 s[52:53], 0
	s_cselect_b64 s[6:7], -1, 0
	s_and_b64 s[40:41], s[64:65], s[6:7]
	s_cmp_eq_u32 s8, 0
	s_cbranch_scc1 .LBB63_41
; %bb.26:
	s_mov_b64 s[66:67], -1
	s_mov_b64 s[58:59], 0
	s_and_b64 vcc, exec, s[40:41]
	s_cbranch_vccz .LBB63_119
; %bb.27:
	v_cmp_gt_u32_e32 vcc, s48, v41
	s_barrier
	s_and_saveexec_b64 s[6:7], vcc
	s_cbranch_execz .LBB63_30
; %bb.28:
	s_mov_b64 s[8:9], 0
	v_mov_b32_e32 v1, 0
	v_mov_b32_e32 v2, s57
	;; [unrolled: 1-line block ×3, first 2 shown]
.LBB63_29:                              ; =>This Inner Loop Header: Depth=1
	v_lshlrev_b64 v[4:5], 2, v[0:1]
	v_add_co_u32_e32 v4, vcc, s56, v4
	v_addc_co_u32_e32 v5, vcc, v2, v5, vcc
	global_store_dword v[4:5], v0, off
	v_add_u32_e32 v0, s60, v0
	v_cmp_le_u32_e32 vcc, s48, v0
	s_or_b64 s[8:9], vcc, s[8:9]
	s_andn2_b64 exec, exec, s[8:9]
	s_cbranch_execnz .LBB63_29
.LBB63_30:
	s_or_b64 exec, exec, s[6:7]
	v_or3_b32 v0, v43, v44, v42
	v_cmp_eq_u32_e32 vcc, 0, v0
	s_barrier
	s_and_saveexec_b64 s[6:7], vcc
	s_cbranch_execz .LBB63_103
; %bb.31:
	s_cmpk_lt_i32 s48, 0x2be
	s_cbranch_scc1 .LBB63_42
; %bb.32:
	s_add_u32 s8, s56, 0xaf4
	s_addc_u32 s9, s57, 0
	s_mov_b64 s[10:11], 0x2bd
	v_mov_b32_e32 v0, 0
	s_mov_b64 s[12:13], s[36:37]
	s_branch .LBB63_34
.LBB63_33:                              ;   in Loop: Header=BB63_34 Depth=1
	s_lshl_b64 s[14:15], s[14:15], 2
	s_add_u32 s16, s36, s14
	s_addc_u32 s17, s37, s15
	s_add_u32 s14, s56, s14
	s_addc_u32 s15, s57, s15
	;; [unrolled: 2-line block ×5, first 2 shown]
	s_cmp_eq_u32 s10, s48
	global_store_dword v0, v2, s[16:17]
	global_store_dword v0, v1, s[14:15]
	s_cbranch_scc1 .LBB63_42
.LBB63_34:                              ; =>This Loop Header: Depth=1
                                        ;     Child Loop BB63_36 Depth 2
	s_lshl_b64 s[14:15], s[10:11], 2
	s_and_b32 s15, s15, 3
	s_add_u32 s16, s36, s14
	s_addc_u32 s17, s37, s15
	s_add_u32 s14, s56, s14
	s_addc_u32 s15, s57, s15
	global_load_dword v2, v0, s[16:17]
	global_load_dword v1, v0, s[14:15]
	s_mov_b64 s[16:17], s[12:13]
	s_mov_b64 s[18:19], s[8:9]
	;; [unrolled: 1-line block ×3, first 2 shown]
	s_branch .LBB63_36
.LBB63_35:                              ;   in Loop: Header=BB63_36 Depth=2
	global_load_dword v4, v0, s[18:19] offset:-2804
	s_add_u32 s30, s18, 0xfffff50c
	s_addc_u32 s31, s19, -1
	s_add_u32 s22, s14, 0xfffffd43
	s_addc_u32 s23, s15, -1
	global_store_dword v0, v3, s[16:17] offset:2804
	s_add_u32 s16, s16, 0xfffff50c
	s_addc_u32 s17, s17, -1
	s_cmpk_lt_i32 s14, 0x57a
	s_mov_b64 s[20:21], 0
	s_mov_b64 s[14:15], s[22:23]
	s_cselect_b64 s[24:25], -1, 0
	s_waitcnt vmcnt(1)
	global_store_dword v0, v4, s[18:19]
	s_mov_b64 s[18:19], s[30:31]
	s_andn2_b64 vcc, exec, s[24:25]
	s_cbranch_vccz .LBB63_38
.LBB63_36:                              ;   Parent Loop BB63_34 Depth=1
                                        ; =>  This Inner Loop Header: Depth=2
	global_load_dword v3, v0, s[16:17]
	s_mov_b64 s[20:21], -1
	s_waitcnt vmcnt(0)
	v_cmp_nlt_f32_e32 vcc, v3, v2
	s_cbranch_vccz .LBB63_35
; %bb.37:                               ;   in Loop: Header=BB63_34 Depth=1
                                        ; implicit-def: $sgpr18_sgpr19
                                        ; implicit-def: $sgpr16_sgpr17
                                        ; implicit-def: $sgpr22_sgpr23
.LBB63_38:                              ;   in Loop: Header=BB63_34 Depth=1
	s_andn2_b64 vcc, exec, s[20:21]
	s_cbranch_vccz .LBB63_33
; %bb.39:                               ;   in Loop: Header=BB63_34 Depth=1
	s_bfe_i64 s[14:15], s[22:23], 0x200000
	s_branch .LBB63_33
.LBB63_40:
	s_branch .LBB63_237
.LBB63_41:
	s_mov_b64 s[58:59], 0
	s_cbranch_execnz .LBB63_144
	s_branch .LBB63_232
.LBB63_42:
	s_cmpk_lt_i32 s48, 0x12e
	s_cbranch_scc1 .LBB63_51
; %bb.43:
	s_add_u32 s8, s56, 0x4b4
	s_addc_u32 s9, s57, 0
	s_mov_b64 s[10:11], 0x12d
	v_mov_b32_e32 v0, 0
	s_mov_b64 s[12:13], s[36:37]
	s_branch .LBB63_45
.LBB63_44:                              ;   in Loop: Header=BB63_45 Depth=1
	s_lshl_b64 s[14:15], s[14:15], 2
	s_add_u32 s16, s36, s14
	s_addc_u32 s17, s37, s15
	s_add_u32 s14, s56, s14
	s_addc_u32 s15, s57, s15
	;; [unrolled: 2-line block ×5, first 2 shown]
	s_cmp_lg_u32 s10, s48
	global_store_dword v0, v2, s[16:17]
	global_store_dword v0, v1, s[14:15]
	s_cbranch_scc0 .LBB63_51
.LBB63_45:                              ; =>This Loop Header: Depth=1
                                        ;     Child Loop BB63_47 Depth 2
	s_lshl_b64 s[14:15], s[10:11], 2
	s_and_b32 s15, s15, 3
	s_add_u32 s16, s36, s14
	s_addc_u32 s17, s37, s15
	s_add_u32 s14, s56, s14
	s_addc_u32 s15, s57, s15
	global_load_dword v2, v0, s[16:17]
	global_load_dword v1, v0, s[14:15]
	s_mov_b64 s[16:17], s[12:13]
	s_mov_b64 s[18:19], s[8:9]
	;; [unrolled: 1-line block ×3, first 2 shown]
	s_branch .LBB63_47
.LBB63_46:                              ;   in Loop: Header=BB63_47 Depth=2
	global_load_dword v4, v0, s[18:19] offset:-1204
	s_add_u32 s30, s18, 0xfffffb4c
	s_addc_u32 s31, s19, -1
	s_add_u32 s22, s14, 0xfffffed3
	s_addc_u32 s23, s15, -1
	global_store_dword v0, v3, s[16:17] offset:1204
	s_add_u32 s16, s16, 0xfffffb4c
	s_addc_u32 s17, s17, -1
	s_cmpk_lt_i32 s14, 0x25a
	s_mov_b64 s[20:21], 0
	s_mov_b64 s[14:15], s[22:23]
	s_cselect_b64 s[24:25], -1, 0
	s_waitcnt vmcnt(1)
	global_store_dword v0, v4, s[18:19]
	s_mov_b64 s[18:19], s[30:31]
	s_andn2_b64 vcc, exec, s[24:25]
	s_cbranch_vccz .LBB63_49
.LBB63_47:                              ;   Parent Loop BB63_45 Depth=1
                                        ; =>  This Inner Loop Header: Depth=2
	global_load_dword v3, v0, s[16:17]
	s_mov_b64 s[20:21], -1
	s_waitcnt vmcnt(0)
	v_cmp_nlt_f32_e32 vcc, v3, v2
	s_cbranch_vccz .LBB63_46
; %bb.48:                               ;   in Loop: Header=BB63_45 Depth=1
                                        ; implicit-def: $sgpr18_sgpr19
                                        ; implicit-def: $sgpr16_sgpr17
                                        ; implicit-def: $sgpr22_sgpr23
.LBB63_49:                              ;   in Loop: Header=BB63_45 Depth=1
	s_andn2_b64 vcc, exec, s[20:21]
	s_cbranch_vccz .LBB63_44
; %bb.50:                               ;   in Loop: Header=BB63_45 Depth=1
	s_bfe_i64 s[14:15], s[22:23], 0x200000
	s_branch .LBB63_44
.LBB63_51:
	s_cmpk_lt_i32 s48, 0x85
	s_cbranch_scc1 .LBB63_60
; %bb.52:
	s_add_u32 s8, s56, 0x210
	s_addc_u32 s9, s57, 0
	s_mov_b64 s[10:11], 0x84
	v_mov_b32_e32 v0, 0
	s_mov_b64 s[12:13], s[36:37]
	s_branch .LBB63_54
.LBB63_53:                              ;   in Loop: Header=BB63_54 Depth=1
	s_lshl_b64 s[14:15], s[14:15], 2
	s_add_u32 s16, s36, s14
	s_addc_u32 s17, s37, s15
	s_add_u32 s14, s56, s14
	s_addc_u32 s15, s57, s15
	;; [unrolled: 2-line block ×5, first 2 shown]
	s_cmp_lg_u32 s10, s48
	global_store_dword v0, v2, s[16:17]
	global_store_dword v0, v1, s[14:15]
	s_cbranch_scc0 .LBB63_60
.LBB63_54:                              ; =>This Loop Header: Depth=1
                                        ;     Child Loop BB63_56 Depth 2
	s_lshl_b64 s[14:15], s[10:11], 2
	s_and_b32 s15, s15, 3
	s_add_u32 s16, s36, s14
	s_addc_u32 s17, s37, s15
	s_add_u32 s14, s56, s14
	s_addc_u32 s15, s57, s15
	global_load_dword v2, v0, s[16:17]
	global_load_dword v1, v0, s[14:15]
	s_mov_b64 s[16:17], s[12:13]
	s_mov_b64 s[18:19], s[8:9]
	;; [unrolled: 1-line block ×3, first 2 shown]
	s_branch .LBB63_56
.LBB63_55:                              ;   in Loop: Header=BB63_56 Depth=2
	global_load_dword v4, v0, s[18:19] offset:-528
	s_add_u32 s30, s18, 0xfffffdf0
	s_addc_u32 s31, s19, -1
	s_add_u32 s22, s14, 0xffffff7c
	s_addc_u32 s23, s15, -1
	global_store_dword v0, v3, s[16:17] offset:528
	s_add_u32 s16, s16, 0xfffffdf0
	s_addc_u32 s17, s17, -1
	s_cmpk_lt_i32 s14, 0x108
	s_mov_b64 s[20:21], 0
	s_mov_b64 s[14:15], s[22:23]
	s_cselect_b64 s[24:25], -1, 0
	s_waitcnt vmcnt(1)
	global_store_dword v0, v4, s[18:19]
	s_mov_b64 s[18:19], s[30:31]
	s_andn2_b64 vcc, exec, s[24:25]
	s_cbranch_vccz .LBB63_58
.LBB63_56:                              ;   Parent Loop BB63_54 Depth=1
                                        ; =>  This Inner Loop Header: Depth=2
	global_load_dword v3, v0, s[16:17]
	s_mov_b64 s[20:21], -1
	s_waitcnt vmcnt(0)
	v_cmp_nlt_f32_e32 vcc, v3, v2
	s_cbranch_vccz .LBB63_55
; %bb.57:                               ;   in Loop: Header=BB63_54 Depth=1
                                        ; implicit-def: $sgpr18_sgpr19
                                        ; implicit-def: $sgpr16_sgpr17
                                        ; implicit-def: $sgpr22_sgpr23
.LBB63_58:                              ;   in Loop: Header=BB63_54 Depth=1
	s_andn2_b64 vcc, exec, s[20:21]
	s_cbranch_vccz .LBB63_53
; %bb.59:                               ;   in Loop: Header=BB63_54 Depth=1
	s_bfe_i64 s[14:15], s[22:23], 0x200000
	s_branch .LBB63_53
.LBB63_60:
	s_cmp_lt_i32 s48, 58
	s_cbranch_scc1 .LBB63_69
; %bb.61:
	s_add_u32 s8, s56, 0xe4
	s_addc_u32 s9, s57, 0
	s_mov_b64 s[10:11], 57
	v_mov_b32_e32 v0, 0
	s_mov_b64 s[12:13], s[36:37]
	s_branch .LBB63_63
.LBB63_62:                              ;   in Loop: Header=BB63_63 Depth=1
	s_lshl_b64 s[14:15], s[14:15], 2
	s_add_u32 s16, s36, s14
	s_addc_u32 s17, s37, s15
	s_add_u32 s14, s56, s14
	s_addc_u32 s15, s57, s15
	;; [unrolled: 2-line block ×5, first 2 shown]
	s_cmp_lg_u32 s10, s48
	global_store_dword v0, v2, s[16:17]
	global_store_dword v0, v1, s[14:15]
	s_cbranch_scc0 .LBB63_69
.LBB63_63:                              ; =>This Loop Header: Depth=1
                                        ;     Child Loop BB63_65 Depth 2
	s_lshl_b64 s[14:15], s[10:11], 2
	s_and_b32 s15, s15, 3
	s_add_u32 s16, s36, s14
	s_addc_u32 s17, s37, s15
	s_add_u32 s14, s56, s14
	s_addc_u32 s15, s57, s15
	global_load_dword v2, v0, s[16:17]
	global_load_dword v1, v0, s[14:15]
	s_mov_b64 s[16:17], s[12:13]
	s_mov_b64 s[18:19], s[8:9]
	;; [unrolled: 1-line block ×3, first 2 shown]
	s_branch .LBB63_65
.LBB63_64:                              ;   in Loop: Header=BB63_65 Depth=2
	global_load_dword v4, v0, s[18:19] offset:-228
	s_add_u32 s30, s18, 0xffffff1c
	s_addc_u32 s31, s19, -1
	s_add_u32 s22, s14, 0xffffffc7
	s_addc_u32 s23, s15, -1
	global_store_dword v0, v3, s[16:17] offset:228
	s_add_u32 s16, s16, 0xffffff1c
	s_addc_u32 s17, s17, -1
	s_cmpk_lt_i32 s14, 0x72
	s_mov_b64 s[20:21], 0
	s_mov_b64 s[14:15], s[22:23]
	s_cselect_b64 s[24:25], -1, 0
	s_waitcnt vmcnt(1)
	global_store_dword v0, v4, s[18:19]
	s_mov_b64 s[18:19], s[30:31]
	s_andn2_b64 vcc, exec, s[24:25]
	s_cbranch_vccz .LBB63_67
.LBB63_65:                              ;   Parent Loop BB63_63 Depth=1
                                        ; =>  This Inner Loop Header: Depth=2
	global_load_dword v3, v0, s[16:17]
	s_mov_b64 s[20:21], -1
	s_waitcnt vmcnt(0)
	v_cmp_nlt_f32_e32 vcc, v3, v2
	s_cbranch_vccz .LBB63_64
; %bb.66:                               ;   in Loop: Header=BB63_63 Depth=1
                                        ; implicit-def: $sgpr18_sgpr19
                                        ; implicit-def: $sgpr16_sgpr17
                                        ; implicit-def: $sgpr22_sgpr23
.LBB63_67:                              ;   in Loop: Header=BB63_63 Depth=1
	s_andn2_b64 vcc, exec, s[20:21]
	s_cbranch_vccz .LBB63_62
; %bb.68:                               ;   in Loop: Header=BB63_63 Depth=1
	s_bfe_i64 s[14:15], s[22:23], 0x200000
	s_branch .LBB63_62
.LBB63_69:
	s_cmp_lt_i32 s48, 24
	s_cbranch_scc1 .LBB63_78
; %bb.70:
	s_add_u32 s8, s56, 0x5c
	s_addc_u32 s9, s57, 0
	s_mov_b64 s[10:11], 23
	v_mov_b32_e32 v0, 0
	s_mov_b64 s[12:13], s[36:37]
	s_branch .LBB63_72
.LBB63_71:                              ;   in Loop: Header=BB63_72 Depth=1
	s_lshl_b64 s[14:15], s[14:15], 2
	s_add_u32 s16, s36, s14
	s_addc_u32 s17, s37, s15
	s_add_u32 s14, s56, s14
	s_addc_u32 s15, s57, s15
	;; [unrolled: 2-line block ×5, first 2 shown]
	s_cmp_lg_u32 s10, s48
	global_store_dword v0, v2, s[16:17]
	global_store_dword v0, v1, s[14:15]
	s_cbranch_scc0 .LBB63_78
.LBB63_72:                              ; =>This Loop Header: Depth=1
                                        ;     Child Loop BB63_74 Depth 2
	s_lshl_b64 s[14:15], s[10:11], 2
	s_and_b32 s15, s15, 3
	s_add_u32 s16, s36, s14
	s_addc_u32 s17, s37, s15
	s_add_u32 s14, s56, s14
	s_addc_u32 s15, s57, s15
	global_load_dword v2, v0, s[16:17]
	global_load_dword v1, v0, s[14:15]
	s_mov_b64 s[16:17], s[12:13]
	s_mov_b64 s[18:19], s[8:9]
	;; [unrolled: 1-line block ×3, first 2 shown]
	s_branch .LBB63_74
.LBB63_73:                              ;   in Loop: Header=BB63_74 Depth=2
	global_load_dword v4, v0, s[18:19] offset:-92
	s_add_u32 s30, s18, 0xffffffa4
	s_addc_u32 s31, s19, -1
	s_add_u32 s22, s14, 0xffffffe9
	s_addc_u32 s23, s15, -1
	global_store_dword v0, v3, s[16:17] offset:92
	s_add_u32 s16, s16, 0xffffffa4
	s_addc_u32 s17, s17, -1
	s_cmp_lt_i32 s14, 46
	s_mov_b64 s[20:21], 0
	s_mov_b64 s[14:15], s[22:23]
	s_cselect_b64 s[24:25], -1, 0
	s_waitcnt vmcnt(1)
	global_store_dword v0, v4, s[18:19]
	s_mov_b64 s[18:19], s[30:31]
	s_andn2_b64 vcc, exec, s[24:25]
	s_cbranch_vccz .LBB63_76
.LBB63_74:                              ;   Parent Loop BB63_72 Depth=1
                                        ; =>  This Inner Loop Header: Depth=2
	global_load_dword v3, v0, s[16:17]
	s_mov_b64 s[20:21], -1
	s_waitcnt vmcnt(0)
	v_cmp_nlt_f32_e32 vcc, v3, v2
	s_cbranch_vccz .LBB63_73
; %bb.75:                               ;   in Loop: Header=BB63_72 Depth=1
                                        ; implicit-def: $sgpr18_sgpr19
                                        ; implicit-def: $sgpr16_sgpr17
                                        ; implicit-def: $sgpr22_sgpr23
.LBB63_76:                              ;   in Loop: Header=BB63_72 Depth=1
	s_andn2_b64 vcc, exec, s[20:21]
	s_cbranch_vccz .LBB63_71
; %bb.77:                               ;   in Loop: Header=BB63_72 Depth=1
	s_bfe_i64 s[14:15], s[22:23], 0x200000
	s_branch .LBB63_71
.LBB63_78:
	s_cmp_lt_i32 s48, 11
	s_cbranch_scc1 .LBB63_87
; %bb.79:
	s_add_u32 s8, s56, 40
	s_addc_u32 s9, s57, 0
	s_mov_b64 s[10:11], 10
	v_mov_b32_e32 v0, 0
	s_mov_b64 s[12:13], s[36:37]
	s_branch .LBB63_81
.LBB63_80:                              ;   in Loop: Header=BB63_81 Depth=1
	s_lshl_b64 s[14:15], s[14:15], 2
	s_add_u32 s16, s36, s14
	s_addc_u32 s17, s37, s15
	s_add_u32 s14, s56, s14
	s_addc_u32 s15, s57, s15
	;; [unrolled: 2-line block ×5, first 2 shown]
	s_cmp_lg_u32 s10, s48
	global_store_dword v0, v2, s[16:17]
	global_store_dword v0, v1, s[14:15]
	s_cbranch_scc0 .LBB63_87
.LBB63_81:                              ; =>This Loop Header: Depth=1
                                        ;     Child Loop BB63_83 Depth 2
	s_lshl_b64 s[14:15], s[10:11], 2
	s_and_b32 s15, s15, 3
	s_add_u32 s16, s36, s14
	s_addc_u32 s17, s37, s15
	s_add_u32 s14, s56, s14
	s_addc_u32 s15, s57, s15
	global_load_dword v2, v0, s[16:17]
	global_load_dword v1, v0, s[14:15]
	s_mov_b64 s[16:17], s[12:13]
	s_mov_b64 s[18:19], s[8:9]
	;; [unrolled: 1-line block ×3, first 2 shown]
	s_branch .LBB63_83
.LBB63_82:                              ;   in Loop: Header=BB63_83 Depth=2
	global_load_dword v4, v0, s[18:19] offset:-40
	s_add_u32 s30, s18, 0xffffffd8
	s_addc_u32 s31, s19, -1
	s_add_u32 s22, s14, -10
	s_addc_u32 s23, s15, -1
	global_store_dword v0, v3, s[16:17] offset:40
	s_add_u32 s16, s16, 0xffffffd8
	s_addc_u32 s17, s17, -1
	s_cmp_lt_i32 s14, 20
	s_mov_b64 s[20:21], 0
	s_mov_b64 s[14:15], s[22:23]
	s_cselect_b64 s[24:25], -1, 0
	s_waitcnt vmcnt(1)
	global_store_dword v0, v4, s[18:19]
	s_mov_b64 s[18:19], s[30:31]
	s_andn2_b64 vcc, exec, s[24:25]
	s_cbranch_vccz .LBB63_85
.LBB63_83:                              ;   Parent Loop BB63_81 Depth=1
                                        ; =>  This Inner Loop Header: Depth=2
	global_load_dword v3, v0, s[16:17]
	s_mov_b64 s[20:21], -1
	s_waitcnt vmcnt(0)
	v_cmp_nlt_f32_e32 vcc, v3, v2
	s_cbranch_vccz .LBB63_82
; %bb.84:                               ;   in Loop: Header=BB63_81 Depth=1
                                        ; implicit-def: $sgpr18_sgpr19
                                        ; implicit-def: $sgpr16_sgpr17
                                        ; implicit-def: $sgpr22_sgpr23
.LBB63_85:                              ;   in Loop: Header=BB63_81 Depth=1
	s_andn2_b64 vcc, exec, s[20:21]
	s_cbranch_vccz .LBB63_80
; %bb.86:                               ;   in Loop: Header=BB63_81 Depth=1
	s_bfe_i64 s[14:15], s[22:23], 0x200000
	s_branch .LBB63_80
.LBB63_87:
	s_cmp_lt_i32 s48, 5
	s_cbranch_scc1 .LBB63_96
; %bb.88:
	s_add_u32 s8, s56, 16
	s_addc_u32 s9, s57, 0
	s_add_u32 s10, s54, s52
	s_addc_u32 s11, s55, s53
	;; [unrolled: 2-line block ×3, first 2 shown]
	s_mov_b64 s[12:13], 4
	v_mov_b32_e32 v0, 0
	s_branch .LBB63_90
.LBB63_89:                              ;   in Loop: Header=BB63_90 Depth=1
	s_lshl_b64 s[14:15], s[14:15], 2
	s_add_u32 s16, s36, s14
	s_addc_u32 s17, s37, s15
	s_add_u32 s14, s56, s14
	s_addc_u32 s15, s57, s15
	;; [unrolled: 2-line block ×5, first 2 shown]
	s_cmp_lg_u32 s12, s48
	global_store_dword v0, v2, s[16:17]
	global_store_dword v0, v1, s[14:15]
	s_cbranch_scc0 .LBB63_96
.LBB63_90:                              ; =>This Loop Header: Depth=1
                                        ;     Child Loop BB63_92 Depth 2
	s_lshl_b64 s[14:15], s[12:13], 2
	s_and_b32 s15, s15, 3
	s_add_u32 s16, s36, s14
	s_addc_u32 s17, s37, s15
	s_add_u32 s14, s56, s14
	s_addc_u32 s15, s57, s15
	global_load_dword v2, v0, s[16:17]
	global_load_dword v1, v0, s[14:15]
	s_mov_b64 s[18:19], s[10:11]
	s_mov_b64 s[16:17], s[8:9]
	;; [unrolled: 1-line block ×3, first 2 shown]
	s_branch .LBB63_92
.LBB63_91:                              ;   in Loop: Header=BB63_92 Depth=2
	global_load_dword v4, v0, s[16:17] offset:-16
	s_mov_b64 s[20:21], 0
	global_store_dword v0, v3, s[18:19]
	s_add_u32 s18, s16, -16
	s_addc_u32 s19, s17, -1
	s_add_u32 s22, s14, -4
	s_addc_u32 s23, s15, -1
	s_cmp_lt_i32 s14, 8
	s_mov_b64 s[14:15], s[22:23]
	s_cselect_b64 s[30:31], -1, 0
	s_waitcnt vmcnt(1)
	global_store_dword v0, v4, s[16:17]
	s_mov_b64 s[16:17], s[18:19]
	s_mov_b64 s[18:19], s[24:25]
	s_andn2_b64 vcc, exec, s[30:31]
	s_cbranch_vccz .LBB63_94
.LBB63_92:                              ;   Parent Loop BB63_90 Depth=1
                                        ; =>  This Inner Loop Header: Depth=2
	global_load_dword v3, v0, s[18:19] offset:-16
	s_add_u32 s24, s18, -16
	s_addc_u32 s25, s19, -1
	s_mov_b64 s[20:21], -1
	s_waitcnt vmcnt(0)
	v_cmp_nlt_f32_e32 vcc, v3, v2
	s_cbranch_vccz .LBB63_91
; %bb.93:                               ;   in Loop: Header=BB63_90 Depth=1
                                        ; implicit-def: $sgpr16_sgpr17
                                        ; implicit-def: $sgpr18_sgpr19
                                        ; implicit-def: $sgpr22_sgpr23
.LBB63_94:                              ;   in Loop: Header=BB63_90 Depth=1
	s_andn2_b64 vcc, exec, s[20:21]
	s_cbranch_vccz .LBB63_89
; %bb.95:                               ;   in Loop: Header=BB63_90 Depth=1
	s_bfe_i64 s[14:15], s[22:23], 0x200000
	s_branch .LBB63_89
.LBB63_96:
	s_cmp_lt_i32 s48, 2
	s_cbranch_scc1 .LBB63_103
; %bb.97:
	s_add_u32 s8, s56, 4
	s_addc_u32 s9, s57, 0
	s_add_u32 s10, s54, s52
	s_addc_u32 s11, s55, s53
	;; [unrolled: 2-line block ×3, first 2 shown]
	s_mov_b64 s[12:13], 1
	v_mov_b32_e32 v0, 0
	s_branch .LBB63_99
.LBB63_98:                              ;   in Loop: Header=BB63_99 Depth=1
	s_lshl_b64 s[14:15], s[22:23], 2
	s_add_u32 s16, s36, s14
	s_addc_u32 s17, s37, s15
	s_add_u32 s14, s56, s14
	s_addc_u32 s15, s57, s15
	;; [unrolled: 2-line block ×5, first 2 shown]
	s_cmp_eq_u32 s12, s48
	global_store_dword v0, v2, s[16:17]
	global_store_dword v0, v1, s[14:15]
	s_cbranch_scc1 .LBB63_103
.LBB63_99:                              ; =>This Loop Header: Depth=1
                                        ;     Child Loop BB63_101 Depth 2
	s_lshl_b64 s[14:15], s[12:13], 2
	s_and_b32 s15, s15, 3
	s_add_u32 s16, s36, s14
	s_addc_u32 s17, s37, s15
	s_add_u32 s14, s56, s14
	s_addc_u32 s15, s57, s15
	global_load_dword v2, v0, s[16:17]
	global_load_dword v1, v0, s[14:15]
	s_mov_b64 s[18:19], s[10:11]
	s_mov_b64 s[14:15], s[8:9]
	;; [unrolled: 1-line block ×3, first 2 shown]
	s_branch .LBB63_101
.LBB63_100:                             ;   in Loop: Header=BB63_101 Depth=2
	global_load_dword v4, v0, s[14:15] offset:-4
	s_mov_b64 s[22:23], 0
	global_store_dword v0, v3, s[18:19]
	s_add_u32 s18, s14, -4
	s_addc_u32 s19, s15, -1
	s_add_u32 s24, s16, -1
	s_addc_u32 s25, s17, -1
	s_cmp_lt_i32 s16, 2
	s_mov_b64 s[16:17], s[24:25]
	s_cselect_b64 s[24:25], -1, 0
	s_waitcnt vmcnt(1)
	global_store_dword v0, v4, s[14:15]
	s_mov_b64 s[14:15], s[18:19]
	s_mov_b64 s[18:19], s[20:21]
	s_andn2_b64 vcc, exec, s[24:25]
	s_cbranch_vccz .LBB63_98
.LBB63_101:                             ;   Parent Loop BB63_99 Depth=1
                                        ; =>  This Inner Loop Header: Depth=2
	global_load_dword v3, v0, s[18:19] offset:-4
	s_add_u32 s20, s18, -4
	s_addc_u32 s21, s19, -1
	s_mov_b64 s[24:25], -1
	s_waitcnt vmcnt(0)
	v_cmp_nlt_f32_e32 vcc, v3, v2
	s_cbranch_vccz .LBB63_100
; %bb.102:                              ;   in Loop: Header=BB63_101 Depth=2
                                        ; implicit-def: $sgpr14_sgpr15
                                        ; implicit-def: $sgpr18_sgpr19
	s_mov_b64 s[22:23], s[16:17]
	s_andn2_b64 vcc, exec, s[24:25]
	s_cbranch_vccnz .LBB63_101
	s_branch .LBB63_98
.LBB63_103:
	s_or_b64 exec, exec, s[6:7]
	s_cmp_lt_i32 s48, 2
	s_cselect_b64 s[10:11], -1, 0
	s_mov_b64 s[66:67], 0
	s_and_b64 vcc, exec, s[10:11]
	s_barrier
	s_cbranch_vccnz .LBB63_111
; %bb.104:
	s_add_i32 s20, s48, -1
	v_cmp_gt_u32_e32 vcc, s20, v41
	s_mov_b64 s[10:11], -1
	s_mov_b64 s[6:7], 0
	s_and_saveexec_b64 s[8:9], vcc
	s_cbranch_execz .LBB63_113
; %bb.105:
	s_add_u32 s21, s36, 4
	s_addc_u32 s22, s37, 0
	s_mov_b64 s[10:11], 0
	v_mov_b32_e32 v1, 0
	v_mov_b32_e32 v2, s37
	v_mov_b32_e32 v0, v41
                                        ; implicit-def: $sgpr12_sgpr13
	s_branch .LBB63_107
.LBB63_106:                             ;   in Loop: Header=BB63_107 Depth=1
	s_or_b64 exec, exec, s[18:19]
	s_xor_b64 s[14:15], s[14:15], -1
	s_and_b64 s[6:7], exec, s[6:7]
	s_or_b64 s[10:11], s[6:7], s[10:11]
	s_andn2_b64 s[6:7], s[12:13], exec
	s_and_b64 s[12:13], s[14:15], exec
	s_or_b64 s[12:13], s[6:7], s[12:13]
	s_andn2_b64 exec, exec, s[10:11]
	s_cbranch_execz .LBB63_112
.LBB63_107:                             ; =>This Inner Loop Header: Depth=1
	v_lshlrev_b64 v[4:5], 2, v[0:1]
	v_add_co_u32_e32 v4, vcc, s36, v4
	v_addc_co_u32_e32 v5, vcc, v2, v5, vcc
	global_load_dword v3, v[4:5], off
                                        ; implicit-def: $sgpr14_sgpr15
	s_waitcnt vmcnt(0)
	v_cmp_u_f32_e64 s[16:17], v3, v3
	v_cmp_o_f32_e32 vcc, v3, v3
	s_and_saveexec_b64 s[18:19], vcc
	s_cbranch_execz .LBB63_109
; %bb.108:                              ;   in Loop: Header=BB63_107 Depth=1
	v_ashrrev_i32_e32 v5, 31, v0
	v_mov_b32_e32 v4, v0
	v_lshlrev_b64 v[4:5], 2, v[4:5]
	v_mov_b32_e32 v6, s22
	v_add_co_u32_e32 v4, vcc, s21, v4
	v_addc_co_u32_e32 v5, vcc, v6, v5, vcc
	global_load_dword v4, v[4:5], off
	s_andn2_b64 s[16:17], s[16:17], exec
	s_mov_b64 s[14:15], -1
	s_waitcnt vmcnt(0)
	v_cmp_u_f32_e32 vcc, v4, v4
	v_cmp_ge_f32_e64 s[6:7], v3, v4
	s_or_b64 s[6:7], vcc, s[6:7]
	s_and_b64 s[6:7], s[6:7], exec
	s_or_b64 s[16:17], s[16:17], s[6:7]
.LBB63_109:                             ;   in Loop: Header=BB63_107 Depth=1
	s_or_b64 exec, exec, s[18:19]
	s_mov_b64 s[6:7], -1
	s_and_saveexec_b64 s[18:19], s[16:17]
	s_cbranch_execz .LBB63_106
; %bb.110:                              ;   in Loop: Header=BB63_107 Depth=1
	v_add_u32_e32 v0, s60, v0
	v_cmp_le_u32_e32 vcc, s20, v0
	s_andn2_b64 s[14:15], s[14:15], exec
	s_orn2_b64 s[6:7], vcc, exec
	s_branch .LBB63_106
.LBB63_111:
	s_mov_b64 s[6:7], 0
	s_branch .LBB63_114
.LBB63_112:
	s_or_b64 exec, exec, s[10:11]
	s_mov_b64 s[6:7], exec
	s_orn2_b64 s[10:11], s[12:13], exec
.LBB63_113:
	s_or_b64 exec, exec, s[8:9]
.LBB63_114:
	s_and_saveexec_b64 s[8:9], s[10:11]
	s_cbranch_execz .LBB63_116
; %bb.115:
	s_mov_b64 s[66:67], exec
	s_barrier
	s_andn2_b64 s[6:7], s[6:7], exec
.LBB63_116:
	s_or_b64 exec, exec, s[8:9]
	s_mov_b64 s[62:63], 0
	s_and_saveexec_b64 s[68:69], s[6:7]
	s_cbranch_execz .LBB63_118
; %bb.117:
	s_add_u32 s8, s4, 0x90
	s_addc_u32 s9, s5, 0
	s_getpc_b64 s[6:7]
	s_add_u32 s6, s6, __PRETTY_FUNCTION__._ZN9rocsolver6v33100L21shell_sort_descendingIfiEEvT0_PT_PS2_@rel32@lo+4
	s_addc_u32 s7, s7, __PRETTY_FUNCTION__._ZN9rocsolver6v33100L21shell_sort_descendingIfiEEvT0_PT_PS2_@rel32@hi+12
	v_mov_b32_e32 v0, s6
	v_mov_b32_e32 v1, s7
	s_getpc_b64 s[10:11]
	s_add_u32 s10, s10, __assert_fail@rel32@lo+4
	s_addc_u32 s11, s11, __assert_fail@rel32@hi+12
	s_mov_b64 s[62:63], s[4:5]
	s_swappc_b64 s[30:31], s[10:11]
	s_mov_b64 s[4:5], s[62:63]
	s_mov_b64 s[62:63], exec
.LBB63_118:
	s_or_b64 exec, exec, s[68:69]
.LBB63_119:
	s_and_saveexec_b64 s[20:21], s[66:67]
	s_cbranch_execz .LBB63_143
; %bb.120:
	s_andn2_b64 vcc, exec, s[64:65]
	s_barrier
	s_cbranch_vccnz .LBB63_142
; %bb.121:
	s_cmp_gt_i32 s49, 0
	s_cselect_b64 s[14:15], -1, 0
	s_ashr_i32 s33, s47, 31
	s_cmp_gt_i32 s50, 0
	s_cselect_b64 s[16:17], -1, 0
	s_cmp_gt_i32 s51, 0
	v_cndmask_b32_e64 v0, 0, 1, s[14:15]
	s_cselect_b64 s[18:19], -1, 0
	v_cmp_ne_u32_e64 s[14:15], 1, v0
	v_cndmask_b32_e64 v0, 0, 1, s[16:17]
	s_mov_b32 s23, 0
	v_cmp_ne_u32_e64 s[16:17], 1, v0
	v_cndmask_b32_e64 v0, 0, 1, s[18:19]
	v_cmp_eq_u32_e64 s[6:7], 0, v41
	v_cmp_gt_u32_e64 s[8:9], s49, v41
	s_mov_b32 s72, s47
	v_cmp_gt_u32_e64 s[10:11], s50, v41
	s_mov_b32 s73, s43
	v_cmp_gt_u32_e64 s[12:13], s51, v41
	s_ashr_i32 s74, s61, 31
	s_mov_b32 s75, s61
	v_mov_b32_e32 v1, 0
	v_cmp_ne_u32_e64 s[18:19], 1, v0
	s_mov_b32 s22, s23
	s_branch .LBB63_123
.LBB63_122:                             ;   in Loop: Header=BB63_123 Depth=1
	s_add_i32 s22, s22, 1
	s_cmp_eq_u32 s22, s48
	s_cbranch_scc1 .LBB63_142
.LBB63_123:                             ; =>This Loop Header: Depth=1
                                        ;     Child Loop BB63_126 Depth 2
                                        ;       Child Loop BB63_131 Depth 3
                                        ;       Child Loop BB63_136 Depth 3
	;; [unrolled: 1-line block ×3, first 2 shown]
	s_lshl_b64 s[24:25], s[22:23], 2
	s_add_u32 s24, s56, s24
	s_addc_u32 s25, s57, s25
	global_load_dword v0, v1, s[24:25]
	s_waitcnt vmcnt(0)
	v_cmp_eq_u32_e32 vcc, s22, v0
	v_readfirstlane_b32 s64, v0
	s_cbranch_vccz .LBB63_126
	s_branch .LBB63_122
.LBB63_124:                             ;   in Loop: Header=BB63_126 Depth=2
	s_or_b64 exec, exec, s[64:65]
	s_waitcnt lgkmcnt(0)
	s_barrier
.LBB63_125:                             ;   in Loop: Header=BB63_126 Depth=2
	global_load_dword v0, v1, s[24:25]
	s_waitcnt vmcnt(0)
	v_cmp_ne_u32_e32 vcc, s22, v0
	v_readfirstlane_b32 s64, v0
	s_cbranch_vccz .LBB63_122
.LBB63_126:                             ;   Parent Loop BB63_123 Depth=1
                                        ; =>  This Loop Header: Depth=2
                                        ;       Child Loop BB63_131 Depth 3
                                        ;       Child Loop BB63_136 Depth 3
	;; [unrolled: 1-line block ×3, first 2 shown]
	s_ashr_i32 s65, s64, 31
	s_lshl_b64 s[30:31], s[64:65], 2
	s_add_u32 s66, s56, s30
	s_addc_u32 s67, s57, s31
	global_load_dword v0, v1, s[66:67]
	s_barrier
	s_waitcnt vmcnt(0)
	v_readfirstlane_b32 s58, v0
	s_and_saveexec_b64 s[68:69], s[6:7]
	s_cbranch_execz .LBB63_128
; %bb.127:                              ;   in Loop: Header=BB63_126 Depth=2
	v_mov_b32_e32 v0, s64
	global_store_dword v1, v0, s[66:67]
	v_mov_b32_e32 v0, s58
	global_store_dword v1, v0, s[24:25]
.LBB63_128:                             ;   in Loop: Header=BB63_126 Depth=2
	s_or_b64 exec, exec, s[68:69]
	s_and_b64 vcc, exec, s[14:15]
	s_barrier
	s_cbranch_vccnz .LBB63_133
; %bb.129:                              ;   in Loop: Header=BB63_126 Depth=2
	s_and_saveexec_b64 s[66:67], s[8:9]
	s_cbranch_execz .LBB63_132
; %bb.130:                              ;   in Loop: Header=BB63_126 Depth=2
	s_ashr_i32 s59, s58, 31
	s_mov_b64 s[68:69], 0
	s_lshl_b64 s[70:71], s[58:59], 2
	v_mov_b32_e32 v0, v41
.LBB63_131:                             ;   Parent Loop BB63_123 Depth=1
                                        ;     Parent Loop BB63_126 Depth=2
                                        ; =>    This Inner Loop Header: Depth=3
	v_mad_u64_u32 v[2:3], s[76:77], v0, s72, 0
	v_mov_b32_e32 v4, v3
	v_mad_u64_u32 v[4:5], s[76:77], v0, s33, v[4:5]
	v_mov_b32_e32 v3, v4
	v_lshlrev_b64 v[2:3], 2, v[2:3]
	v_mov_b32_e32 v6, s35
	v_add_co_u32_e32 v4, vcc, s34, v2
	v_addc_co_u32_e32 v5, vcc, v6, v3, vcc
	v_mov_b32_e32 v7, s31
	v_add_co_u32_e32 v2, vcc, s30, v4
	v_addc_co_u32_e32 v3, vcc, v5, v7, vcc
	;; [unrolled: 3-line block ×3, first 2 shown]
	flat_load_dword v6, v[4:5]
	flat_load_dword v7, v[2:3]
	v_add_u32_e32 v0, s60, v0
	v_cmp_le_u32_e32 vcc, s49, v0
	s_or_b64 s[68:69], vcc, s[68:69]
	s_waitcnt vmcnt(0) lgkmcnt(0)
	flat_store_dword v[2:3], v6
	flat_store_dword v[4:5], v7
	s_andn2_b64 exec, exec, s[68:69]
	s_cbranch_execnz .LBB63_131
.LBB63_132:                             ;   in Loop: Header=BB63_126 Depth=2
	s_or_b64 exec, exec, s[66:67]
	s_waitcnt lgkmcnt(0)
	s_barrier
.LBB63_133:                             ;   in Loop: Header=BB63_126 Depth=2
	s_and_b64 vcc, exec, s[16:17]
	s_cbranch_vccnz .LBB63_138
; %bb.134:                              ;   in Loop: Header=BB63_126 Depth=2
	s_and_saveexec_b64 s[66:67], s[10:11]
	s_cbranch_execz .LBB63_137
; %bb.135:                              ;   in Loop: Header=BB63_126 Depth=2
	s_mul_hi_i32 s65, s64, s73
	s_mul_i32 s64, s64, s73
	s_lshl_b64 s[64:65], s[64:65], 2
	s_add_u32 s59, s28, s64
	s_addc_u32 s69, s29, s65
	s_mul_hi_i32 s65, s58, s73
	s_mul_i32 s64, s58, s73
	s_lshl_b64 s[64:65], s[64:65], 2
	s_add_u32 s68, s28, s64
	s_addc_u32 s70, s29, s65
	s_mov_b64 s[64:65], 0
	v_mov_b32_e32 v2, s69
	v_mov_b32_e32 v3, s70
	;; [unrolled: 1-line block ×3, first 2 shown]
.LBB63_136:                             ;   Parent Loop BB63_123 Depth=1
                                        ;     Parent Loop BB63_126 Depth=2
                                        ; =>    This Inner Loop Header: Depth=3
	v_lshlrev_b64 v[4:5], 2, v[0:1]
	v_add_co_u32_e32 v6, vcc, s59, v4
	v_addc_co_u32_e32 v7, vcc, v2, v5, vcc
	v_add_co_u32_e32 v4, vcc, s68, v4
	v_addc_co_u32_e32 v5, vcc, v3, v5, vcc
	flat_load_dword v8, v[4:5]
	flat_load_dword v9, v[6:7]
	v_add_u32_e32 v0, s60, v0
	v_cmp_le_u32_e32 vcc, s50, v0
	s_or_b64 s[64:65], vcc, s[64:65]
	s_waitcnt vmcnt(0) lgkmcnt(0)
	flat_store_dword v[6:7], v8
	flat_store_dword v[4:5], v9
	s_andn2_b64 exec, exec, s[64:65]
	s_cbranch_execnz .LBB63_136
.LBB63_137:                             ;   in Loop: Header=BB63_126 Depth=2
	s_or_b64 exec, exec, s[66:67]
	s_waitcnt lgkmcnt(0)
	s_barrier
.LBB63_138:                             ;   in Loop: Header=BB63_126 Depth=2
	s_and_b64 vcc, exec, s[18:19]
	s_cbranch_vccnz .LBB63_125
; %bb.139:                              ;   in Loop: Header=BB63_126 Depth=2
	s_and_saveexec_b64 s[64:65], s[12:13]
	s_cbranch_execz .LBB63_124
; %bb.140:                              ;   in Loop: Header=BB63_126 Depth=2
	s_ashr_i32 s59, s58, 31
	s_mov_b64 s[66:67], 0
	s_lshl_b64 s[58:59], s[58:59], 2
	v_mov_b32_e32 v0, v41
.LBB63_141:                             ;   Parent Loop BB63_123 Depth=1
                                        ;     Parent Loop BB63_126 Depth=2
                                        ; =>    This Inner Loop Header: Depth=3
	v_mad_u64_u32 v[2:3], s[68:69], v0, s75, 0
	v_mov_b32_e32 v4, v3
	v_mad_u64_u32 v[4:5], s[68:69], v0, s74, v[4:5]
	v_mov_b32_e32 v3, v4
	v_lshlrev_b64 v[2:3], 2, v[2:3]
	v_mov_b32_e32 v6, s45
	v_add_co_u32_e32 v4, vcc, s44, v2
	v_addc_co_u32_e32 v5, vcc, v6, v3, vcc
	v_mov_b32_e32 v7, s31
	v_add_co_u32_e32 v2, vcc, s30, v4
	v_addc_co_u32_e32 v3, vcc, v5, v7, vcc
	;; [unrolled: 3-line block ×3, first 2 shown]
	flat_load_dword v6, v[4:5]
	flat_load_dword v7, v[2:3]
	v_add_u32_e32 v0, s60, v0
	v_cmp_le_u32_e32 vcc, s51, v0
	s_or_b64 s[66:67], vcc, s[66:67]
	s_waitcnt vmcnt(0) lgkmcnt(0)
	flat_store_dword v[2:3], v6
	flat_store_dword v[4:5], v7
	s_andn2_b64 exec, exec, s[66:67]
	s_cbranch_execnz .LBB63_141
	s_branch .LBB63_124
.LBB63_142:
	s_mov_b64 s[58:59], exec
.LBB63_143:
	s_or_b64 exec, exec, s[20:21]
	s_branch .LBB63_232
.LBB63_144:
	s_mov_b64 s[58:59], -1
	s_and_b64 vcc, exec, s[40:41]
	s_cbranch_vccz .LBB63_232
; %bb.145:
	v_or3_b32 v0, v43, v44, v42
	v_cmp_eq_u32_e32 vcc, 0, v0
	s_barrier
	s_barrier
	s_and_saveexec_b64 s[6:7], vcc
	s_cbranch_execz .LBB63_216
; %bb.146:
	s_cmpk_lt_u32 s48, 0x2be
	s_cbranch_scc1 .LBB63_155
; %bb.147:
	s_mov_b64 s[8:9], 0x2bd
	s_mov_b32 s11, 0
	v_mov_b32_e32 v0, 0
	s_mov_b64 s[12:13], s[36:37]
	s_branch .LBB63_149
.LBB63_148:                             ;   in Loop: Header=BB63_149 Depth=1
	s_lshl_b64 s[14:15], s[14:15], 2
	s_add_u32 s14, s36, s14
	s_addc_u32 s15, s37, s15
	s_add_u32 s8, s8, 1
	s_addc_u32 s9, s9, 0
	;; [unrolled: 2-line block ×3, first 2 shown]
	s_cmp_eq_u32 s8, s48
	global_store_dword v0, v1, s[14:15]
	s_cbranch_scc1 .LBB63_155
.LBB63_149:                             ; =>This Loop Header: Depth=1
                                        ;     Child Loop BB63_151 Depth 2
	s_mov_b32 s10, s8
	s_lshl_b64 s[14:15], s[10:11], 2
	s_add_u32 s14, s36, s14
	s_addc_u32 s15, s37, s15
	global_load_dword v1, v0, s[14:15]
	s_mov_b64 s[16:17], s[12:13]
	s_mov_b64 s[14:15], s[8:9]
	s_branch .LBB63_151
.LBB63_150:                             ;   in Loop: Header=BB63_151 Depth=2
	s_add_u32 s18, s14, 0xfffffd43
	s_addc_u32 s19, s15, -1
	global_store_dword v0, v2, s[16:17] offset:2804
	s_add_u32 s16, s16, 0xfffff50c
	s_addc_u32 s17, s17, -1
	s_cmpk_lt_i32 s14, 0x57a
	s_mov_b64 s[20:21], 0
	s_cselect_b64 s[22:23], -1, 0
	s_mov_b64 s[14:15], s[18:19]
	s_andn2_b64 vcc, exec, s[22:23]
	s_cbranch_vccz .LBB63_153
.LBB63_151:                             ;   Parent Loop BB63_149 Depth=1
                                        ; =>  This Inner Loop Header: Depth=2
	global_load_dword v2, v0, s[16:17]
	s_mov_b64 s[20:21], -1
	s_waitcnt vmcnt(0)
	v_cmp_nlt_f32_e32 vcc, v2, v1
	s_cbranch_vccz .LBB63_150
; %bb.152:                              ;   in Loop: Header=BB63_149 Depth=1
                                        ; implicit-def: $sgpr16_sgpr17
                                        ; implicit-def: $sgpr18_sgpr19
.LBB63_153:                             ;   in Loop: Header=BB63_149 Depth=1
	s_andn2_b64 vcc, exec, s[20:21]
	s_cbranch_vccz .LBB63_148
; %bb.154:                              ;   in Loop: Header=BB63_149 Depth=1
	s_bfe_i64 s[14:15], s[18:19], 0x200000
	s_branch .LBB63_148
.LBB63_155:
	s_cmpk_lt_i32 s48, 0x12e
	s_cbranch_scc1 .LBB63_164
; %bb.156:
	s_mov_b64 s[8:9], 0x12d
	s_mov_b32 s11, 0
	v_mov_b32_e32 v0, 0
	s_mov_b64 s[12:13], s[36:37]
	s_branch .LBB63_158
.LBB63_157:                             ;   in Loop: Header=BB63_158 Depth=1
	s_lshl_b64 s[14:15], s[14:15], 2
	s_add_u32 s14, s36, s14
	s_addc_u32 s15, s37, s15
	s_add_u32 s8, s8, 1
	s_addc_u32 s9, s9, 0
	s_add_u32 s12, s12, 4
	s_addc_u32 s13, s13, 0
	s_cmp_lg_u32 s8, s48
	global_store_dword v0, v1, s[14:15]
	s_cbranch_scc0 .LBB63_164
.LBB63_158:                             ; =>This Loop Header: Depth=1
                                        ;     Child Loop BB63_160 Depth 2
	s_mov_b32 s10, s8
	s_lshl_b64 s[14:15], s[10:11], 2
	s_add_u32 s14, s36, s14
	s_addc_u32 s15, s37, s15
	global_load_dword v1, v0, s[14:15]
	s_mov_b64 s[16:17], s[12:13]
	s_mov_b64 s[14:15], s[8:9]
	s_branch .LBB63_160
.LBB63_159:                             ;   in Loop: Header=BB63_160 Depth=2
	s_add_u32 s18, s14, 0xfffffed3
	s_addc_u32 s19, s15, -1
	global_store_dword v0, v2, s[16:17] offset:1204
	s_add_u32 s16, s16, 0xfffffb4c
	s_addc_u32 s17, s17, -1
	s_cmpk_lt_i32 s14, 0x25a
	s_mov_b64 s[20:21], 0
	s_cselect_b64 s[22:23], -1, 0
	s_mov_b64 s[14:15], s[18:19]
	s_andn2_b64 vcc, exec, s[22:23]
	s_cbranch_vccz .LBB63_162
.LBB63_160:                             ;   Parent Loop BB63_158 Depth=1
                                        ; =>  This Inner Loop Header: Depth=2
	global_load_dword v2, v0, s[16:17]
	s_mov_b64 s[20:21], -1
	s_waitcnt vmcnt(0)
	v_cmp_nlt_f32_e32 vcc, v2, v1
	s_cbranch_vccz .LBB63_159
; %bb.161:                              ;   in Loop: Header=BB63_158 Depth=1
                                        ; implicit-def: $sgpr16_sgpr17
                                        ; implicit-def: $sgpr18_sgpr19
.LBB63_162:                             ;   in Loop: Header=BB63_158 Depth=1
	s_andn2_b64 vcc, exec, s[20:21]
	s_cbranch_vccz .LBB63_157
; %bb.163:                              ;   in Loop: Header=BB63_158 Depth=1
	s_bfe_i64 s[14:15], s[18:19], 0x200000
	s_branch .LBB63_157
.LBB63_164:
	s_cmpk_lt_i32 s48, 0x85
	s_cbranch_scc1 .LBB63_173
; %bb.165:
	s_mov_b64 s[8:9], 0x84
	s_mov_b32 s11, 0
	v_mov_b32_e32 v0, 0
	s_mov_b64 s[12:13], s[36:37]
	s_branch .LBB63_167
.LBB63_166:                             ;   in Loop: Header=BB63_167 Depth=1
	s_lshl_b64 s[14:15], s[14:15], 2
	s_add_u32 s14, s36, s14
	s_addc_u32 s15, s37, s15
	s_add_u32 s8, s8, 1
	s_addc_u32 s9, s9, 0
	;; [unrolled: 2-line block ×3, first 2 shown]
	s_cmp_lg_u32 s8, s48
	global_store_dword v0, v1, s[14:15]
	s_cbranch_scc0 .LBB63_173
.LBB63_167:                             ; =>This Loop Header: Depth=1
                                        ;     Child Loop BB63_169 Depth 2
	s_mov_b32 s10, s8
	s_lshl_b64 s[14:15], s[10:11], 2
	s_add_u32 s14, s36, s14
	s_addc_u32 s15, s37, s15
	global_load_dword v1, v0, s[14:15]
	s_mov_b64 s[16:17], s[12:13]
	s_mov_b64 s[14:15], s[8:9]
	s_branch .LBB63_169
.LBB63_168:                             ;   in Loop: Header=BB63_169 Depth=2
	s_add_u32 s18, s14, 0xffffff7c
	s_addc_u32 s19, s15, -1
	global_store_dword v0, v2, s[16:17] offset:528
	s_add_u32 s16, s16, 0xfffffdf0
	s_addc_u32 s17, s17, -1
	s_cmpk_lt_i32 s14, 0x108
	s_mov_b64 s[20:21], 0
	s_cselect_b64 s[22:23], -1, 0
	s_mov_b64 s[14:15], s[18:19]
	s_andn2_b64 vcc, exec, s[22:23]
	s_cbranch_vccz .LBB63_171
.LBB63_169:                             ;   Parent Loop BB63_167 Depth=1
                                        ; =>  This Inner Loop Header: Depth=2
	global_load_dword v2, v0, s[16:17]
	s_mov_b64 s[20:21], -1
	s_waitcnt vmcnt(0)
	v_cmp_nlt_f32_e32 vcc, v2, v1
	s_cbranch_vccz .LBB63_168
; %bb.170:                              ;   in Loop: Header=BB63_167 Depth=1
                                        ; implicit-def: $sgpr16_sgpr17
                                        ; implicit-def: $sgpr18_sgpr19
.LBB63_171:                             ;   in Loop: Header=BB63_167 Depth=1
	s_andn2_b64 vcc, exec, s[20:21]
	s_cbranch_vccz .LBB63_166
; %bb.172:                              ;   in Loop: Header=BB63_167 Depth=1
	s_bfe_i64 s[14:15], s[18:19], 0x200000
	s_branch .LBB63_166
.LBB63_173:
	s_cmp_lt_i32 s48, 58
	s_cbranch_scc1 .LBB63_182
; %bb.174:
	s_mov_b64 s[8:9], 57
	s_mov_b32 s11, 0
	v_mov_b32_e32 v0, 0
	s_mov_b64 s[12:13], s[36:37]
	s_branch .LBB63_176
.LBB63_175:                             ;   in Loop: Header=BB63_176 Depth=1
	s_lshl_b64 s[14:15], s[14:15], 2
	s_add_u32 s14, s36, s14
	s_addc_u32 s15, s37, s15
	s_add_u32 s8, s8, 1
	s_addc_u32 s9, s9, 0
	s_add_u32 s12, s12, 4
	s_addc_u32 s13, s13, 0
	s_cmp_lg_u32 s8, s48
	global_store_dword v0, v1, s[14:15]
	s_cbranch_scc0 .LBB63_182
.LBB63_176:                             ; =>This Loop Header: Depth=1
                                        ;     Child Loop BB63_178 Depth 2
	s_mov_b32 s10, s8
	s_lshl_b64 s[14:15], s[10:11], 2
	s_add_u32 s14, s36, s14
	s_addc_u32 s15, s37, s15
	global_load_dword v1, v0, s[14:15]
	s_mov_b64 s[16:17], s[12:13]
	s_mov_b64 s[14:15], s[8:9]
	s_branch .LBB63_178
.LBB63_177:                             ;   in Loop: Header=BB63_178 Depth=2
	s_add_u32 s18, s14, 0xffffffc7
	s_addc_u32 s19, s15, -1
	global_store_dword v0, v2, s[16:17] offset:228
	s_add_u32 s16, s16, 0xffffff1c
	s_addc_u32 s17, s17, -1
	s_cmpk_lt_i32 s14, 0x72
	s_mov_b64 s[20:21], 0
	s_cselect_b64 s[22:23], -1, 0
	s_mov_b64 s[14:15], s[18:19]
	s_andn2_b64 vcc, exec, s[22:23]
	s_cbranch_vccz .LBB63_180
.LBB63_178:                             ;   Parent Loop BB63_176 Depth=1
                                        ; =>  This Inner Loop Header: Depth=2
	global_load_dword v2, v0, s[16:17]
	s_mov_b64 s[20:21], -1
	s_waitcnt vmcnt(0)
	v_cmp_nlt_f32_e32 vcc, v2, v1
	s_cbranch_vccz .LBB63_177
; %bb.179:                              ;   in Loop: Header=BB63_176 Depth=1
                                        ; implicit-def: $sgpr16_sgpr17
                                        ; implicit-def: $sgpr18_sgpr19
.LBB63_180:                             ;   in Loop: Header=BB63_176 Depth=1
	s_andn2_b64 vcc, exec, s[20:21]
	s_cbranch_vccz .LBB63_175
; %bb.181:                              ;   in Loop: Header=BB63_176 Depth=1
	s_bfe_i64 s[14:15], s[18:19], 0x200000
	s_branch .LBB63_175
.LBB63_182:
	s_cmp_lt_i32 s48, 24
	s_cbranch_scc1 .LBB63_191
; %bb.183:
	s_mov_b64 s[8:9], 23
	s_mov_b32 s11, 0
	v_mov_b32_e32 v0, 0
	s_mov_b64 s[12:13], s[36:37]
	s_branch .LBB63_185
.LBB63_184:                             ;   in Loop: Header=BB63_185 Depth=1
	s_lshl_b64 s[14:15], s[14:15], 2
	s_add_u32 s14, s36, s14
	s_addc_u32 s15, s37, s15
	s_add_u32 s8, s8, 1
	s_addc_u32 s9, s9, 0
	;; [unrolled: 2-line block ×3, first 2 shown]
	s_cmp_lg_u32 s8, s48
	global_store_dword v0, v1, s[14:15]
	s_cbranch_scc0 .LBB63_191
.LBB63_185:                             ; =>This Loop Header: Depth=1
                                        ;     Child Loop BB63_187 Depth 2
	s_mov_b32 s10, s8
	s_lshl_b64 s[14:15], s[10:11], 2
	s_add_u32 s14, s36, s14
	s_addc_u32 s15, s37, s15
	global_load_dword v1, v0, s[14:15]
	s_mov_b64 s[16:17], s[12:13]
	s_mov_b64 s[14:15], s[8:9]
	s_branch .LBB63_187
.LBB63_186:                             ;   in Loop: Header=BB63_187 Depth=2
	s_add_u32 s18, s14, 0xffffffe9
	s_addc_u32 s19, s15, -1
	global_store_dword v0, v2, s[16:17] offset:92
	s_add_u32 s16, s16, 0xffffffa4
	s_addc_u32 s17, s17, -1
	s_cmp_lt_i32 s14, 46
	s_mov_b64 s[20:21], 0
	s_cselect_b64 s[22:23], -1, 0
	s_mov_b64 s[14:15], s[18:19]
	s_andn2_b64 vcc, exec, s[22:23]
	s_cbranch_vccz .LBB63_189
.LBB63_187:                             ;   Parent Loop BB63_185 Depth=1
                                        ; =>  This Inner Loop Header: Depth=2
	global_load_dword v2, v0, s[16:17]
	s_mov_b64 s[20:21], -1
	s_waitcnt vmcnt(0)
	v_cmp_nlt_f32_e32 vcc, v2, v1
	s_cbranch_vccz .LBB63_186
; %bb.188:                              ;   in Loop: Header=BB63_185 Depth=1
                                        ; implicit-def: $sgpr16_sgpr17
                                        ; implicit-def: $sgpr18_sgpr19
.LBB63_189:                             ;   in Loop: Header=BB63_185 Depth=1
	s_andn2_b64 vcc, exec, s[20:21]
	s_cbranch_vccz .LBB63_184
; %bb.190:                              ;   in Loop: Header=BB63_185 Depth=1
	s_bfe_i64 s[14:15], s[18:19], 0x200000
	s_branch .LBB63_184
.LBB63_191:
	s_cmp_lt_i32 s48, 11
	s_cbranch_scc1 .LBB63_200
; %bb.192:
	s_mov_b64 s[8:9], 10
	s_mov_b32 s11, 0
	v_mov_b32_e32 v0, 0
	s_mov_b64 s[12:13], s[36:37]
	s_branch .LBB63_194
.LBB63_193:                             ;   in Loop: Header=BB63_194 Depth=1
	s_lshl_b64 s[14:15], s[14:15], 2
	s_add_u32 s14, s36, s14
	s_addc_u32 s15, s37, s15
	s_add_u32 s8, s8, 1
	s_addc_u32 s9, s9, 0
	;; [unrolled: 2-line block ×3, first 2 shown]
	s_cmp_lg_u32 s8, s48
	global_store_dword v0, v1, s[14:15]
	s_cbranch_scc0 .LBB63_200
.LBB63_194:                             ; =>This Loop Header: Depth=1
                                        ;     Child Loop BB63_196 Depth 2
	s_mov_b32 s10, s8
	s_lshl_b64 s[14:15], s[10:11], 2
	s_add_u32 s14, s36, s14
	s_addc_u32 s15, s37, s15
	global_load_dword v1, v0, s[14:15]
	s_mov_b64 s[16:17], s[12:13]
	s_mov_b64 s[14:15], s[8:9]
	s_branch .LBB63_196
.LBB63_195:                             ;   in Loop: Header=BB63_196 Depth=2
	s_add_u32 s18, s14, -10
	s_addc_u32 s19, s15, -1
	global_store_dword v0, v2, s[16:17] offset:40
	s_add_u32 s16, s16, 0xffffffd8
	s_addc_u32 s17, s17, -1
	s_cmp_lt_i32 s14, 20
	s_mov_b64 s[20:21], 0
	s_cselect_b64 s[22:23], -1, 0
	s_mov_b64 s[14:15], s[18:19]
	s_andn2_b64 vcc, exec, s[22:23]
	s_cbranch_vccz .LBB63_198
.LBB63_196:                             ;   Parent Loop BB63_194 Depth=1
                                        ; =>  This Inner Loop Header: Depth=2
	global_load_dword v2, v0, s[16:17]
	s_mov_b64 s[20:21], -1
	s_waitcnt vmcnt(0)
	v_cmp_nlt_f32_e32 vcc, v2, v1
	s_cbranch_vccz .LBB63_195
; %bb.197:                              ;   in Loop: Header=BB63_194 Depth=1
                                        ; implicit-def: $sgpr16_sgpr17
                                        ; implicit-def: $sgpr18_sgpr19
.LBB63_198:                             ;   in Loop: Header=BB63_194 Depth=1
	s_andn2_b64 vcc, exec, s[20:21]
	s_cbranch_vccz .LBB63_193
; %bb.199:                              ;   in Loop: Header=BB63_194 Depth=1
	s_bfe_i64 s[14:15], s[18:19], 0x200000
	s_branch .LBB63_193
.LBB63_200:
	s_cmp_lt_i32 s48, 5
	s_cbranch_scc1 .LBB63_209
; %bb.201:
	s_add_u32 s8, s54, s52
	s_addc_u32 s9, s55, s53
	s_add_u32 s8, s8, 16
	s_addc_u32 s9, s9, 0
	s_mov_b64 s[10:11], 4
	s_mov_b32 s13, 0
	v_mov_b32_e32 v0, 0
	s_branch .LBB63_203
.LBB63_202:                             ;   in Loop: Header=BB63_203 Depth=1
	s_lshl_b64 s[14:15], s[14:15], 2
	s_add_u32 s14, s36, s14
	s_addc_u32 s15, s37, s15
	s_add_u32 s10, s10, 1
	s_addc_u32 s11, s11, 0
	;; [unrolled: 2-line block ×3, first 2 shown]
	s_cmp_lg_u32 s10, s48
	global_store_dword v0, v1, s[14:15]
	s_cbranch_scc0 .LBB63_209
.LBB63_203:                             ; =>This Loop Header: Depth=1
                                        ;     Child Loop BB63_205 Depth 2
	s_mov_b32 s12, s10
	s_lshl_b64 s[14:15], s[12:13], 2
	s_add_u32 s14, s36, s14
	s_addc_u32 s15, s37, s15
	global_load_dword v1, v0, s[14:15]
	s_mov_b64 s[16:17], s[8:9]
	s_mov_b64 s[14:15], s[10:11]
	s_branch .LBB63_205
.LBB63_204:                             ;   in Loop: Header=BB63_205 Depth=2
	s_add_u32 s20, s14, -4
	s_addc_u32 s21, s15, -1
	s_cmp_lt_i32 s14, 8
	global_store_dword v0, v2, s[16:17]
	s_mov_b64 s[18:19], 0
	s_cselect_b64 s[24:25], -1, 0
	s_mov_b64 s[14:15], s[20:21]
	s_mov_b64 s[16:17], s[22:23]
	s_andn2_b64 vcc, exec, s[24:25]
	s_cbranch_vccz .LBB63_207
.LBB63_205:                             ;   Parent Loop BB63_203 Depth=1
                                        ; =>  This Inner Loop Header: Depth=2
	global_load_dword v2, v0, s[16:17] offset:-16
	s_add_u32 s22, s16, -16
	s_addc_u32 s23, s17, -1
	s_mov_b64 s[18:19], -1
	s_waitcnt vmcnt(0)
	v_cmp_nlt_f32_e32 vcc, v2, v1
	s_cbranch_vccz .LBB63_204
; %bb.206:                              ;   in Loop: Header=BB63_203 Depth=1
                                        ; implicit-def: $sgpr16_sgpr17
                                        ; implicit-def: $sgpr20_sgpr21
.LBB63_207:                             ;   in Loop: Header=BB63_203 Depth=1
	s_andn2_b64 vcc, exec, s[18:19]
	s_cbranch_vccz .LBB63_202
; %bb.208:                              ;   in Loop: Header=BB63_203 Depth=1
	s_bfe_i64 s[14:15], s[20:21], 0x200000
	s_branch .LBB63_202
.LBB63_209:
	s_cmp_lt_i32 s48, 2
	s_cbranch_scc1 .LBB63_216
; %bb.210:
	s_add_u32 s8, s54, s52
	s_addc_u32 s9, s55, s53
	s_add_u32 s8, s8, 4
	s_addc_u32 s9, s9, 0
	s_mov_b64 s[10:11], 1
	s_mov_b32 s13, 0
	v_mov_b32_e32 v0, 0
	s_branch .LBB63_212
.LBB63_211:                             ;   in Loop: Header=BB63_212 Depth=1
	s_lshl_b64 s[14:15], s[18:19], 2
	s_add_u32 s14, s36, s14
	s_addc_u32 s15, s37, s15
	s_add_u32 s10, s10, 1
	s_addc_u32 s11, s11, 0
	;; [unrolled: 2-line block ×3, first 2 shown]
	s_cmp_eq_u32 s10, s48
	global_store_dword v0, v1, s[14:15]
	s_cbranch_scc1 .LBB63_216
.LBB63_212:                             ; =>This Loop Header: Depth=1
                                        ;     Child Loop BB63_214 Depth 2
	s_mov_b32 s12, s10
	s_lshl_b64 s[14:15], s[12:13], 2
	s_add_u32 s14, s36, s14
	s_addc_u32 s15, s37, s15
	global_load_dword v1, v0, s[14:15]
	s_mov_b64 s[16:17], s[8:9]
	s_mov_b64 s[14:15], s[10:11]
	s_branch .LBB63_214
.LBB63_213:                             ;   in Loop: Header=BB63_214 Depth=2
	global_store_dword v0, v2, s[16:17]
	s_add_u32 s16, s14, -1
	s_addc_u32 s17, s15, -1
	s_cmp_lt_i32 s14, 2
	s_mov_b64 s[18:19], 0
	s_cselect_b64 s[20:21], -1, 0
	s_mov_b64 s[14:15], s[16:17]
	s_mov_b64 s[16:17], s[22:23]
	s_andn2_b64 vcc, exec, s[20:21]
	s_cbranch_vccz .LBB63_211
.LBB63_214:                             ;   Parent Loop BB63_212 Depth=1
                                        ; =>  This Inner Loop Header: Depth=2
	global_load_dword v2, v0, s[16:17] offset:-4
	s_add_u32 s22, s16, -4
	s_addc_u32 s23, s17, -1
	s_mov_b64 s[20:21], -1
	s_waitcnt vmcnt(0)
	v_cmp_nlt_f32_e32 vcc, v2, v1
	s_cbranch_vccz .LBB63_213
; %bb.215:                              ;   in Loop: Header=BB63_214 Depth=2
                                        ; implicit-def: $sgpr16_sgpr17
	s_mov_b64 s[18:19], s[14:15]
	s_andn2_b64 vcc, exec, s[20:21]
	s_cbranch_vccnz .LBB63_214
	s_branch .LBB63_211
.LBB63_216:
	s_or_b64 exec, exec, s[6:7]
	s_cmp_lt_i32 s48, 2
	s_cselect_b64 s[10:11], -1, 0
	s_mov_b64 s[58:59], 0
	s_and_b64 vcc, exec, s[10:11]
	s_barrier
	s_cbranch_vccnz .LBB63_224
; %bb.217:
	s_add_i32 s20, s48, -1
	v_cmp_gt_u32_e32 vcc, s20, v41
	s_mov_b64 s[10:11], -1
	s_mov_b64 s[6:7], 0
	s_and_saveexec_b64 s[8:9], vcc
	s_cbranch_execz .LBB63_226
; %bb.218:
	s_add_u32 s21, s36, 4
	s_addc_u32 s22, s37, 0
	s_mov_b64 s[10:11], 0
	v_mov_b32_e32 v1, 0
	v_mov_b32_e32 v2, s37
	;; [unrolled: 1-line block ×3, first 2 shown]
                                        ; implicit-def: $sgpr12_sgpr13
	s_branch .LBB63_220
.LBB63_219:                             ;   in Loop: Header=BB63_220 Depth=1
	s_or_b64 exec, exec, s[18:19]
	s_xor_b64 s[14:15], s[14:15], -1
	s_and_b64 s[6:7], exec, s[6:7]
	s_or_b64 s[10:11], s[6:7], s[10:11]
	s_andn2_b64 s[6:7], s[12:13], exec
	s_and_b64 s[12:13], s[14:15], exec
	s_or_b64 s[12:13], s[6:7], s[12:13]
	s_andn2_b64 exec, exec, s[10:11]
	s_cbranch_execz .LBB63_225
.LBB63_220:                             ; =>This Inner Loop Header: Depth=1
	v_lshlrev_b64 v[4:5], 2, v[0:1]
	v_add_co_u32_e32 v4, vcc, s36, v4
	v_addc_co_u32_e32 v5, vcc, v2, v5, vcc
	global_load_dword v3, v[4:5], off
                                        ; implicit-def: $sgpr14_sgpr15
	s_waitcnt vmcnt(0)
	v_cmp_u_f32_e64 s[16:17], v3, v3
	v_cmp_o_f32_e32 vcc, v3, v3
	s_and_saveexec_b64 s[18:19], vcc
	s_cbranch_execz .LBB63_222
; %bb.221:                              ;   in Loop: Header=BB63_220 Depth=1
	v_ashrrev_i32_e32 v5, 31, v0
	v_mov_b32_e32 v4, v0
	v_lshlrev_b64 v[4:5], 2, v[4:5]
	v_mov_b32_e32 v6, s22
	v_add_co_u32_e32 v4, vcc, s21, v4
	v_addc_co_u32_e32 v5, vcc, v6, v5, vcc
	global_load_dword v4, v[4:5], off
	s_andn2_b64 s[16:17], s[16:17], exec
	s_mov_b64 s[14:15], -1
	s_waitcnt vmcnt(0)
	v_cmp_u_f32_e32 vcc, v4, v4
	v_cmp_ge_f32_e64 s[6:7], v3, v4
	s_or_b64 s[6:7], vcc, s[6:7]
	s_and_b64 s[6:7], s[6:7], exec
	s_or_b64 s[16:17], s[16:17], s[6:7]
.LBB63_222:                             ;   in Loop: Header=BB63_220 Depth=1
	s_or_b64 exec, exec, s[18:19]
	s_mov_b64 s[6:7], -1
	s_and_saveexec_b64 s[18:19], s[16:17]
	s_cbranch_execz .LBB63_219
; %bb.223:                              ;   in Loop: Header=BB63_220 Depth=1
	v_add_u32_e32 v0, s60, v0
	v_cmp_le_u32_e32 vcc, s20, v0
	s_andn2_b64 s[14:15], s[14:15], exec
	s_orn2_b64 s[6:7], vcc, exec
	s_branch .LBB63_219
.LBB63_224:
	s_mov_b64 s[6:7], 0
	s_branch .LBB63_227
.LBB63_225:
	s_or_b64 exec, exec, s[10:11]
	s_mov_b64 s[6:7], exec
	s_orn2_b64 s[10:11], s[12:13], exec
.LBB63_226:
	s_or_b64 exec, exec, s[8:9]
.LBB63_227:
	s_and_saveexec_b64 s[8:9], s[10:11]
	s_cbranch_execz .LBB63_229
; %bb.228:
	s_mov_b64 s[58:59], exec
	s_barrier
	s_andn2_b64 s[6:7], s[6:7], exec
.LBB63_229:
	s_or_b64 exec, exec, s[8:9]
	s_and_saveexec_b64 s[40:41], s[6:7]
	s_cbranch_execz .LBB63_231
; %bb.230:
	s_add_u32 s8, s4, 0x90
	s_addc_u32 s9, s5, 0
	s_getpc_b64 s[4:5]
	s_add_u32 s4, s4, __PRETTY_FUNCTION__._ZN9rocsolver6v33100L21shell_sort_descendingIfiEEvT0_PT_PS2_@rel32@lo+4
	s_addc_u32 s5, s5, __PRETTY_FUNCTION__._ZN9rocsolver6v33100L21shell_sort_descendingIfiEEvT0_PT_PS2_@rel32@hi+12
	v_mov_b32_e32 v0, s4
	v_mov_b32_e32 v1, s5
	s_getpc_b64 s[6:7]
	s_add_u32 s6, s6, __assert_fail@rel32@lo+4
	s_addc_u32 s7, s7, __assert_fail@rel32@hi+12
	s_swappc_b64 s[30:31], s[6:7]
	s_or_b64 s[62:63], s[62:63], exec
.LBB63_231:
	s_or_b64 exec, exec, s[40:41]
.LBB63_232:
	s_and_saveexec_b64 s[4:5], s[62:63]
; %bb.233:
	; divergent unreachable
; %bb.234:
	s_or_b64 exec, exec, s[4:5]
	s_and_saveexec_b64 s[4:5], s[58:59]
	s_cbranch_execz .LBB63_236
; %bb.235:
	s_barrier
.LBB63_236:
	s_or_b64 exec, exec, s[4:5]
	s_cbranch_execnz .LBB63_260
.LBB63_237:
	s_cmp_lt_i32 s48, 2
	s_cbranch_scc1 .LBB63_260
; %bb.238:
	s_cmp_lg_u32 s49, 0
	s_cselect_b64 s[12:13], -1, 0
	s_cmp_lg_u32 s50, 0
	s_cselect_b64 s[14:15], -1, 0
	;; [unrolled: 2-line block ×3, first 2 shown]
	s_add_i32 s33, s48, -2
	s_add_u32 s18, s54, s52
	v_cndmask_b32_e64 v3, 0, 1, s[12:13]
	s_addc_u32 s21, s55, s53
	v_cmp_ne_u32_e64 s[12:13], 1, v3
	v_cndmask_b32_e64 v3, 0, 1, s[14:15]
	s_add_u32 s20, s18, 4
	v_cmp_ne_u32_e64 s[14:15], 1, v3
	v_cndmask_b32_e64 v3, 0, 1, s[16:17]
	s_mov_b32 s19, 0
	v_cmp_eq_u32_e64 s[4:5], 0, v41
	v_cmp_gt_i32_e64 s[6:7], s49, v41
	v_cmp_gt_i32_e64 s[8:9], s50, v41
	;; [unrolled: 1-line block ×3, first 2 shown]
	s_addc_u32 s21, s21, 0
	v_mul_lo_u32 v0, s47, v41
	s_mul_i32 s40, s47, s42
	v_mul_lo_u32 v1, s61, v41
	s_mul_i32 s41, s61, s42
	v_mov_b32_e32 v2, 0
	v_cmp_ne_u32_e64 s[16:17], 1, v3
	s_mov_b32 s47, 0
	s_mov_b32 s52, 0
	s_branch .LBB63_241
.LBB63_239:                             ;   in Loop: Header=BB63_241 Depth=1
	s_or_b64 exec, exec, s[24:25]
	s_waitcnt lgkmcnt(0)
	s_barrier
.LBB63_240:                             ;   in Loop: Header=BB63_241 Depth=1
	s_add_u32 s20, s20, 4
	s_addc_u32 s21, s21, 0
	s_add_i32 s47, s47, s43
	s_cmp_eq_u32 s18, s33
	s_cbranch_scc1 .LBB63_260
.LBB63_241:                             ; =>This Loop Header: Depth=1
                                        ;     Child Loop BB63_242 Depth 2
                                        ;     Child Loop BB63_249 Depth 2
	;; [unrolled: 1-line block ×4, first 2 shown]
	s_mov_b32 s18, s52
	s_lshl_b64 s[22:23], s[18:19], 2
	s_add_u32 s24, s36, s22
	s_addc_u32 s25, s37, s23
	global_load_dword v3, v2, s[24:25]
	s_add_i32 s52, s52, 1
	s_mov_b64 s[30:31], s[20:21]
	s_mov_b32 s23, s52
	s_mov_b32 s22, s18
.LBB63_242:                             ;   Parent Loop BB63_241 Depth=1
                                        ; =>  This Inner Loop Header: Depth=2
	global_load_dword v4, v2, s[30:31]
	s_waitcnt vmcnt(0)
	v_cmp_gt_f32_e32 vcc, v4, v3
	s_and_b64 s[54:55], vcc, exec
	s_cselect_b32 s22, s23, s22
	s_add_i32 s23, s23, 1
	s_add_u32 s30, s30, 4
	s_addc_u32 s31, s31, 0
	v_cndmask_b32_e32 v3, v3, v4, vcc
	s_cmp_lt_i32 s23, s48
	s_cbranch_scc1 .LBB63_242
; %bb.243:                              ;   in Loop: Header=BB63_241 Depth=1
	s_cmp_eq_u32 s22, s18
	s_barrier
	s_cbranch_scc1 .LBB63_240
; %bb.244:                              ;   in Loop: Header=BB63_241 Depth=1
	s_and_saveexec_b64 s[30:31], s[4:5]
	s_cbranch_execz .LBB63_246
; %bb.245:                              ;   in Loop: Header=BB63_241 Depth=1
	global_load_dword v4, v2, s[24:25]
	s_ashr_i32 s23, s22, 31
	s_lshl_b64 s[54:55], s[22:23], 2
	s_add_u32 s54, s36, s54
	s_addc_u32 s55, s37, s55
	s_waitcnt vmcnt(0)
	global_store_dword v2, v4, s[54:55]
	global_store_dword v2, v3, s[24:25]
.LBB63_246:                             ;   in Loop: Header=BB63_241 Depth=1
	s_or_b64 exec, exec, s[30:31]
	s_and_b64 vcc, exec, s[12:13]
	s_cbranch_vccnz .LBB63_251
; %bb.247:                              ;   in Loop: Header=BB63_241 Depth=1
	s_and_saveexec_b64 s[24:25], s[6:7]
	s_cbranch_execz .LBB63_250
; %bb.248:                              ;   in Loop: Header=BB63_241 Depth=1
	s_mov_b64 s[30:31], 0
	v_mov_b32_e32 v3, v0
	v_mov_b32_e32 v4, v41
.LBB63_249:                             ;   Parent Loop BB63_241 Depth=1
                                        ; =>  This Inner Loop Header: Depth=2
	v_add_u32_e32 v6, s22, v3
	v_ashrrev_i32_e32 v7, 31, v6
	v_add_u32_e32 v8, s18, v3
	v_lshlrev_b64 v[6:7], 2, v[6:7]
	v_mov_b32_e32 v5, s35
	v_ashrrev_i32_e32 v9, 31, v8
	v_add_co_u32_e32 v6, vcc, s34, v6
	v_lshlrev_b64 v[8:9], 2, v[8:9]
	v_addc_co_u32_e32 v7, vcc, v5, v7, vcc
	v_add_co_u32_e32 v8, vcc, s34, v8
	v_addc_co_u32_e32 v9, vcc, v5, v9, vcc
	flat_load_dword v5, v[8:9]
	flat_load_dword v10, v[6:7]
	v_add_u32_e32 v4, s42, v4
	v_cmp_le_i32_e32 vcc, s49, v4
	v_add_u32_e32 v3, s40, v3
	s_or_b64 s[30:31], vcc, s[30:31]
	s_waitcnt vmcnt(0) lgkmcnt(0)
	flat_store_dword v[6:7], v5
	flat_store_dword v[8:9], v10
	s_andn2_b64 exec, exec, s[30:31]
	s_cbranch_execnz .LBB63_249
.LBB63_250:                             ;   in Loop: Header=BB63_241 Depth=1
	s_or_b64 exec, exec, s[24:25]
	s_waitcnt lgkmcnt(0)
	s_barrier
.LBB63_251:                             ;   in Loop: Header=BB63_241 Depth=1
	s_and_b64 vcc, exec, s[14:15]
	s_cbranch_vccnz .LBB63_256
; %bb.252:                              ;   in Loop: Header=BB63_241 Depth=1
	s_and_saveexec_b64 s[24:25], s[8:9]
	s_cbranch_execz .LBB63_255
; %bb.253:                              ;   in Loop: Header=BB63_241 Depth=1
	s_mul_i32 s23, s22, s43
	s_mov_b64 s[30:31], 0
	v_mov_b32_e32 v3, v41
.LBB63_254:                             ;   Parent Loop BB63_241 Depth=1
                                        ; =>  This Inner Loop Header: Depth=2
	v_add_u32_e32 v4, s23, v3
	v_ashrrev_i32_e32 v5, 31, v4
	v_add_u32_e32 v6, s47, v3
	v_lshlrev_b64 v[4:5], 2, v[4:5]
	v_mov_b32_e32 v8, s29
	v_ashrrev_i32_e32 v7, 31, v6
	v_add_co_u32_e32 v4, vcc, s28, v4
	v_lshlrev_b64 v[6:7], 2, v[6:7]
	v_addc_co_u32_e32 v5, vcc, v8, v5, vcc
	v_add_co_u32_e32 v6, vcc, s28, v6
	v_addc_co_u32_e32 v7, vcc, v8, v7, vcc
	flat_load_dword v8, v[6:7]
	flat_load_dword v9, v[4:5]
	v_add_u32_e32 v3, s42, v3
	v_cmp_le_i32_e32 vcc, s50, v3
	s_or_b64 s[30:31], vcc, s[30:31]
	s_waitcnt vmcnt(0) lgkmcnt(0)
	flat_store_dword v[4:5], v8
	flat_store_dword v[6:7], v9
	s_andn2_b64 exec, exec, s[30:31]
	s_cbranch_execnz .LBB63_254
.LBB63_255:                             ;   in Loop: Header=BB63_241 Depth=1
	s_or_b64 exec, exec, s[24:25]
	s_waitcnt lgkmcnt(0)
	s_barrier
.LBB63_256:                             ;   in Loop: Header=BB63_241 Depth=1
	s_and_b64 vcc, exec, s[16:17]
	s_cbranch_vccnz .LBB63_240
; %bb.257:                              ;   in Loop: Header=BB63_241 Depth=1
	s_and_saveexec_b64 s[24:25], s[10:11]
	s_cbranch_execz .LBB63_239
; %bb.258:                              ;   in Loop: Header=BB63_241 Depth=1
	s_mov_b64 s[30:31], 0
	v_mov_b32_e32 v3, v1
	v_mov_b32_e32 v4, v41
.LBB63_259:                             ;   Parent Loop BB63_241 Depth=1
                                        ; =>  This Inner Loop Header: Depth=2
	v_add_u32_e32 v6, s22, v3
	v_ashrrev_i32_e32 v7, 31, v6
	v_add_u32_e32 v8, s18, v3
	v_lshlrev_b64 v[6:7], 2, v[6:7]
	v_mov_b32_e32 v5, s45
	v_ashrrev_i32_e32 v9, 31, v8
	v_add_co_u32_e32 v6, vcc, s44, v6
	v_lshlrev_b64 v[8:9], 2, v[8:9]
	v_addc_co_u32_e32 v7, vcc, v5, v7, vcc
	v_add_co_u32_e32 v8, vcc, s44, v8
	v_addc_co_u32_e32 v9, vcc, v5, v9, vcc
	flat_load_dword v5, v[8:9]
	flat_load_dword v10, v[6:7]
	v_add_u32_e32 v4, s42, v4
	v_cmp_le_i32_e32 vcc, s51, v4
	v_add_u32_e32 v3, s41, v3
	s_or_b64 s[30:31], vcc, s[30:31]
	s_waitcnt vmcnt(0) lgkmcnt(0)
	flat_store_dword v[6:7], v5
	flat_store_dword v[8:9], v10
	s_andn2_b64 exec, exec, s[30:31]
	s_cbranch_execnz .LBB63_259
	s_branch .LBB63_239
.LBB63_260:
	s_mov_b64 s[6:7], 0
.LBB63_261:
	s_andn2_b64 vcc, exec, s[6:7]
	s_cbranch_vccnz .LBB63_264
; %bb.262:
	v_cmp_eq_u32_e32 vcc, 0, v41
	s_and_saveexec_b64 s[4:5], vcc
	s_cbranch_execz .LBB63_264
; %bb.263:
	s_add_u32 s4, s38, s26
	s_addc_u32 s5, s39, s27
	v_mov_b32_e32 v0, 0
	v_mov_b32_e32 v1, s46
	global_store_dword v0, v1, s[4:5]
.LBB63_264:
	s_endpgm
	.section	.rodata,"a",@progbits
	.p2align	6, 0x0
	.amdhsa_kernel _ZN9rocsolver6v33100L14bdsqr_finalizeIffPfS2_S2_EEviiiiPT0_lS4_lT1_iilT2_iilT3_iilPiS8_S8_
		.amdhsa_group_segment_fixed_size 0
		.amdhsa_private_segment_fixed_size 64
		.amdhsa_kernarg_size 400
		.amdhsa_user_sgpr_count 8
		.amdhsa_user_sgpr_private_segment_buffer 1
		.amdhsa_user_sgpr_dispatch_ptr 0
		.amdhsa_user_sgpr_queue_ptr 0
		.amdhsa_user_sgpr_kernarg_segment_ptr 1
		.amdhsa_user_sgpr_dispatch_id 0
		.amdhsa_user_sgpr_flat_scratch_init 1
		.amdhsa_user_sgpr_kernarg_preload_length 0
		.amdhsa_user_sgpr_kernarg_preload_offset 0
		.amdhsa_user_sgpr_private_segment_size 0
		.amdhsa_uses_dynamic_stack 0
		.amdhsa_system_sgpr_private_segment_wavefront_offset 1
		.amdhsa_system_sgpr_workgroup_id_x 1
		.amdhsa_system_sgpr_workgroup_id_y 1
		.amdhsa_system_sgpr_workgroup_id_z 0
		.amdhsa_system_sgpr_workgroup_info 0
		.amdhsa_system_vgpr_workitem_id 2
		.amdhsa_next_free_vgpr 45
		.amdhsa_next_free_sgpr 78
		.amdhsa_accum_offset 48
		.amdhsa_reserve_vcc 1
		.amdhsa_reserve_flat_scratch 1
		.amdhsa_float_round_mode_32 0
		.amdhsa_float_round_mode_16_64 0
		.amdhsa_float_denorm_mode_32 3
		.amdhsa_float_denorm_mode_16_64 3
		.amdhsa_dx10_clamp 1
		.amdhsa_ieee_mode 1
		.amdhsa_fp16_overflow 0
		.amdhsa_tg_split 0
		.amdhsa_exception_fp_ieee_invalid_op 0
		.amdhsa_exception_fp_denorm_src 0
		.amdhsa_exception_fp_ieee_div_zero 0
		.amdhsa_exception_fp_ieee_overflow 0
		.amdhsa_exception_fp_ieee_underflow 0
		.amdhsa_exception_fp_ieee_inexact 0
		.amdhsa_exception_int_div_zero 0
	.end_amdhsa_kernel
	.section	.text._ZN9rocsolver6v33100L14bdsqr_finalizeIffPfS2_S2_EEviiiiPT0_lS4_lT1_iilT2_iilT3_iilPiS8_S8_,"axG",@progbits,_ZN9rocsolver6v33100L14bdsqr_finalizeIffPfS2_S2_EEviiiiPT0_lS4_lT1_iilT2_iilT3_iilPiS8_S8_,comdat
.Lfunc_end63:
	.size	_ZN9rocsolver6v33100L14bdsqr_finalizeIffPfS2_S2_EEviiiiPT0_lS4_lT1_iilT2_iilT3_iilPiS8_S8_, .Lfunc_end63-_ZN9rocsolver6v33100L14bdsqr_finalizeIffPfS2_S2_EEviiiiPT0_lS4_lT1_iilT2_iilT3_iilPiS8_S8_
                                        ; -- End function
	.section	.AMDGPU.csdata,"",@progbits
; Kernel info:
; codeLenInByte = 7708
; NumSgprs: 84
; NumVgprs: 45
; NumAgprs: 0
; TotalNumVgprs: 45
; ScratchSize: 64
; MemoryBound: 0
; FloatMode: 240
; IeeeMode: 1
; LDSByteSize: 0 bytes/workgroup (compile time only)
; SGPRBlocks: 10
; VGPRBlocks: 5
; NumSGPRsForWavesPerEU: 84
; NumVGPRsForWavesPerEU: 45
; AccumOffset: 48
; Occupancy: 8
; WaveLimiterHint : 1
; COMPUTE_PGM_RSRC2:SCRATCH_EN: 1
; COMPUTE_PGM_RSRC2:USER_SGPR: 8
; COMPUTE_PGM_RSRC2:TRAP_HANDLER: 0
; COMPUTE_PGM_RSRC2:TGID_X_EN: 1
; COMPUTE_PGM_RSRC2:TGID_Y_EN: 1
; COMPUTE_PGM_RSRC2:TGID_Z_EN: 0
; COMPUTE_PGM_RSRC2:TIDIG_COMP_CNT: 2
; COMPUTE_PGM_RSRC3_GFX90A:ACCUM_OFFSET: 11
; COMPUTE_PGM_RSRC3_GFX90A:TG_SPLIT: 0
	.section	.text._ZN9rocsolver6v33100L8copy_matIfPfPKS2_NS0_7no_maskEEEviiT0_iilT1_iilT2_13rocblas_fill_17rocblas_diagonal_,"axG",@progbits,_ZN9rocsolver6v33100L8copy_matIfPfPKS2_NS0_7no_maskEEEviiT0_iilT1_iilT2_13rocblas_fill_17rocblas_diagonal_,comdat
	.globl	_ZN9rocsolver6v33100L8copy_matIfPfPKS2_NS0_7no_maskEEEviiT0_iilT1_iilT2_13rocblas_fill_17rocblas_diagonal_ ; -- Begin function _ZN9rocsolver6v33100L8copy_matIfPfPKS2_NS0_7no_maskEEEviiT0_iilT1_iilT2_13rocblas_fill_17rocblas_diagonal_
	.p2align	8
	.type	_ZN9rocsolver6v33100L8copy_matIfPfPKS2_NS0_7no_maskEEEviiT0_iilT1_iilT2_13rocblas_fill_17rocblas_diagonal_,@function
_ZN9rocsolver6v33100L8copy_matIfPfPKS2_NS0_7no_maskEEEviiT0_iilT1_iilT2_13rocblas_fill_17rocblas_diagonal_: ; @_ZN9rocsolver6v33100L8copy_matIfPfPKS2_NS0_7no_maskEEEviiT0_iilT1_iilT2_13rocblas_fill_17rocblas_diagonal_
; %bb.0:
	s_load_dword s2, s[4:5], 0x54
	s_load_dwordx2 s[0:1], s[4:5], 0x0
	v_bfe_u32 v1, v0, 10, 10
	v_and_b32_e32 v0, 0x3ff, v0
	s_waitcnt lgkmcnt(0)
	s_lshr_b32 s3, s2, 16
	s_and_b32 s2, s2, 0xffff
	s_mul_i32 s7, s7, s3
	s_mul_i32 s6, s6, s2
	v_add_u32_e32 v1, s7, v1
	v_add_u32_e32 v0, s6, v0
	v_cmp_gt_u32_e32 vcc, s0, v0
	v_cmp_gt_u32_e64 s[0:1], s1, v1
	s_and_b64 s[0:1], s[0:1], vcc
	s_and_saveexec_b64 s[2:3], s[0:1]
	s_cbranch_execz .LBB64_14
; %bb.1:
	s_load_dwordx2 s[2:3], s[4:5], 0x3c
	s_waitcnt lgkmcnt(0)
	s_cmpk_lt_i32 s2, 0x7a
	s_cbranch_scc1 .LBB64_4
; %bb.2:
	s_cmpk_gt_i32 s2, 0x7a
	s_cbranch_scc0 .LBB64_5
; %bb.3:
	s_cmpk_lg_i32 s2, 0x7b
	s_mov_b64 s[6:7], -1
	s_cselect_b64 s[10:11], -1, 0
	s_cbranch_execz .LBB64_6
	s_branch .LBB64_7
.LBB64_4:
	s_mov_b64 s[10:11], 0
	s_mov_b64 s[6:7], 0
	s_cbranch_execnz .LBB64_8
	s_branch .LBB64_10
.LBB64_5:
	s_mov_b64 s[6:7], 0
	s_mov_b64 s[10:11], 0
.LBB64_6:
	v_cmp_gt_u32_e32 vcc, v0, v1
	v_cmp_le_u32_e64 s[0:1], v0, v1
	s_andn2_b64 s[6:7], s[6:7], exec
	s_and_b64 s[12:13], vcc, exec
	s_andn2_b64 s[10:11], s[10:11], exec
	s_and_b64 s[0:1], s[0:1], exec
	s_or_b64 s[6:7], s[6:7], s[12:13]
	s_or_b64 s[10:11], s[10:11], s[0:1]
.LBB64_7:
	s_branch .LBB64_10
.LBB64_8:
	s_cmpk_eq_i32 s2, 0x79
	s_mov_b64 s[10:11], -1
	s_cbranch_scc0 .LBB64_10
; %bb.9:
	v_cmp_gt_u32_e32 vcc, v1, v0
	v_cmp_le_u32_e64 s[0:1], v1, v0
	s_andn2_b64 s[6:7], s[6:7], exec
	s_and_b64 s[10:11], vcc, exec
	s_or_b64 s[6:7], s[6:7], s[10:11]
	s_orn2_b64 s[10:11], s[0:1], exec
.LBB64_10:
	s_and_saveexec_b64 s[0:1], s[10:11]
; %bb.11:
	s_cmpk_eq_i32 s3, 0x83
	s_cselect_b64 s[2:3], -1, 0
	v_cmp_eq_u32_e32 vcc, v0, v1
	s_and_b64 s[2:3], s[2:3], vcc
	s_andn2_b64 s[6:7], s[6:7], exec
	s_and_b64 s[2:3], s[2:3], exec
	s_or_b64 s[6:7], s[6:7], s[2:3]
; %bb.12:
	s_or_b64 exec, exec, s[0:1]
	s_and_b64 exec, exec, s[6:7]
	s_cbranch_execz .LBB64_14
; %bb.13:
	s_load_dwordx8 s[12:19], s[4:5], 0x8
	s_mov_b32 s9, 0
	s_waitcnt lgkmcnt(0)
	s_mul_i32 s3, s8, s17
	s_mul_hi_u32 s6, s8, s16
	s_mul_i32 s2, s8, s16
	s_add_i32 s3, s6, s3
	s_ashr_i32 s1, s14, 31
	s_lshl_b64 s[2:3], s[2:3], 2
	s_mov_b32 s0, s14
	s_add_u32 s2, s12, s2
	s_addc_u32 s3, s13, s3
	s_lshl_b64 s[0:1], s[0:1], 2
	s_add_u32 s2, s2, s0
	s_addc_u32 s3, s3, s1
	v_mad_u64_u32 v[2:3], s[0:1], v1, s15, v[0:1]
	v_mov_b32_e32 v3, 0
	v_lshlrev_b64 v[4:5], 2, v[2:3]
	v_mov_b32_e32 v2, s3
	v_add_co_u32_e32 v4, vcc, s2, v4
	v_addc_co_u32_e32 v5, vcc, v2, v5, vcc
	global_load_dword v2, v[4:5], off
	s_load_dwordx2 s[0:1], s[4:5], 0x28
	s_lshl_b64 s[4:5], s[8:9], 3
	s_waitcnt lgkmcnt(0)
	s_ashr_i32 s3, s0, 31
	s_add_u32 s4, s18, s4
	s_addc_u32 s5, s19, s5
	s_load_dwordx2 s[4:5], s[4:5], 0x0
	s_mov_b32 s2, s0
	s_lshl_b64 s[2:3], s[2:3], 2
	v_mad_u64_u32 v[0:1], s[0:1], v1, s1, v[0:1]
	s_waitcnt lgkmcnt(0)
	s_add_u32 s2, s4, s2
	v_mov_b32_e32 v1, v3
	s_addc_u32 s3, s5, s3
	v_lshlrev_b64 v[0:1], 2, v[0:1]
	v_mov_b32_e32 v3, s3
	v_add_co_u32_e32 v0, vcc, s2, v0
	v_addc_co_u32_e32 v1, vcc, v3, v1, vcc
	s_waitcnt vmcnt(0)
	global_store_dword v[0:1], v2, off
.LBB64_14:
	s_endpgm
	.section	.rodata,"a",@progbits
	.p2align	6, 0x0
	.amdhsa_kernel _ZN9rocsolver6v33100L8copy_matIfPfPKS2_NS0_7no_maskEEEviiT0_iilT1_iilT2_13rocblas_fill_17rocblas_diagonal_
		.amdhsa_group_segment_fixed_size 0
		.amdhsa_private_segment_fixed_size 0
		.amdhsa_kernarg_size 328
		.amdhsa_user_sgpr_count 6
		.amdhsa_user_sgpr_private_segment_buffer 1
		.amdhsa_user_sgpr_dispatch_ptr 0
		.amdhsa_user_sgpr_queue_ptr 0
		.amdhsa_user_sgpr_kernarg_segment_ptr 1
		.amdhsa_user_sgpr_dispatch_id 0
		.amdhsa_user_sgpr_flat_scratch_init 0
		.amdhsa_user_sgpr_kernarg_preload_length 0
		.amdhsa_user_sgpr_kernarg_preload_offset 0
		.amdhsa_user_sgpr_private_segment_size 0
		.amdhsa_uses_dynamic_stack 0
		.amdhsa_system_sgpr_private_segment_wavefront_offset 0
		.amdhsa_system_sgpr_workgroup_id_x 1
		.amdhsa_system_sgpr_workgroup_id_y 1
		.amdhsa_system_sgpr_workgroup_id_z 1
		.amdhsa_system_sgpr_workgroup_info 0
		.amdhsa_system_vgpr_workitem_id 1
		.amdhsa_next_free_vgpr 6
		.amdhsa_next_free_sgpr 20
		.amdhsa_accum_offset 8
		.amdhsa_reserve_vcc 1
		.amdhsa_reserve_flat_scratch 0
		.amdhsa_float_round_mode_32 0
		.amdhsa_float_round_mode_16_64 0
		.amdhsa_float_denorm_mode_32 3
		.amdhsa_float_denorm_mode_16_64 3
		.amdhsa_dx10_clamp 1
		.amdhsa_ieee_mode 1
		.amdhsa_fp16_overflow 0
		.amdhsa_tg_split 0
		.amdhsa_exception_fp_ieee_invalid_op 0
		.amdhsa_exception_fp_denorm_src 0
		.amdhsa_exception_fp_ieee_div_zero 0
		.amdhsa_exception_fp_ieee_overflow 0
		.amdhsa_exception_fp_ieee_underflow 0
		.amdhsa_exception_fp_ieee_inexact 0
		.amdhsa_exception_int_div_zero 0
	.end_amdhsa_kernel
	.section	.text._ZN9rocsolver6v33100L8copy_matIfPfPKS2_NS0_7no_maskEEEviiT0_iilT1_iilT2_13rocblas_fill_17rocblas_diagonal_,"axG",@progbits,_ZN9rocsolver6v33100L8copy_matIfPfPKS2_NS0_7no_maskEEEviiT0_iilT1_iilT2_13rocblas_fill_17rocblas_diagonal_,comdat
.Lfunc_end64:
	.size	_ZN9rocsolver6v33100L8copy_matIfPfPKS2_NS0_7no_maskEEEviiT0_iilT1_iilT2_13rocblas_fill_17rocblas_diagonal_, .Lfunc_end64-_ZN9rocsolver6v33100L8copy_matIfPfPKS2_NS0_7no_maskEEEviiT0_iilT1_iilT2_13rocblas_fill_17rocblas_diagonal_
                                        ; -- End function
	.section	.AMDGPU.csdata,"",@progbits
; Kernel info:
; codeLenInByte = 492
; NumSgprs: 24
; NumVgprs: 6
; NumAgprs: 0
; TotalNumVgprs: 6
; ScratchSize: 0
; MemoryBound: 0
; FloatMode: 240
; IeeeMode: 1
; LDSByteSize: 0 bytes/workgroup (compile time only)
; SGPRBlocks: 2
; VGPRBlocks: 0
; NumSGPRsForWavesPerEU: 24
; NumVGPRsForWavesPerEU: 6
; AccumOffset: 8
; Occupancy: 8
; WaveLimiterHint : 1
; COMPUTE_PGM_RSRC2:SCRATCH_EN: 0
; COMPUTE_PGM_RSRC2:USER_SGPR: 6
; COMPUTE_PGM_RSRC2:TRAP_HANDLER: 0
; COMPUTE_PGM_RSRC2:TGID_X_EN: 1
; COMPUTE_PGM_RSRC2:TGID_Y_EN: 1
; COMPUTE_PGM_RSRC2:TGID_Z_EN: 1
; COMPUTE_PGM_RSRC2:TIDIG_COMP_CNT: 1
; COMPUTE_PGM_RSRC3_GFX90A:ACCUM_OFFSET: 1
; COMPUTE_PGM_RSRC3_GFX90A:TG_SPLIT: 0
	.section	.text._ZN9rocsolver6v33100L6iota_nIdEEvPT_jS2_,"axG",@progbits,_ZN9rocsolver6v33100L6iota_nIdEEvPT_jS2_,comdat
	.globl	_ZN9rocsolver6v33100L6iota_nIdEEvPT_jS2_ ; -- Begin function _ZN9rocsolver6v33100L6iota_nIdEEvPT_jS2_
	.p2align	8
	.type	_ZN9rocsolver6v33100L6iota_nIdEEvPT_jS2_,@function
_ZN9rocsolver6v33100L6iota_nIdEEvPT_jS2_: ; @_ZN9rocsolver6v33100L6iota_nIdEEvPT_jS2_
; %bb.0:
	s_load_dword s0, s[4:5], 0x8
	s_waitcnt lgkmcnt(0)
	v_cmp_gt_u32_e32 vcc, s0, v0
	s_and_saveexec_b64 s[0:1], vcc
	s_cbranch_execz .LBB65_2
; %bb.1:
	s_load_dwordx2 s[0:1], s[4:5], 0x10
	s_load_dwordx2 s[2:3], s[4:5], 0x0
	v_lshlrev_b32_e32 v2, 3, v0
	v_cvt_f64_u32_e32 v[0:1], v0
	s_waitcnt lgkmcnt(0)
	v_add_f64 v[0:1], v[0:1], s[0:1]
	global_store_dwordx2 v2, v[0:1], s[2:3]
.LBB65_2:
	s_endpgm
	.section	.rodata,"a",@progbits
	.p2align	6, 0x0
	.amdhsa_kernel _ZN9rocsolver6v33100L6iota_nIdEEvPT_jS2_
		.amdhsa_group_segment_fixed_size 0
		.amdhsa_private_segment_fixed_size 0
		.amdhsa_kernarg_size 24
		.amdhsa_user_sgpr_count 6
		.amdhsa_user_sgpr_private_segment_buffer 1
		.amdhsa_user_sgpr_dispatch_ptr 0
		.amdhsa_user_sgpr_queue_ptr 0
		.amdhsa_user_sgpr_kernarg_segment_ptr 1
		.amdhsa_user_sgpr_dispatch_id 0
		.amdhsa_user_sgpr_flat_scratch_init 0
		.amdhsa_user_sgpr_kernarg_preload_length 0
		.amdhsa_user_sgpr_kernarg_preload_offset 0
		.amdhsa_user_sgpr_private_segment_size 0
		.amdhsa_uses_dynamic_stack 0
		.amdhsa_system_sgpr_private_segment_wavefront_offset 0
		.amdhsa_system_sgpr_workgroup_id_x 1
		.amdhsa_system_sgpr_workgroup_id_y 0
		.amdhsa_system_sgpr_workgroup_id_z 0
		.amdhsa_system_sgpr_workgroup_info 0
		.amdhsa_system_vgpr_workitem_id 0
		.amdhsa_next_free_vgpr 3
		.amdhsa_next_free_sgpr 6
		.amdhsa_accum_offset 4
		.amdhsa_reserve_vcc 1
		.amdhsa_reserve_flat_scratch 0
		.amdhsa_float_round_mode_32 0
		.amdhsa_float_round_mode_16_64 0
		.amdhsa_float_denorm_mode_32 3
		.amdhsa_float_denorm_mode_16_64 3
		.amdhsa_dx10_clamp 1
		.amdhsa_ieee_mode 1
		.amdhsa_fp16_overflow 0
		.amdhsa_tg_split 0
		.amdhsa_exception_fp_ieee_invalid_op 0
		.amdhsa_exception_fp_denorm_src 0
		.amdhsa_exception_fp_ieee_div_zero 0
		.amdhsa_exception_fp_ieee_overflow 0
		.amdhsa_exception_fp_ieee_underflow 0
		.amdhsa_exception_fp_ieee_inexact 0
		.amdhsa_exception_int_div_zero 0
	.end_amdhsa_kernel
	.section	.text._ZN9rocsolver6v33100L6iota_nIdEEvPT_jS2_,"axG",@progbits,_ZN9rocsolver6v33100L6iota_nIdEEvPT_jS2_,comdat
.Lfunc_end65:
	.size	_ZN9rocsolver6v33100L6iota_nIdEEvPT_jS2_, .Lfunc_end65-_ZN9rocsolver6v33100L6iota_nIdEEvPT_jS2_
                                        ; -- End function
	.section	.AMDGPU.csdata,"",@progbits
; Kernel info:
; codeLenInByte = 72
; NumSgprs: 10
; NumVgprs: 3
; NumAgprs: 0
; TotalNumVgprs: 3
; ScratchSize: 0
; MemoryBound: 0
; FloatMode: 240
; IeeeMode: 1
; LDSByteSize: 0 bytes/workgroup (compile time only)
; SGPRBlocks: 1
; VGPRBlocks: 0
; NumSGPRsForWavesPerEU: 10
; NumVGPRsForWavesPerEU: 3
; AccumOffset: 4
; Occupancy: 8
; WaveLimiterHint : 0
; COMPUTE_PGM_RSRC2:SCRATCH_EN: 0
; COMPUTE_PGM_RSRC2:USER_SGPR: 6
; COMPUTE_PGM_RSRC2:TRAP_HANDLER: 0
; COMPUTE_PGM_RSRC2:TGID_X_EN: 1
; COMPUTE_PGM_RSRC2:TGID_Y_EN: 0
; COMPUTE_PGM_RSRC2:TGID_Z_EN: 0
; COMPUTE_PGM_RSRC2:TIDIG_COMP_CNT: 0
; COMPUTE_PGM_RSRC3_GFX90A:ACCUM_OFFSET: 0
; COMPUTE_PGM_RSRC3_GFX90A:TG_SPLIT: 0
	.section	.text._ZN9rocsolver6v33100L18geqr2_kernel_smallILi256EdidPKPdEEvT1_S5_T3_lS5_lPT2_lPT0_l,"axG",@progbits,_ZN9rocsolver6v33100L18geqr2_kernel_smallILi256EdidPKPdEEvT1_S5_T3_lS5_lPT2_lPT0_l,comdat
	.globl	_ZN9rocsolver6v33100L18geqr2_kernel_smallILi256EdidPKPdEEvT1_S5_T3_lS5_lPT2_lPT0_l ; -- Begin function _ZN9rocsolver6v33100L18geqr2_kernel_smallILi256EdidPKPdEEvT1_S5_T3_lS5_lPT2_lPT0_l
	.p2align	8
	.type	_ZN9rocsolver6v33100L18geqr2_kernel_smallILi256EdidPKPdEEvT1_S5_T3_lS5_lPT2_lPT0_l,@function
_ZN9rocsolver6v33100L18geqr2_kernel_smallILi256EdidPKPdEEvT1_S5_T3_lS5_lPT2_lPT0_l: ; @_ZN9rocsolver6v33100L18geqr2_kernel_smallILi256EdidPKPdEEvT1_S5_T3_lS5_lPT2_lPT0_l
; %bb.0:
	s_load_dwordx4 s[0:3], s[4:5], 0x8
	s_mov_b32 s6, s7
	s_ashr_i32 s7, s7, 31
	s_lshl_b64 s[8:9], s[6:7], 3
	v_and_b32_e32 v2, 0x7f, v0
	s_waitcnt lgkmcnt(0)
	s_add_u32 s0, s0, s8
	s_addc_u32 s1, s1, s9
	s_load_dwordx2 s[8:9], s[0:1], 0x0
	s_load_dwordx2 s[16:17], s[4:5], 0x0
	s_load_dword s35, s[4:5], 0x18
	s_lshl_b64 s[0:1], s[2:3], 3
	v_lshrrev_b32_e32 v3, 7, v0
	s_waitcnt lgkmcnt(0)
	s_add_u32 s33, s8, s0
	s_addc_u32 s34, s9, s1
	v_cmp_gt_i32_e64 s[0:1], s16, v2
	v_lshlrev_b32_e32 v14, 3, v2
	s_and_saveexec_b64 s[8:9], s[0:1]
	s_cbranch_execz .LBB66_6
; %bb.1:
	v_lshrrev_b32_e32 v1, 7, v0
	v_mul_lo_u32 v4, s16, v1
	v_lshlrev_b32_e32 v4, 3, v4
	v_add3_u32 v8, v4, v14, 0
	v_mad_u64_u32 v[4:5], s[2:3], s35, v1, v[2:3]
	v_cmp_gt_i32_e32 vcc, s17, v1
	s_lshl_b32 s18, s16, 4
	s_lshl_b32 s19, s35, 1
	s_mov_b64 s[10:11], 0
	v_mov_b32_e32 v5, v2
	s_branch .LBB66_3
.LBB66_2:                               ;   in Loop: Header=BB66_3 Depth=1
	s_or_b64 exec, exec, s[12:13]
	v_add_u32_e32 v5, 0x80, v5
	v_cmp_le_i32_e64 s[2:3], s16, v5
	v_add_u32_e32 v8, 0x400, v8
	s_or_b64 s[10:11], s[2:3], s[10:11]
	v_add_u32_e32 v4, 0x80, v4
	s_andn2_b64 exec, exec, s[10:11]
	s_cbranch_execz .LBB66_6
.LBB66_3:                               ; =>This Loop Header: Depth=1
                                        ;     Child Loop BB66_5 Depth 2
	s_and_saveexec_b64 s[12:13], vcc
	s_cbranch_execz .LBB66_2
; %bb.4:                                ;   in Loop: Header=BB66_3 Depth=1
	s_mov_b64 s[14:15], 0
	v_mov_b32_e32 v6, v4
	v_mov_b32_e32 v9, v8
	v_mov_b32_e32 v10, v1
.LBB66_5:                               ;   Parent Loop BB66_3 Depth=1
                                        ; =>  This Inner Loop Header: Depth=2
	v_ashrrev_i32_e32 v7, 31, v6
	v_lshlrev_b64 v[12:13], 3, v[6:7]
	v_mov_b32_e32 v11, s34
	v_add_co_u32_e64 v12, s[2:3], s33, v12
	v_addc_co_u32_e64 v13, s[2:3], v11, v13, s[2:3]
	global_load_dwordx2 v[12:13], v[12:13], off
	v_add_u32_e32 v10, 2, v10
	v_cmp_le_i32_e64 s[2:3], s17, v10
	v_add_u32_e32 v6, s19, v6
	s_or_b64 s[14:15], s[2:3], s[14:15]
	s_waitcnt vmcnt(0)
	ds_write_b64 v9, v[12:13]
	v_add_u32_e32 v9, s18, v9
	s_andn2_b64 exec, exec, s[14:15]
	s_cbranch_execnz .LBB66_5
	s_branch .LBB66_2
.LBB66_6:
	s_or_b64 exec, exec, s[8:9]
	s_min_i32 s36, s17, s16
	s_cmp_lt_i32 s36, 1
	s_waitcnt lgkmcnt(0)
	s_barrier
	s_cbranch_scc1 .LBB66_43
; %bb.7:
	s_load_dwordx8 s[8:15], s[4:5], 0x28
	v_mbcnt_lo_u32_b32 v1, -1, 0
	v_mbcnt_hi_u32_b32 v5, -1, v1
	v_and_b32_e32 v6, 63, v5
	v_cmp_ne_u32_e32 vcc, 63, v6
	s_waitcnt lgkmcnt(0)
	s_mul_i32 s3, s6, s11
	s_mul_hi_u32 s4, s6, s10
	s_mul_i32 s5, s7, s10
	s_add_i32 s3, s4, s3
	s_mul_i32 s2, s6, s10
	s_add_i32 s3, s3, s5
	s_lshl_b64 s[2:3], s[2:3], 3
	v_addc_co_u32_e32 v1, vcc, 0, v5, vcc
	s_mul_i32 s10, s6, s15
	s_add_u32 s37, s8, s2
	s_mul_hi_u32 s2, s6, s14
	v_cmp_gt_u32_e32 vcc, 62, v6
	s_addc_u32 s38, s9, s3
	s_add_i32 s2, s2, s10
	s_mul_i32 s3, s7, s14
	v_cndmask_b32_e64 v7, 0, 1, vcc
	s_add_i32 s3, s2, s3
	s_mul_i32 s2, s6, s14
	v_lshlrev_b32_e32 v7, 1, v7
	v_cmp_gt_u32_e32 vcc, 60, v6
	s_lshl_b64 s[2:3], s[2:3], 3
	v_add_lshl_u32 v15, v7, v5, 2
	v_cndmask_b32_e64 v7, 0, 1, vcc
	s_add_u32 s39, s12, s2
	s_mul_i32 s2, s17, s16
	v_lshlrev_b32_e32 v7, 2, v7
	v_cmp_gt_u32_e32 vcc, 56, v6
	s_addc_u32 s40, s13, s3
	s_lshl_b32 s2, s2, 3
	v_add_lshl_u32 v16, v7, v5, 2
	v_cndmask_b32_e64 v7, 0, 1, vcc
	s_add_i32 s41, s2, 0
	s_lshl_b32 s2, s17, 3
	v_lshlrev_b32_e32 v7, 3, v7
	v_cmp_gt_u32_e32 vcc, 48, v6
	s_add_i32 s42, s41, s2
	v_add_lshl_u32 v17, v7, v5, 2
	v_cndmask_b32_e64 v7, 0, 1, vcc
	v_cmp_gt_u32_e32 vcc, 32, v6
	v_cndmask_b32_e64 v6, 0, 1, vcc
	s_cmp_eq_u64 s[8:9], 0
	v_lshlrev_b32_e32 v7, 4, v7
	v_lshlrev_b32_e32 v6, 5, v6
	s_cselect_b64 s[12:13], -1, 0
	s_cmp_lg_u64 s[8:9], 0
	v_add_lshl_u32 v18, v7, v5, 2
	v_add_lshl_u32 v19, v6, v5, 2
	v_and_b32_e32 v5, 63, v0
	s_cselect_b64 s[8:9], -1, 0
	s_lshl_b32 s43, s16, 3
	v_mul_lo_u32 v7, s16, v0
	s_mov_b32 s11, 0
	v_cmp_eq_u32_e64 s[2:3], 0, v5
	v_lshrrev_b32_e32 v5, 3, v0
	v_lshlrev_b32_e32 v6, 3, v0
	v_add_u32_e32 v7, s16, v7
	s_add_i32 s6, s43, 0
	s_mov_b32 s14, 0
	v_mov_b32_e32 v4, 0
	v_lshlrev_b32_e32 v1, 2, v1
	v_cmp_eq_u32_e64 s[4:5], 0, v0
	v_add3_u32 v20, v6, 0, 8
	s_add_i32 s44, s43, 8
	v_lshl_add_u32 v21, v7, 3, 0
	s_lshl_b32 s45, s16, 11
	v_add_u32_e32 v22, s6, v6
	v_add_u32_e32 v23, s42, v5
	s_brev_b32 s15, 8
	v_mov_b32_e32 v24, 0x260
	v_mov_b32_e32 v25, 0xffffff80
	s_mov_b32 s46, 0
	s_mov_b32 s10, s11
	s_branch .LBB66_9
.LBB66_8:                               ;   in Loop: Header=BB66_9 Depth=1
	s_or_b64 exec, exec, s[6:7]
	s_add_i32 s10, s10, 1
	s_add_i32 s46, s46, s44
	v_add_u32_e32 v20, s44, v20
	v_add_u32_e32 v21, s44, v21
	s_cmp_eq_u32 s10, s36
	v_add_u32_e32 v22, s44, v22
	s_waitcnt lgkmcnt(0)
	s_barrier
	s_cbranch_scc1 .LBB66_43
.LBB66_9:                               ; =>This Loop Header: Depth=1
                                        ;     Child Loop BB66_11 Depth 2
                                        ;     Child Loop BB66_25 Depth 2
	;; [unrolled: 1-line block ×3, first 2 shown]
                                        ;       Child Loop BB66_32 Depth 3
                                        ;     Child Loop BB66_36 Depth 2
                                        ;       Child Loop BB66_38 Depth 3
	s_sub_i32 s47, s16, s10
	s_add_i32 s49, s47, -1
	v_cmp_gt_i32_e64 s[6:7], s49, v0
	v_pk_mov_b32 v[6:7], 0, 0
	s_and_saveexec_b64 s[18:19], s[6:7]
	s_cbranch_execz .LBB66_13
; %bb.10:                               ;   in Loop: Header=BB66_9 Depth=1
	s_mov_b64 s[20:21], 0
	v_pk_mov_b32 v[6:7], 0, 0
	v_mov_b32_e32 v5, v20
	v_mov_b32_e32 v8, v0
.LBB66_11:                              ;   Parent Loop BB66_9 Depth=1
                                        ; =>  This Inner Loop Header: Depth=2
	ds_read_b64 v[10:11], v5
	v_add_u32_e32 v8, 0x100, v8
	v_cmp_le_i32_e32 vcc, s49, v8
	v_add_u32_e32 v5, 0x800, v5
	s_or_b64 s[20:21], vcc, s[20:21]
	s_waitcnt lgkmcnt(0)
	v_mul_f64 v[10:11], v[10:11], v[10:11]
	v_add_f64 v[6:7], v[6:7], v[10:11]
	s_andn2_b64 exec, exec, s[20:21]
	s_cbranch_execnz .LBB66_11
; %bb.12:                               ;   in Loop: Header=BB66_9 Depth=1
	s_or_b64 exec, exec, s[20:21]
.LBB66_13:                              ;   in Loop: Header=BB66_9 Depth=1
	s_or_b64 exec, exec, s[18:19]
	ds_bpermute_b32 v8, v1, v6
	ds_bpermute_b32 v9, v1, v7
	s_waitcnt lgkmcnt(0)
	v_add_f64 v[6:7], v[6:7], v[8:9]
	ds_bpermute_b32 v8, v15, v6
	ds_bpermute_b32 v9, v15, v7
	s_waitcnt lgkmcnt(0)
	v_add_f64 v[6:7], v[6:7], v[8:9]
	ds_bpermute_b32 v8, v16, v6
	ds_bpermute_b32 v9, v16, v7
	s_waitcnt lgkmcnt(0)
	v_add_f64 v[6:7], v[6:7], v[8:9]
	ds_bpermute_b32 v8, v17, v6
	ds_bpermute_b32 v9, v17, v7
	s_waitcnt lgkmcnt(0)
	v_add_f64 v[6:7], v[6:7], v[8:9]
	ds_bpermute_b32 v8, v18, v6
	ds_bpermute_b32 v9, v18, v7
	s_waitcnt lgkmcnt(0)
	v_add_f64 v[6:7], v[6:7], v[8:9]
	ds_bpermute_b32 v8, v19, v6
	ds_bpermute_b32 v9, v19, v7
	s_waitcnt lgkmcnt(0)
	v_add_f64 v[6:7], v[6:7], v[8:9]
	s_and_saveexec_b64 s[18:19], s[2:3]
	s_cbranch_execz .LBB66_15
; %bb.14:                               ;   in Loop: Header=BB66_9 Depth=1
	ds_write_b64 v23, v[6:7] offset:8
.LBB66_15:                              ;   in Loop: Header=BB66_9 Depth=1
	s_or_b64 exec, exec, s[18:19]
	s_lshl_b32 s18, s10, 3
	s_add_i32 s48, s18, 0
	s_mul_i32 s18, s10, s16
	s_lshl_b32 s18, s18, 3
	s_add_i32 s48, s48, s18
	s_waitcnt lgkmcnt(0)
	s_barrier
	s_and_saveexec_b64 s[18:19], s[4:5]
	s_cbranch_execz .LBB66_23
; %bb.16:                               ;   in Loop: Header=BB66_9 Depth=1
	v_mov_b32_e32 v5, s42
	ds_read2_b64 v[8:11], v5 offset0:2 offset1:3
	ds_read_b64 v[12:13], v5 offset:32
	s_mov_b64 s[26:27], 0
	s_mov_b64 s[24:25], 0
                                        ; implicit-def: $sgpr22_sgpr23
                                        ; implicit-def: $sgpr20_sgpr21
                                        ; implicit-def: $sgpr30_sgpr31
	s_waitcnt lgkmcnt(1)
	v_add_f64 v[6:7], v[6:7], v[8:9]
	v_add_f64 v[6:7], v[6:7], v[10:11]
	s_waitcnt lgkmcnt(0)
	v_add_f64 v[10:11], v[6:7], v[12:13]
	v_cmp_nlt_f64_e32 vcc, 0, v[10:11]
                                        ; implicit-def: $vgpr6_vgpr7
	s_and_saveexec_b64 s[28:29], vcc
	s_xor_b64 s[28:29], exec, s[28:29]
	s_cbranch_execnz .LBB66_39
; %bb.17:                               ;   in Loop: Header=BB66_9 Depth=1
	s_or_saveexec_b64 s[28:29], s[28:29]
	v_pk_mov_b32 v[8:9], s[30:31], s[30:31] op_sel:[0,1]
	s_xor_b64 exec, exec, s[28:29]
	s_cbranch_execnz .LBB66_42
.LBB66_18:                              ;   in Loop: Header=BB66_9 Depth=1
	s_or_b64 exec, exec, s[28:29]
	s_and_saveexec_b64 s[28:29], s[24:25]
	s_cbranch_execz .LBB66_20
.LBB66_19:                              ;   in Loop: Header=BB66_9 Depth=1
	s_lshl_b64 s[24:25], s[10:11], 3
	s_add_u32 s24, s37, s24
	s_addc_u32 s25, s38, s25
	s_waitcnt lgkmcnt(0)
	global_store_dwordx2 v4, v[6:7], s[24:25]
	v_mov_b32_e32 v6, 0
	v_mov_b32_e32 v7, 0x3ff00000
	s_or_b64 s[26:27], s[26:27], exec
.LBB66_20:                              ;   in Loop: Header=BB66_9 Depth=1
	s_or_b64 exec, exec, s[28:29]
	v_pk_mov_b32 v[10:11], s[20:21], s[20:21] op_sel:[0,1]
	v_pk_mov_b32 v[12:13], s[22:23], s[22:23] op_sel:[0,1]
	s_and_saveexec_b64 s[20:21], s[26:27]
	s_cbranch_execz .LBB66_22
; %bb.21:                               ;   in Loop: Header=BB66_9 Depth=1
	v_mov_b32_e32 v5, s48
	s_waitcnt lgkmcnt(0)
	ds_write_b64 v5, v[6:7]
	v_mov_b32_e32 v5, s42
	ds_read_b64 v[10:11], v5
	v_pk_mov_b32 v[12:13], v[8:9], v[8:9] op_sel:[0,1]
.LBB66_22:                              ;   in Loop: Header=BB66_9 Depth=1
	s_or_b64 exec, exec, s[20:21]
	s_lshl_b64 s[20:21], s[10:11], 3
	s_add_u32 s20, s39, s20
	s_addc_u32 s21, s40, s21
	v_mov_b32_e32 v5, s42
	s_waitcnt lgkmcnt(0)
	global_store_dwordx2 v4, v[10:11], s[20:21]
	ds_write_b64 v5, v[12:13] offset:8
.LBB66_23:                              ;   in Loop: Header=BB66_9 Depth=1
	s_or_b64 exec, exec, s[18:19]
	s_waitcnt lgkmcnt(0)
	s_barrier
	s_and_saveexec_b64 s[18:19], s[6:7]
	s_cbranch_execz .LBB66_26
; %bb.24:                               ;   in Loop: Header=BB66_9 Depth=1
	s_mov_b32 s20, 0
	s_mov_b64 s[6:7], 0
	v_mov_b32_e32 v5, v0
.LBB66_25:                              ;   Parent Loop BB66_9 Depth=1
                                        ; =>  This Inner Loop Header: Depth=2
	v_mov_b32_e32 v6, s42
	v_add_u32_e32 v10, s20, v20
	ds_read_b64 v[6:7], v6 offset:8
	ds_read_b64 v[8:9], v10
	v_add_u32_e32 v5, 0x100, v5
	s_addk_i32 s20, 0x800
	v_cmp_le_i32_e32 vcc, s49, v5
	s_or_b64 s[6:7], vcc, s[6:7]
	s_waitcnt lgkmcnt(0)
	v_mul_f64 v[6:7], v[6:7], v[8:9]
	ds_write_b64 v10, v[6:7]
	s_andn2_b64 exec, exec, s[6:7]
	s_cbranch_execnz .LBB66_25
.LBB66_26:                              ;   in Loop: Header=BB66_9 Depth=1
	s_or_b64 exec, exec, s[18:19]
	s_not_b32 s22, s10
	s_add_i32 s22, s22, s17
	v_cmp_gt_i32_e32 vcc, s22, v0
	s_waitcnt lgkmcnt(0)
	s_barrier
	s_and_saveexec_b64 s[6:7], vcc
	s_cbranch_execz .LBB66_33
; %bb.27:                               ;   in Loop: Header=BB66_9 Depth=1
	s_cmp_gt_i32 s47, 0
	s_mov_b64 s[18:19], 0
	s_cselect_b64 s[20:21], -1, 0
	v_mov_b32_e32 v5, v21
	v_mov_b32_e32 v8, v0
	s_branch .LBB66_30
.LBB66_28:                              ;   in Loop: Header=BB66_30 Depth=2
	v_pk_mov_b32 v[6:7], 0, 0
.LBB66_29:                              ;   in Loop: Header=BB66_30 Depth=2
	v_mov_b32_e32 v9, s42
	ds_read_b64 v[10:11], v9
	v_lshl_add_u32 v9, v8, 3, s41
	v_add_u32_e32 v8, 0x100, v8
	v_cmp_le_i32_e32 vcc, s22, v8
	s_or_b64 s[18:19], vcc, s[18:19]
	s_waitcnt lgkmcnt(0)
	v_mul_f64 v[6:7], v[6:7], v[10:11]
	v_add_u32_e32 v5, s45, v5
	ds_write_b64 v9, v[6:7]
	s_andn2_b64 exec, exec, s[18:19]
	s_cbranch_execz .LBB66_33
.LBB66_30:                              ;   Parent Loop BB66_9 Depth=1
                                        ; =>  This Loop Header: Depth=2
                                        ;       Child Loop BB66_32 Depth 3
	s_andn2_b64 vcc, exec, s[20:21]
	s_cbranch_vccnz .LBB66_28
; %bb.31:                               ;   in Loop: Header=BB66_30 Depth=2
	s_mov_b32 s23, 0
	v_pk_mov_b32 v[6:7], 0, 0
	s_mov_b32 s24, s46
	v_mov_b32_e32 v9, v5
.LBB66_32:                              ;   Parent Loop BB66_9 Depth=1
                                        ;     Parent Loop BB66_30 Depth=2
                                        ; =>    This Inner Loop Header: Depth=3
	v_mov_b32_e32 v12, s24
	ds_read_b64 v[10:11], v9
	ds_read_b64 v[12:13], v12
	s_add_i32 s23, s23, 1
	s_add_i32 s24, s24, 8
	v_add_u32_e32 v9, 8, v9
	s_cmp_ge_i32 s23, s47
	s_waitcnt lgkmcnt(0)
	v_fmac_f64_e32 v[6:7], v[10:11], v[12:13]
	s_cbranch_scc0 .LBB66_32
	s_branch .LBB66_29
.LBB66_33:                              ;   in Loop: Header=BB66_9 Depth=1
	s_or_b64 exec, exec, s[6:7]
	v_cmp_gt_i32_e32 vcc, s47, v0
	s_waitcnt lgkmcnt(0)
	s_barrier
	s_and_saveexec_b64 s[6:7], vcc
	s_cbranch_execz .LBB66_8
; %bb.34:                               ;   in Loop: Header=BB66_9 Depth=1
	s_cmp_gt_i32 s22, 0
	s_mov_b64 s[18:19], 0
	s_cselect_b64 s[20:21], -1, 0
	v_mov_b32_e32 v5, v22
	v_mov_b32_e32 v6, v0
	s_branch .LBB66_36
.LBB66_35:                              ;   in Loop: Header=BB66_36 Depth=2
	v_add_u32_e32 v6, 0x100, v6
	v_cmp_le_i32_e32 vcc, s47, v6
	s_or_b64 s[18:19], vcc, s[18:19]
	v_add_u32_e32 v5, 0x800, v5
	s_andn2_b64 exec, exec, s[18:19]
	s_cbranch_execz .LBB66_8
.LBB66_36:                              ;   Parent Loop BB66_9 Depth=1
                                        ; =>  This Loop Header: Depth=2
                                        ;       Child Loop BB66_38 Depth 3
	s_andn2_b64 vcc, exec, s[20:21]
	s_cbranch_vccnz .LBB66_35
; %bb.37:                               ;   in Loop: Header=BB66_36 Depth=2
	v_lshl_add_u32 v7, v6, 3, s48
	s_mov_b32 s23, 0
	s_mov_b32 s24, s41
	v_mov_b32_e32 v8, v5
.LBB66_38:                              ;   Parent Loop BB66_9 Depth=1
                                        ;     Parent Loop BB66_36 Depth=2
                                        ; =>    This Inner Loop Header: Depth=3
	v_mov_b32_e32 v9, s24
	ds_read_b64 v[10:11], v8
	ds_read_b64 v[12:13], v7
	;; [unrolled: 1-line block ×3, first 2 shown]
	s_add_i32 s23, s23, 1
	s_add_i32 s24, s24, 8
	s_cmp_ge_i32 s23, s22
	s_waitcnt lgkmcnt(0)
	v_fma_f64 v[10:11], -v[12:13], v[26:27], v[10:11]
	ds_write_b64 v8, v[10:11]
	v_add_u32_e32 v8, s43, v8
	s_cbranch_scc0 .LBB66_38
	s_branch .LBB66_35
.LBB66_39:                              ;   in Loop: Header=BB66_9 Depth=1
	v_mov_b32_e32 v5, v4
	v_mov_b32_e32 v6, s42
	s_mov_b64 s[20:21], 0
	s_and_b64 vcc, exec, s[8:9]
	ds_write_b64 v6, v[4:5]
                                        ; implicit-def: $vgpr6_vgpr7
                                        ; implicit-def: $sgpr30_sgpr31
	s_cbranch_vccz .LBB66_41
; %bb.40:                               ;   in Loop: Header=BB66_9 Depth=1
	v_mov_b32_e32 v5, s48
	ds_read_b64 v[6:7], v5
	s_mov_b64 s[24:25], -1
	s_mov_b64 s[30:31], 1.0
.LBB66_41:                              ;   in Loop: Header=BB66_9 Depth=1
	s_mov_b64 s[22:23], 1.0
	s_and_b64 s[24:25], s[24:25], exec
                                        ; implicit-def: $vgpr10_vgpr11
	s_or_saveexec_b64 s[28:29], s[28:29]
	v_pk_mov_b32 v[8:9], s[30:31], s[30:31] op_sel:[0,1]
	s_xor_b64 exec, exec, s[28:29]
	s_cbranch_execz .LBB66_18
.LBB66_42:                              ;   in Loop: Header=BB66_9 Depth=1
	v_mov_b32_e32 v5, s48
	ds_read_b64 v[8:9], v5
	s_andn2_b64 s[24:25], s[24:25], exec
	s_and_b64 s[30:31], s[8:9], exec
	s_or_b64 s[24:25], s[24:25], s[30:31]
	s_waitcnt lgkmcnt(0)
	v_fmac_f64_e32 v[10:11], v[8:9], v[8:9]
	v_cmp_gt_f64_e32 vcc, s[14:15], v[10:11]
	v_cndmask_b32_e64 v5, 0, 1, vcc
	v_lshlrev_b32_e32 v5, 8, v5
	v_ldexp_f64 v[6:7], v[10:11], v5
	v_rsq_f64_e32 v[10:11], v[6:7]
	v_cndmask_b32_e32 v5, 0, v25, vcc
	v_cmp_class_f64_e32 vcc, v[6:7], v24
	v_mul_f64 v[12:13], v[6:7], v[10:11]
	v_mul_f64 v[10:11], v[10:11], 0.5
	v_fma_f64 v[26:27], -v[10:11], v[12:13], 0.5
	v_fmac_f64_e32 v[12:13], v[12:13], v[26:27]
	v_fmac_f64_e32 v[10:11], v[10:11], v[26:27]
	v_fma_f64 v[26:27], -v[12:13], v[12:13], v[6:7]
	v_fmac_f64_e32 v[12:13], v[26:27], v[10:11]
	v_fma_f64 v[26:27], -v[12:13], v[12:13], v[6:7]
	v_fmac_f64_e32 v[12:13], v[26:27], v[10:11]
	v_ldexp_f64 v[10:11], v[12:13], v5
	v_cndmask_b32_e32 v5, v11, v7, vcc
	v_cndmask_b32_e32 v6, v10, v6, vcc
	v_xor_b32_e32 v7, 0x80000000, v5
	v_cmp_le_f64_e32 vcc, 0, v[8:9]
	v_cndmask_b32_e32 v7, v5, v7, vcc
	v_add_f64 v[10:11], v[8:9], -v[6:7]
	v_div_scale_f64 v[12:13], s[26:27], v[10:11], v[10:11], 1.0
	v_rcp_f64_e32 v[26:27], v[12:13]
	v_div_scale_f64 v[28:29], vcc, 1.0, v[10:11], 1.0
	v_mov_b32_e32 v5, s42
	v_fma_f64 v[30:31], -v[12:13], v[26:27], 1.0
	v_fmac_f64_e32 v[26:27], v[26:27], v[30:31]
	v_fma_f64 v[30:31], -v[12:13], v[26:27], 1.0
	v_fmac_f64_e32 v[26:27], v[26:27], v[30:31]
	v_mul_f64 v[30:31], v[28:29], v[26:27]
	v_fma_f64 v[12:13], -v[12:13], v[30:31], v[28:29]
	v_add_f64 v[28:29], v[6:7], -v[8:9]
	v_div_scale_f64 v[32:33], s[26:27], v[6:7], v[6:7], v[28:29]
	v_rcp_f64_e32 v[34:35], v[32:33]
	v_div_fmas_f64 v[8:9], v[12:13], v[26:27], v[30:31]
	v_div_fixup_f64 v[8:9], v[8:9], v[10:11], 1.0
	s_and_b64 s[26:27], s[12:13], exec
	v_fma_f64 v[10:11], -v[32:33], v[34:35], 1.0
	v_fmac_f64_e32 v[34:35], v[34:35], v[10:11]
	v_fma_f64 v[10:11], -v[32:33], v[34:35], 1.0
	v_fmac_f64_e32 v[34:35], v[34:35], v[10:11]
	v_div_scale_f64 v[10:11], vcc, v[28:29], v[6:7], v[28:29]
	v_mul_f64 v[12:13], v[10:11], v[34:35]
	v_fma_f64 v[10:11], -v[32:33], v[12:13], v[10:11]
	s_nop 1
	v_div_fmas_f64 v[10:11], v[10:11], v[34:35], v[12:13]
	v_div_fixup_f64 v[10:11], v[10:11], v[6:7], v[28:29]
	ds_write_b64 v5, v[10:11]
	s_or_b64 exec, exec, s[28:29]
	s_and_saveexec_b64 s[28:29], s[24:25]
	s_cbranch_execnz .LBB66_19
	s_branch .LBB66_20
.LBB66_43:
	s_and_saveexec_b64 s[2:3], s[0:1]
	s_cbranch_execz .LBB66_49
; %bb.44:
	v_mad_u64_u32 v[0:1], s[0:1], s35, v3, v[2:3]
	v_mul_lo_u32 v1, s16, v3
	v_lshlrev_b32_e32 v1, 3, v1
	v_cmp_gt_i32_e32 vcc, s17, v3
	s_lshl_b32 s10, s35, 1
	v_add3_u32 v1, v1, v14, 0
	s_lshl_b32 s11, s16, 4
	s_mov_b64 s[4:5], 0
	s_branch .LBB66_46
.LBB66_45:                              ;   in Loop: Header=BB66_46 Depth=1
	s_or_b64 exec, exec, s[6:7]
	v_add_u32_e32 v2, 0x80, v2
	v_cmp_le_i32_e64 s[0:1], s16, v2
	v_add_u32_e32 v0, 0x80, v0
	s_or_b64 s[4:5], s[0:1], s[4:5]
	v_add_u32_e32 v1, 0x400, v1
	s_andn2_b64 exec, exec, s[4:5]
	s_cbranch_execz .LBB66_49
.LBB66_46:                              ; =>This Loop Header: Depth=1
                                        ;     Child Loop BB66_48 Depth 2
	s_and_saveexec_b64 s[6:7], vcc
	s_cbranch_execz .LBB66_45
; %bb.47:                               ;   in Loop: Header=BB66_46 Depth=1
	s_mov_b64 s[8:9], 0
	v_mov_b32_e32 v6, v1
	v_mov_b32_e32 v4, v0
	;; [unrolled: 1-line block ×3, first 2 shown]
.LBB66_48:                              ;   Parent Loop BB66_46 Depth=1
                                        ; =>  This Inner Loop Header: Depth=2
	ds_read_b64 v[8:9], v6
	v_ashrrev_i32_e32 v5, 31, v4
	v_add_u32_e32 v7, 2, v7
	v_lshlrev_b64 v[10:11], 3, v[4:5]
	v_mov_b32_e32 v12, s34
	v_cmp_le_i32_e64 s[0:1], s17, v7
	v_add_co_u32_e64 v10, s[2:3], s33, v10
	v_add_u32_e32 v6, s11, v6
	v_add_u32_e32 v4, s10, v4
	v_addc_co_u32_e64 v11, s[2:3], v12, v11, s[2:3]
	s_or_b64 s[8:9], s[0:1], s[8:9]
	s_waitcnt lgkmcnt(0)
	global_store_dwordx2 v[10:11], v[8:9], off
	s_andn2_b64 exec, exec, s[8:9]
	s_cbranch_execnz .LBB66_48
	s_branch .LBB66_45
.LBB66_49:
	s_endpgm
	.section	.rodata,"a",@progbits
	.p2align	6, 0x0
	.amdhsa_kernel _ZN9rocsolver6v33100L18geqr2_kernel_smallILi256EdidPKPdEEvT1_S5_T3_lS5_lPT2_lPT0_l
		.amdhsa_group_segment_fixed_size 0
		.amdhsa_private_segment_fixed_size 0
		.amdhsa_kernarg_size 72
		.amdhsa_user_sgpr_count 6
		.amdhsa_user_sgpr_private_segment_buffer 1
		.amdhsa_user_sgpr_dispatch_ptr 0
		.amdhsa_user_sgpr_queue_ptr 0
		.amdhsa_user_sgpr_kernarg_segment_ptr 1
		.amdhsa_user_sgpr_dispatch_id 0
		.amdhsa_user_sgpr_flat_scratch_init 0
		.amdhsa_user_sgpr_kernarg_preload_length 0
		.amdhsa_user_sgpr_kernarg_preload_offset 0
		.amdhsa_user_sgpr_private_segment_size 0
		.amdhsa_uses_dynamic_stack 0
		.amdhsa_system_sgpr_private_segment_wavefront_offset 0
		.amdhsa_system_sgpr_workgroup_id_x 1
		.amdhsa_system_sgpr_workgroup_id_y 0
		.amdhsa_system_sgpr_workgroup_id_z 1
		.amdhsa_system_sgpr_workgroup_info 0
		.amdhsa_system_vgpr_workitem_id 0
		.amdhsa_next_free_vgpr 36
		.amdhsa_next_free_sgpr 50
		.amdhsa_accum_offset 36
		.amdhsa_reserve_vcc 1
		.amdhsa_reserve_flat_scratch 0
		.amdhsa_float_round_mode_32 0
		.amdhsa_float_round_mode_16_64 0
		.amdhsa_float_denorm_mode_32 3
		.amdhsa_float_denorm_mode_16_64 3
		.amdhsa_dx10_clamp 1
		.amdhsa_ieee_mode 1
		.amdhsa_fp16_overflow 0
		.amdhsa_tg_split 0
		.amdhsa_exception_fp_ieee_invalid_op 0
		.amdhsa_exception_fp_denorm_src 0
		.amdhsa_exception_fp_ieee_div_zero 0
		.amdhsa_exception_fp_ieee_overflow 0
		.amdhsa_exception_fp_ieee_underflow 0
		.amdhsa_exception_fp_ieee_inexact 0
		.amdhsa_exception_int_div_zero 0
	.end_amdhsa_kernel
	.section	.text._ZN9rocsolver6v33100L18geqr2_kernel_smallILi256EdidPKPdEEvT1_S5_T3_lS5_lPT2_lPT0_l,"axG",@progbits,_ZN9rocsolver6v33100L18geqr2_kernel_smallILi256EdidPKPdEEvT1_S5_T3_lS5_lPT2_lPT0_l,comdat
.Lfunc_end66:
	.size	_ZN9rocsolver6v33100L18geqr2_kernel_smallILi256EdidPKPdEEvT1_S5_T3_lS5_lPT2_lPT0_l, .Lfunc_end66-_ZN9rocsolver6v33100L18geqr2_kernel_smallILi256EdidPKPdEEvT1_S5_T3_lS5_lPT2_lPT0_l
                                        ; -- End function
	.section	.AMDGPU.csdata,"",@progbits
; Kernel info:
; codeLenInByte = 2528
; NumSgprs: 54
; NumVgprs: 36
; NumAgprs: 0
; TotalNumVgprs: 36
; ScratchSize: 0
; MemoryBound: 0
; FloatMode: 240
; IeeeMode: 1
; LDSByteSize: 0 bytes/workgroup (compile time only)
; SGPRBlocks: 6
; VGPRBlocks: 4
; NumSGPRsForWavesPerEU: 54
; NumVGPRsForWavesPerEU: 36
; AccumOffset: 36
; Occupancy: 8
; WaveLimiterHint : 1
; COMPUTE_PGM_RSRC2:SCRATCH_EN: 0
; COMPUTE_PGM_RSRC2:USER_SGPR: 6
; COMPUTE_PGM_RSRC2:TRAP_HANDLER: 0
; COMPUTE_PGM_RSRC2:TGID_X_EN: 1
; COMPUTE_PGM_RSRC2:TGID_Y_EN: 0
; COMPUTE_PGM_RSRC2:TGID_Z_EN: 1
; COMPUTE_PGM_RSRC2:TIDIG_COMP_CNT: 0
; COMPUTE_PGM_RSRC3_GFX90A:ACCUM_OFFSET: 8
; COMPUTE_PGM_RSRC3_GFX90A:TG_SPLIT: 0
	.section	.text._ZN9rocsolver6v33100L16reset_batch_infoIdiiPdEEvT2_lT0_T1_,"axG",@progbits,_ZN9rocsolver6v33100L16reset_batch_infoIdiiPdEEvT2_lT0_T1_,comdat
	.globl	_ZN9rocsolver6v33100L16reset_batch_infoIdiiPdEEvT2_lT0_T1_ ; -- Begin function _ZN9rocsolver6v33100L16reset_batch_infoIdiiPdEEvT2_lT0_T1_
	.p2align	8
	.type	_ZN9rocsolver6v33100L16reset_batch_infoIdiiPdEEvT2_lT0_T1_,@function
_ZN9rocsolver6v33100L16reset_batch_infoIdiiPdEEvT2_lT0_T1_: ; @_ZN9rocsolver6v33100L16reset_batch_infoIdiiPdEEvT2_lT0_T1_
; %bb.0:
	s_load_dword s2, s[4:5], 0x24
	s_load_dwordx2 s[0:1], s[4:5], 0x10
	s_waitcnt lgkmcnt(0)
	s_and_b32 s2, s2, 0xffff
	s_mul_i32 s6, s6, s2
	v_add_u32_e32 v0, s6, v0
	v_cmp_gt_i32_e32 vcc, s0, v0
	s_and_saveexec_b64 s[2:3], vcc
	s_cbranch_execz .LBB67_2
; %bb.1:
	s_load_dwordx4 s[8:11], s[4:5], 0x0
	s_ashr_i32 s0, s7, 31
	v_ashrrev_i32_e32 v1, 31, v0
	v_lshlrev_b64 v[0:1], 3, v[0:1]
	s_waitcnt lgkmcnt(0)
	s_mul_i32 s3, s7, s11
	s_mul_hi_u32 s4, s7, s10
	s_mul_i32 s0, s0, s10
	s_add_i32 s3, s4, s3
	s_mul_i32 s2, s7, s10
	s_add_i32 s3, s3, s0
	s_lshl_b64 s[2:3], s[2:3], 3
	s_add_u32 s0, s8, s2
	s_addc_u32 s2, s9, s3
	v_mov_b32_e32 v2, s2
	v_add_co_u32_e32 v0, vcc, s0, v0
	v_addc_co_u32_e32 v1, vcc, v2, v1, vcc
	v_cvt_f64_i32_e32 v[2:3], s1
	global_store_dwordx2 v[0:1], v[2:3], off
.LBB67_2:
	s_endpgm
	.section	.rodata,"a",@progbits
	.p2align	6, 0x0
	.amdhsa_kernel _ZN9rocsolver6v33100L16reset_batch_infoIdiiPdEEvT2_lT0_T1_
		.amdhsa_group_segment_fixed_size 0
		.amdhsa_private_segment_fixed_size 0
		.amdhsa_kernarg_size 280
		.amdhsa_user_sgpr_count 6
		.amdhsa_user_sgpr_private_segment_buffer 1
		.amdhsa_user_sgpr_dispatch_ptr 0
		.amdhsa_user_sgpr_queue_ptr 0
		.amdhsa_user_sgpr_kernarg_segment_ptr 1
		.amdhsa_user_sgpr_dispatch_id 0
		.amdhsa_user_sgpr_flat_scratch_init 0
		.amdhsa_user_sgpr_kernarg_preload_length 0
		.amdhsa_user_sgpr_kernarg_preload_offset 0
		.amdhsa_user_sgpr_private_segment_size 0
		.amdhsa_uses_dynamic_stack 0
		.amdhsa_system_sgpr_private_segment_wavefront_offset 0
		.amdhsa_system_sgpr_workgroup_id_x 1
		.amdhsa_system_sgpr_workgroup_id_y 1
		.amdhsa_system_sgpr_workgroup_id_z 0
		.amdhsa_system_sgpr_workgroup_info 0
		.amdhsa_system_vgpr_workitem_id 0
		.amdhsa_next_free_vgpr 4
		.amdhsa_next_free_sgpr 12
		.amdhsa_accum_offset 4
		.amdhsa_reserve_vcc 1
		.amdhsa_reserve_flat_scratch 0
		.amdhsa_float_round_mode_32 0
		.amdhsa_float_round_mode_16_64 0
		.amdhsa_float_denorm_mode_32 3
		.amdhsa_float_denorm_mode_16_64 3
		.amdhsa_dx10_clamp 1
		.amdhsa_ieee_mode 1
		.amdhsa_fp16_overflow 0
		.amdhsa_tg_split 0
		.amdhsa_exception_fp_ieee_invalid_op 0
		.amdhsa_exception_fp_denorm_src 0
		.amdhsa_exception_fp_ieee_div_zero 0
		.amdhsa_exception_fp_ieee_overflow 0
		.amdhsa_exception_fp_ieee_underflow 0
		.amdhsa_exception_fp_ieee_inexact 0
		.amdhsa_exception_int_div_zero 0
	.end_amdhsa_kernel
	.section	.text._ZN9rocsolver6v33100L16reset_batch_infoIdiiPdEEvT2_lT0_T1_,"axG",@progbits,_ZN9rocsolver6v33100L16reset_batch_infoIdiiPdEEvT2_lT0_T1_,comdat
.Lfunc_end67:
	.size	_ZN9rocsolver6v33100L16reset_batch_infoIdiiPdEEvT2_lT0_T1_, .Lfunc_end67-_ZN9rocsolver6v33100L16reset_batch_infoIdiiPdEEvT2_lT0_T1_
                                        ; -- End function
	.section	.AMDGPU.csdata,"",@progbits
; Kernel info:
; codeLenInByte = 140
; NumSgprs: 16
; NumVgprs: 4
; NumAgprs: 0
; TotalNumVgprs: 4
; ScratchSize: 0
; MemoryBound: 0
; FloatMode: 240
; IeeeMode: 1
; LDSByteSize: 0 bytes/workgroup (compile time only)
; SGPRBlocks: 1
; VGPRBlocks: 0
; NumSGPRsForWavesPerEU: 16
; NumVGPRsForWavesPerEU: 4
; AccumOffset: 4
; Occupancy: 8
; WaveLimiterHint : 0
; COMPUTE_PGM_RSRC2:SCRATCH_EN: 0
; COMPUTE_PGM_RSRC2:USER_SGPR: 6
; COMPUTE_PGM_RSRC2:TRAP_HANDLER: 0
; COMPUTE_PGM_RSRC2:TGID_X_EN: 1
; COMPUTE_PGM_RSRC2:TGID_Y_EN: 1
; COMPUTE_PGM_RSRC2:TGID_Z_EN: 0
; COMPUTE_PGM_RSRC2:TIDIG_COMP_CNT: 0
; COMPUTE_PGM_RSRC3_GFX90A:ACCUM_OFFSET: 0
; COMPUTE_PGM_RSRC3_GFX90A:TG_SPLIT: 0
	.section	.text._ZN9rocsolver6v33100L8set_diagIdidPKPdTnNSt9enable_ifIXoont18rocblas_is_complexIT_E18rocblas_is_complexIT1_EEiE4typeELi0EEEvPS7_llT2_lT0_lSC_b,"axG",@progbits,_ZN9rocsolver6v33100L8set_diagIdidPKPdTnNSt9enable_ifIXoont18rocblas_is_complexIT_E18rocblas_is_complexIT1_EEiE4typeELi0EEEvPS7_llT2_lT0_lSC_b,comdat
	.globl	_ZN9rocsolver6v33100L8set_diagIdidPKPdTnNSt9enable_ifIXoont18rocblas_is_complexIT_E18rocblas_is_complexIT1_EEiE4typeELi0EEEvPS7_llT2_lT0_lSC_b ; -- Begin function _ZN9rocsolver6v33100L8set_diagIdidPKPdTnNSt9enable_ifIXoont18rocblas_is_complexIT_E18rocblas_is_complexIT1_EEiE4typeELi0EEEvPS7_llT2_lT0_lSC_b
	.p2align	8
	.type	_ZN9rocsolver6v33100L8set_diagIdidPKPdTnNSt9enable_ifIXoont18rocblas_is_complexIT_E18rocblas_is_complexIT1_EEiE4typeELi0EEEvPS7_llT2_lT0_lSC_b,@function
_ZN9rocsolver6v33100L8set_diagIdidPKPdTnNSt9enable_ifIXoont18rocblas_is_complexIT_E18rocblas_is_complexIT1_EEiE4typeELi0EEEvPS7_llT2_lT0_lSC_b: ; @_ZN9rocsolver6v33100L8set_diagIdidPKPdTnNSt9enable_ifIXoont18rocblas_is_complexIT_E18rocblas_is_complexIT1_EEiE4typeELi0EEEvPS7_llT2_lT0_lSC_b
; %bb.0:
	s_load_dword s2, s[4:5], 0x4c
	s_load_dwordx2 s[0:1], s[4:5], 0x38
	v_bfe_u32 v0, v0, 10, 10
	s_waitcnt lgkmcnt(0)
	s_lshr_b32 s2, s2, 16
	s_mul_i32 s7, s7, s2
	v_add_u32_e32 v0, s7, v0
	v_cmp_gt_i32_e32 vcc, s0, v0
	s_and_saveexec_b64 s[2:3], vcc
	s_cbranch_execz .LBB68_2
; %bb.1:
	s_load_dwordx8 s[8:15], s[4:5], 0x0
	s_bitcmp1_b32 s1, 0
	s_cselect_b64 vcc, -1, 0
	s_ashr_i32 s7, s6, 31
	s_lshl_b64 s[0:1], s[6:7], 3
	s_waitcnt lgkmcnt(0)
	s_add_u32 s0, s14, s0
	s_addc_u32 s1, s15, s1
	s_load_dwordx2 s[2:3], s[4:5], 0x20
	s_load_dwordx2 s[14:15], s[0:1], 0x0
	s_load_dword s16, s[4:5], 0x28
	v_mov_b32_e32 v6, 0x3ff00000
	s_waitcnt lgkmcnt(0)
	s_lshl_b64 s[0:1], s[2:3], 3
	s_add_u32 s2, s14, s0
	s_addc_u32 s3, s15, s1
	v_mad_u64_u32 v[2:3], s[0:1], v0, s16, v[0:1]
	v_ashrrev_i32_e32 v3, 31, v2
	v_lshlrev_b64 v[2:3], 3, v[2:3]
	v_mov_b32_e32 v1, s3
	v_add_co_u32_e64 v2, s[0:1], s2, v2
	v_addc_co_u32_e64 v3, s[0:1], v1, v3, s[0:1]
	global_load_dwordx2 v[4:5], v[2:3], off
	s_mul_i32 s1, s6, s13
	s_mul_hi_u32 s2, s6, s12
	s_mul_i32 s3, s7, s12
	s_add_i32 s1, s2, s1
	s_mul_i32 s0, s6, s12
	s_add_i32 s1, s1, s3
	s_lshl_b64 s[0:1], s[0:1], 3
	s_add_u32 s2, s8, s0
	s_addc_u32 s3, s9, s1
	s_lshl_b64 s[0:1], s[10:11], 3
	v_ashrrev_i32_e32 v1, 31, v0
	s_add_u32 s0, s2, s0
	v_lshlrev_b64 v[0:1], 3, v[0:1]
	s_addc_u32 s1, s3, s1
	v_mov_b32_e32 v7, s1
	v_add_co_u32_e64 v0, s[0:1], s0, v0
	v_addc_co_u32_e64 v1, s[0:1], v7, v1, s[0:1]
	s_waitcnt vmcnt(0)
	global_store_dwordx2 v[0:1], v[4:5], off
	v_cndmask_b32_e32 v1, v5, v6, vcc
	v_cndmask_b32_e64 v0, v4, 0, vcc
	global_store_dwordx2 v[2:3], v[0:1], off
.LBB68_2:
	s_endpgm
	.section	.rodata,"a",@progbits
	.p2align	6, 0x0
	.amdhsa_kernel _ZN9rocsolver6v33100L8set_diagIdidPKPdTnNSt9enable_ifIXoont18rocblas_is_complexIT_E18rocblas_is_complexIT1_EEiE4typeELi0EEEvPS7_llT2_lT0_lSC_b
		.amdhsa_group_segment_fixed_size 0
		.amdhsa_private_segment_fixed_size 0
		.amdhsa_kernarg_size 320
		.amdhsa_user_sgpr_count 6
		.amdhsa_user_sgpr_private_segment_buffer 1
		.amdhsa_user_sgpr_dispatch_ptr 0
		.amdhsa_user_sgpr_queue_ptr 0
		.amdhsa_user_sgpr_kernarg_segment_ptr 1
		.amdhsa_user_sgpr_dispatch_id 0
		.amdhsa_user_sgpr_flat_scratch_init 0
		.amdhsa_user_sgpr_kernarg_preload_length 0
		.amdhsa_user_sgpr_kernarg_preload_offset 0
		.amdhsa_user_sgpr_private_segment_size 0
		.amdhsa_uses_dynamic_stack 0
		.amdhsa_system_sgpr_private_segment_wavefront_offset 0
		.amdhsa_system_sgpr_workgroup_id_x 1
		.amdhsa_system_sgpr_workgroup_id_y 1
		.amdhsa_system_sgpr_workgroup_id_z 0
		.amdhsa_system_sgpr_workgroup_info 0
		.amdhsa_system_vgpr_workitem_id 1
		.amdhsa_next_free_vgpr 8
		.amdhsa_next_free_sgpr 17
		.amdhsa_accum_offset 8
		.amdhsa_reserve_vcc 1
		.amdhsa_reserve_flat_scratch 0
		.amdhsa_float_round_mode_32 0
		.amdhsa_float_round_mode_16_64 0
		.amdhsa_float_denorm_mode_32 3
		.amdhsa_float_denorm_mode_16_64 3
		.amdhsa_dx10_clamp 1
		.amdhsa_ieee_mode 1
		.amdhsa_fp16_overflow 0
		.amdhsa_tg_split 0
		.amdhsa_exception_fp_ieee_invalid_op 0
		.amdhsa_exception_fp_denorm_src 0
		.amdhsa_exception_fp_ieee_div_zero 0
		.amdhsa_exception_fp_ieee_overflow 0
		.amdhsa_exception_fp_ieee_underflow 0
		.amdhsa_exception_fp_ieee_inexact 0
		.amdhsa_exception_int_div_zero 0
	.end_amdhsa_kernel
	.section	.text._ZN9rocsolver6v33100L8set_diagIdidPKPdTnNSt9enable_ifIXoont18rocblas_is_complexIT_E18rocblas_is_complexIT1_EEiE4typeELi0EEEvPS7_llT2_lT0_lSC_b,"axG",@progbits,_ZN9rocsolver6v33100L8set_diagIdidPKPdTnNSt9enable_ifIXoont18rocblas_is_complexIT_E18rocblas_is_complexIT1_EEiE4typeELi0EEEvPS7_llT2_lT0_lSC_b,comdat
.Lfunc_end68:
	.size	_ZN9rocsolver6v33100L8set_diagIdidPKPdTnNSt9enable_ifIXoont18rocblas_is_complexIT_E18rocblas_is_complexIT1_EEiE4typeELi0EEEvPS7_llT2_lT0_lSC_b, .Lfunc_end68-_ZN9rocsolver6v33100L8set_diagIdidPKPdTnNSt9enable_ifIXoont18rocblas_is_complexIT_E18rocblas_is_complexIT1_EEiE4typeELi0EEEvPS7_llT2_lT0_lSC_b
                                        ; -- End function
	.section	.AMDGPU.csdata,"",@progbits
; Kernel info:
; codeLenInByte = 300
; NumSgprs: 21
; NumVgprs: 8
; NumAgprs: 0
; TotalNumVgprs: 8
; ScratchSize: 0
; MemoryBound: 0
; FloatMode: 240
; IeeeMode: 1
; LDSByteSize: 0 bytes/workgroup (compile time only)
; SGPRBlocks: 2
; VGPRBlocks: 0
; NumSGPRsForWavesPerEU: 21
; NumVGPRsForWavesPerEU: 8
; AccumOffset: 8
; Occupancy: 8
; WaveLimiterHint : 1
; COMPUTE_PGM_RSRC2:SCRATCH_EN: 0
; COMPUTE_PGM_RSRC2:USER_SGPR: 6
; COMPUTE_PGM_RSRC2:TRAP_HANDLER: 0
; COMPUTE_PGM_RSRC2:TGID_X_EN: 1
; COMPUTE_PGM_RSRC2:TGID_Y_EN: 1
; COMPUTE_PGM_RSRC2:TGID_Z_EN: 0
; COMPUTE_PGM_RSRC2:TIDIG_COMP_CNT: 1
; COMPUTE_PGM_RSRC3_GFX90A:ACCUM_OFFSET: 1
; COMPUTE_PGM_RSRC3_GFX90A:TG_SPLIT: 0
	.section	.text._ZN9rocsolver6v33100L11set_taubetaIdidPKPdEEvPT_lS6_T2_llPT1_ll,"axG",@progbits,_ZN9rocsolver6v33100L11set_taubetaIdidPKPdEEvPT_lS6_T2_llPT1_ll,comdat
	.globl	_ZN9rocsolver6v33100L11set_taubetaIdidPKPdEEvPT_lS6_T2_llPT1_ll ; -- Begin function _ZN9rocsolver6v33100L11set_taubetaIdidPKPdEEvPT_lS6_T2_llPT1_ll
	.p2align	8
	.type	_ZN9rocsolver6v33100L11set_taubetaIdidPKPdEEvPT_lS6_T2_llPT1_ll,@function
_ZN9rocsolver6v33100L11set_taubetaIdidPKPdEEvPT_lS6_T2_llPT1_ll: ; @_ZN9rocsolver6v33100L11set_taubetaIdidPKPdEEvPT_lS6_T2_llPT1_ll
; %bb.0:
	s_load_dwordx8 s[8:15], s[4:5], 0x0
	s_load_dwordx2 s[20:21], s[4:5], 0x20
	s_load_dwordx4 s[0:3], s[4:5], 0x30
	s_ashr_i32 s7, s6, 31
	s_lshl_b64 s[18:19], s[6:7], 3
	s_waitcnt lgkmcnt(0)
	s_add_u32 s14, s14, s18
	s_addc_u32 s15, s15, s19
	s_load_dwordx2 s[22:23], s[14:15], 0x0
	s_mov_b64 s[16:17], 0
	s_cmp_eq_u64 s[0:1], 0
	s_mov_b64 s[14:15], 0
	s_cbranch_scc1 .LBB69_2
; %bb.1:
	s_load_dwordx2 s[4:5], s[4:5], 0x40
	s_waitcnt lgkmcnt(0)
	s_mul_i32 s5, s6, s5
	s_mul_hi_u32 s14, s6, s4
	s_mul_i32 s15, s7, s4
	s_add_i32 s5, s14, s5
	s_mul_i32 s4, s6, s4
	s_add_i32 s5, s5, s15
	s_lshl_b64 s[4:5], s[4:5], 3
	s_add_u32 s4, s0, s4
	s_addc_u32 s5, s1, s5
	s_lshl_b64 s[0:1], s[2:3], 3
	s_add_u32 s14, s4, s0
	s_addc_u32 s15, s5, s1
.LBB69_2:
	s_lshl_b64 s[0:1], s[20:21], 3
	s_waitcnt lgkmcnt(0)
	s_add_u32 s0, s22, s0
	s_mul_i32 s2, s6, s11
	s_mul_hi_u32 s3, s6, s10
	s_addc_u32 s1, s23, s1
	s_add_i32 s2, s3, s2
	s_mul_i32 s3, s7, s10
	s_add_i32 s3, s2, s3
	s_mul_i32 s2, s6, s10
	s_lshl_b64 s[2:3], s[2:3], 3
	s_add_u32 s2, s8, s2
	s_addc_u32 s3, s9, s3
	s_add_u32 s8, s12, s18
	s_addc_u32 s9, s13, s19
	s_load_dwordx2 s[10:11], s[8:9], 0x0
	s_cmp_eq_u64 s[14:15], 0
	s_cselect_b64 s[6:7], -1, 0
	s_cmp_lg_u64 s[14:15], 0
	s_cselect_b64 s[4:5], -1, 0
	s_waitcnt lgkmcnt(0)
	v_cmp_ngt_f64_e64 s[12:13], s[10:11], 0
	s_and_b64 vcc, exec, s[12:13]
	s_cbranch_vccz .LBB69_5
; %bb.3:
	v_mov_b32_e32 v0, 0
	v_mov_b32_e32 v1, 0x3ff00000
	global_store_dwordx2 v0, v[0:1], s[8:9]
	v_mov_b32_e32 v1, v0
	s_mov_b64 s[18:19], 0
	s_and_b64 vcc, exec, s[4:5]
	global_store_dwordx2 v0, v[0:1], s[2:3]
	s_cbranch_vccz .LBB69_6
; %bb.4:
	global_load_dwordx2 v[0:1], v0, s[0:1]
	s_mov_b64 s[12:13], -1
	s_and_b64 vcc, exec, s[18:19]
	s_cbranch_vccnz .LBB69_7
	s_branch .LBB69_8
.LBB69_5:
	s_mov_b64 s[18:19], -1
.LBB69_6:
	s_mov_b64 s[12:13], 0
                                        ; implicit-def: $vgpr0_vgpr1
	s_and_b64 vcc, exec, s[18:19]
	s_cbranch_vccz .LBB69_8
.LBB69_7:
	s_load_dwordx2 s[12:13], s[0:1], 0x0
	s_waitcnt vmcnt(0)
	v_pk_mov_b32 v[0:1], s[10:11], s[10:11] op_sel:[0,1]
	s_mov_b32 s10, 0
	s_brev_b32 s11, 8
	v_mov_b32_e32 v12, 0
	s_waitcnt lgkmcnt(0)
	v_fmac_f64_e64 v[0:1], s[12:13], s[12:13]
	v_cmp_gt_f64_e32 vcc, s[10:11], v[0:1]
	v_cndmask_b32_e64 v2, 0, 1, vcc
	v_lshlrev_b32_e32 v2, 8, v2
	v_ldexp_f64 v[0:1], v[0:1], v2
	v_rsq_f64_e32 v[2:3], v[0:1]
	s_and_b64 s[10:11], vcc, exec
	s_cselect_b32 s10, 0xffffff80, 0
	s_mov_b64 s[16:17], s[6:7]
	v_mul_f64 v[4:5], v[0:1], v[2:3]
	v_mul_f64 v[2:3], v[2:3], 0.5
	v_fma_f64 v[6:7], -v[2:3], v[4:5], 0.5
	v_fmac_f64_e32 v[4:5], v[4:5], v[6:7]
	v_fmac_f64_e32 v[2:3], v[2:3], v[6:7]
	v_fma_f64 v[6:7], -v[4:5], v[4:5], v[0:1]
	v_fmac_f64_e32 v[4:5], v[6:7], v[2:3]
	v_fma_f64 v[6:7], -v[4:5], v[4:5], v[0:1]
	v_fmac_f64_e32 v[4:5], v[6:7], v[2:3]
	v_ldexp_f64 v[2:3], v[4:5], s10
	v_mov_b32_e32 v4, 0x260
	v_cmp_class_f64_e32 vcc, v[0:1], v4
	v_cndmask_b32_e32 v1, v3, v1, vcc
	v_cndmask_b32_e32 v0, v2, v0, vcc
	v_xor_b32_e32 v2, 0x80000000, v1
	v_cmp_ge_f64_e64 vcc, s[12:13], 0
	v_cndmask_b32_e32 v1, v1, v2, vcc
	v_add_f64 v[2:3], s[12:13], -v[0:1]
	v_div_scale_f64 v[4:5], s[10:11], v[2:3], v[2:3], 1.0
	v_rcp_f64_e32 v[6:7], v[4:5]
	s_mov_b64 s[12:13], s[4:5]
	v_fma_f64 v[8:9], -v[4:5], v[6:7], 1.0
	v_fmac_f64_e32 v[6:7], v[6:7], v[8:9]
	v_fma_f64 v[8:9], -v[4:5], v[6:7], 1.0
	v_fmac_f64_e32 v[6:7], v[6:7], v[8:9]
	v_div_scale_f64 v[8:9], vcc, 1.0, v[2:3], 1.0
	v_mul_f64 v[10:11], v[8:9], v[6:7]
	v_fma_f64 v[4:5], -v[4:5], v[10:11], v[8:9]
	s_nop 1
	v_div_fmas_f64 v[4:5], v[4:5], v[6:7], v[10:11]
	v_div_fixup_f64 v[2:3], v[4:5], v[2:3], 1.0
	global_store_dwordx2 v12, v[2:3], s[8:9]
	global_load_dwordx2 v[2:3], v12, s[0:1]
	s_waitcnt vmcnt(0)
	v_add_f64 v[2:3], v[0:1], -v[2:3]
	v_div_scale_f64 v[4:5], s[8:9], v[0:1], v[0:1], v[2:3]
	v_rcp_f64_e32 v[6:7], v[4:5]
	v_div_scale_f64 v[8:9], vcc, v[2:3], v[0:1], v[2:3]
	v_fma_f64 v[10:11], -v[4:5], v[6:7], 1.0
	v_fmac_f64_e32 v[6:7], v[6:7], v[10:11]
	v_fma_f64 v[10:11], -v[4:5], v[6:7], 1.0
	v_fmac_f64_e32 v[6:7], v[6:7], v[10:11]
	v_mul_f64 v[10:11], v[8:9], v[6:7]
	v_fma_f64 v[4:5], -v[4:5], v[10:11], v[8:9]
	v_div_fmas_f64 v[4:5], v[4:5], v[6:7], v[10:11]
	v_div_fixup_f64 v[2:3], v[4:5], v[0:1], v[2:3]
	global_store_dwordx2 v12, v[2:3], s[2:3]
.LBB69_8:
	s_andn2_b64 vcc, exec, s[12:13]
	s_cbranch_vccz .LBB69_11
; %bb.9:
	s_andn2_b64 vcc, exec, s[16:17]
	s_cbranch_vccz .LBB69_12
; %bb.10:
	s_endpgm
.LBB69_11:
	v_pk_mov_b32 v[2:3], s[14:15], s[14:15] op_sel:[0,1]
	s_waitcnt vmcnt(0)
	flat_store_dwordx2 v[2:3], v[0:1]
	v_mov_b32_e32 v0, 0
	v_mov_b32_e32 v1, 0x3ff00000
.LBB69_12:
	v_mov_b32_e32 v2, 0
	s_waitcnt vmcnt(0) lgkmcnt(0)
	global_store_dwordx2 v2, v[0:1], s[0:1]
	s_endpgm
	.section	.rodata,"a",@progbits
	.p2align	6, 0x0
	.amdhsa_kernel _ZN9rocsolver6v33100L11set_taubetaIdidPKPdEEvPT_lS6_T2_llPT1_ll
		.amdhsa_group_segment_fixed_size 0
		.amdhsa_private_segment_fixed_size 0
		.amdhsa_kernarg_size 72
		.amdhsa_user_sgpr_count 6
		.amdhsa_user_sgpr_private_segment_buffer 1
		.amdhsa_user_sgpr_dispatch_ptr 0
		.amdhsa_user_sgpr_queue_ptr 0
		.amdhsa_user_sgpr_kernarg_segment_ptr 1
		.amdhsa_user_sgpr_dispatch_id 0
		.amdhsa_user_sgpr_flat_scratch_init 0
		.amdhsa_user_sgpr_kernarg_preload_length 0
		.amdhsa_user_sgpr_kernarg_preload_offset 0
		.amdhsa_user_sgpr_private_segment_size 0
		.amdhsa_uses_dynamic_stack 0
		.amdhsa_system_sgpr_private_segment_wavefront_offset 0
		.amdhsa_system_sgpr_workgroup_id_x 1
		.amdhsa_system_sgpr_workgroup_id_y 0
		.amdhsa_system_sgpr_workgroup_id_z 0
		.amdhsa_system_sgpr_workgroup_info 0
		.amdhsa_system_vgpr_workitem_id 0
		.amdhsa_next_free_vgpr 13
		.amdhsa_next_free_sgpr 24
		.amdhsa_accum_offset 16
		.amdhsa_reserve_vcc 1
		.amdhsa_reserve_flat_scratch 0
		.amdhsa_float_round_mode_32 0
		.amdhsa_float_round_mode_16_64 0
		.amdhsa_float_denorm_mode_32 3
		.amdhsa_float_denorm_mode_16_64 3
		.amdhsa_dx10_clamp 1
		.amdhsa_ieee_mode 1
		.amdhsa_fp16_overflow 0
		.amdhsa_tg_split 0
		.amdhsa_exception_fp_ieee_invalid_op 0
		.amdhsa_exception_fp_denorm_src 0
		.amdhsa_exception_fp_ieee_div_zero 0
		.amdhsa_exception_fp_ieee_overflow 0
		.amdhsa_exception_fp_ieee_underflow 0
		.amdhsa_exception_fp_ieee_inexact 0
		.amdhsa_exception_int_div_zero 0
	.end_amdhsa_kernel
	.section	.text._ZN9rocsolver6v33100L11set_taubetaIdidPKPdEEvPT_lS6_T2_llPT1_ll,"axG",@progbits,_ZN9rocsolver6v33100L11set_taubetaIdidPKPdEEvPT_lS6_T2_llPT1_ll,comdat
.Lfunc_end69:
	.size	_ZN9rocsolver6v33100L11set_taubetaIdidPKPdEEvPT_lS6_T2_llPT1_ll, .Lfunc_end69-_ZN9rocsolver6v33100L11set_taubetaIdidPKPdEEvPT_lS6_T2_llPT1_ll
                                        ; -- End function
	.section	.AMDGPU.csdata,"",@progbits
; Kernel info:
; codeLenInByte = 784
; NumSgprs: 28
; NumVgprs: 13
; NumAgprs: 0
; TotalNumVgprs: 13
; ScratchSize: 0
; MemoryBound: 0
; FloatMode: 240
; IeeeMode: 1
; LDSByteSize: 0 bytes/workgroup (compile time only)
; SGPRBlocks: 3
; VGPRBlocks: 1
; NumSGPRsForWavesPerEU: 28
; NumVGPRsForWavesPerEU: 13
; AccumOffset: 16
; Occupancy: 8
; WaveLimiterHint : 1
; COMPUTE_PGM_RSRC2:SCRATCH_EN: 0
; COMPUTE_PGM_RSRC2:USER_SGPR: 6
; COMPUTE_PGM_RSRC2:TRAP_HANDLER: 0
; COMPUTE_PGM_RSRC2:TGID_X_EN: 1
; COMPUTE_PGM_RSRC2:TGID_Y_EN: 0
; COMPUTE_PGM_RSRC2:TGID_Z_EN: 0
; COMPUTE_PGM_RSRC2:TIDIG_COMP_CNT: 0
; COMPUTE_PGM_RSRC3_GFX90A:ACCUM_OFFSET: 3
; COMPUTE_PGM_RSRC3_GFX90A:TG_SPLIT: 0
	.section	.text._ZN9rocsolver6v33100L13conj_in_placeIdiPdTnNSt9enable_ifIXnt18rocblas_is_complexIT_EEiE4typeELi0EEEvT0_S7_T1_lS7_l,"axG",@progbits,_ZN9rocsolver6v33100L13conj_in_placeIdiPdTnNSt9enable_ifIXnt18rocblas_is_complexIT_EEiE4typeELi0EEEvT0_S7_T1_lS7_l,comdat
	.globl	_ZN9rocsolver6v33100L13conj_in_placeIdiPdTnNSt9enable_ifIXnt18rocblas_is_complexIT_EEiE4typeELi0EEEvT0_S7_T1_lS7_l ; -- Begin function _ZN9rocsolver6v33100L13conj_in_placeIdiPdTnNSt9enable_ifIXnt18rocblas_is_complexIT_EEiE4typeELi0EEEvT0_S7_T1_lS7_l
	.p2align	8
	.type	_ZN9rocsolver6v33100L13conj_in_placeIdiPdTnNSt9enable_ifIXnt18rocblas_is_complexIT_EEiE4typeELi0EEEvT0_S7_T1_lS7_l,@function
_ZN9rocsolver6v33100L13conj_in_placeIdiPdTnNSt9enable_ifIXnt18rocblas_is_complexIT_EEiE4typeELi0EEEvT0_S7_T1_lS7_l: ; @_ZN9rocsolver6v33100L13conj_in_placeIdiPdTnNSt9enable_ifIXnt18rocblas_is_complexIT_EEiE4typeELi0EEEvT0_S7_T1_lS7_l
; %bb.0:
	s_endpgm
	.section	.rodata,"a",@progbits
	.p2align	6, 0x0
	.amdhsa_kernel _ZN9rocsolver6v33100L13conj_in_placeIdiPdTnNSt9enable_ifIXnt18rocblas_is_complexIT_EEiE4typeELi0EEEvT0_S7_T1_lS7_l
		.amdhsa_group_segment_fixed_size 0
		.amdhsa_private_segment_fixed_size 0
		.amdhsa_kernarg_size 40
		.amdhsa_user_sgpr_count 6
		.amdhsa_user_sgpr_private_segment_buffer 1
		.amdhsa_user_sgpr_dispatch_ptr 0
		.amdhsa_user_sgpr_queue_ptr 0
		.amdhsa_user_sgpr_kernarg_segment_ptr 1
		.amdhsa_user_sgpr_dispatch_id 0
		.amdhsa_user_sgpr_flat_scratch_init 0
		.amdhsa_user_sgpr_kernarg_preload_length 0
		.amdhsa_user_sgpr_kernarg_preload_offset 0
		.amdhsa_user_sgpr_private_segment_size 0
		.amdhsa_uses_dynamic_stack 0
		.amdhsa_system_sgpr_private_segment_wavefront_offset 0
		.amdhsa_system_sgpr_workgroup_id_x 1
		.amdhsa_system_sgpr_workgroup_id_y 0
		.amdhsa_system_sgpr_workgroup_id_z 0
		.amdhsa_system_sgpr_workgroup_info 0
		.amdhsa_system_vgpr_workitem_id 0
		.amdhsa_next_free_vgpr 1
		.amdhsa_next_free_sgpr 0
		.amdhsa_accum_offset 4
		.amdhsa_reserve_vcc 0
		.amdhsa_reserve_flat_scratch 0
		.amdhsa_float_round_mode_32 0
		.amdhsa_float_round_mode_16_64 0
		.amdhsa_float_denorm_mode_32 3
		.amdhsa_float_denorm_mode_16_64 3
		.amdhsa_dx10_clamp 1
		.amdhsa_ieee_mode 1
		.amdhsa_fp16_overflow 0
		.amdhsa_tg_split 0
		.amdhsa_exception_fp_ieee_invalid_op 0
		.amdhsa_exception_fp_denorm_src 0
		.amdhsa_exception_fp_ieee_div_zero 0
		.amdhsa_exception_fp_ieee_overflow 0
		.amdhsa_exception_fp_ieee_underflow 0
		.amdhsa_exception_fp_ieee_inexact 0
		.amdhsa_exception_int_div_zero 0
	.end_amdhsa_kernel
	.section	.text._ZN9rocsolver6v33100L13conj_in_placeIdiPdTnNSt9enable_ifIXnt18rocblas_is_complexIT_EEiE4typeELi0EEEvT0_S7_T1_lS7_l,"axG",@progbits,_ZN9rocsolver6v33100L13conj_in_placeIdiPdTnNSt9enable_ifIXnt18rocblas_is_complexIT_EEiE4typeELi0EEEvT0_S7_T1_lS7_l,comdat
.Lfunc_end70:
	.size	_ZN9rocsolver6v33100L13conj_in_placeIdiPdTnNSt9enable_ifIXnt18rocblas_is_complexIT_EEiE4typeELi0EEEvT0_S7_T1_lS7_l, .Lfunc_end70-_ZN9rocsolver6v33100L13conj_in_placeIdiPdTnNSt9enable_ifIXnt18rocblas_is_complexIT_EEiE4typeELi0EEEvT0_S7_T1_lS7_l
                                        ; -- End function
	.section	.AMDGPU.csdata,"",@progbits
; Kernel info:
; codeLenInByte = 4
; NumSgprs: 4
; NumVgprs: 0
; NumAgprs: 0
; TotalNumVgprs: 0
; ScratchSize: 0
; MemoryBound: 0
; FloatMode: 240
; IeeeMode: 1
; LDSByteSize: 0 bytes/workgroup (compile time only)
; SGPRBlocks: 0
; VGPRBlocks: 0
; NumSGPRsForWavesPerEU: 4
; NumVGPRsForWavesPerEU: 1
; AccumOffset: 4
; Occupancy: 8
; WaveLimiterHint : 0
; COMPUTE_PGM_RSRC2:SCRATCH_EN: 0
; COMPUTE_PGM_RSRC2:USER_SGPR: 6
; COMPUTE_PGM_RSRC2:TRAP_HANDLER: 0
; COMPUTE_PGM_RSRC2:TGID_X_EN: 1
; COMPUTE_PGM_RSRC2:TGID_Y_EN: 0
; COMPUTE_PGM_RSRC2:TGID_Z_EN: 0
; COMPUTE_PGM_RSRC2:TIDIG_COMP_CNT: 0
; COMPUTE_PGM_RSRC3_GFX90A:ACCUM_OFFSET: 0
; COMPUTE_PGM_RSRC3_GFX90A:TG_SPLIT: 0
	.section	.text._ZN9rocsolver6v33100L16larf_left_kernelILi1024EdiPKPdEEvT1_S5_T2_lS5_lPKT0_lS6_lS5_l,"axG",@progbits,_ZN9rocsolver6v33100L16larf_left_kernelILi1024EdiPKPdEEvT1_S5_T2_lS5_lPKT0_lS6_lS5_l,comdat
	.globl	_ZN9rocsolver6v33100L16larf_left_kernelILi1024EdiPKPdEEvT1_S5_T2_lS5_lPKT0_lS6_lS5_l ; -- Begin function _ZN9rocsolver6v33100L16larf_left_kernelILi1024EdiPKPdEEvT1_S5_T2_lS5_lPKT0_lS6_lS5_l
	.p2align	8
	.type	_ZN9rocsolver6v33100L16larf_left_kernelILi1024EdiPKPdEEvT1_S5_T2_lS5_lPKT0_lS6_lS5_l,@function
_ZN9rocsolver6v33100L16larf_left_kernelILi1024EdiPKPdEEvT1_S5_T2_lS5_lPKT0_lS6_lS5_l: ; @_ZN9rocsolver6v33100L16larf_left_kernelILi1024EdiPKPdEEvT1_S5_T2_lS5_lPKT0_lS6_lS5_l
; %bb.0:
	s_load_dwordx8 s[12:19], s[4:5], 0x28
	s_load_dword s22, s[4:5], 0x0
	s_load_dword s6, s[4:5], 0x48
	s_ashr_i32 s9, s8, 31
	s_lshl_b64 s[20:21], s[8:9], 3
	s_waitcnt lgkmcnt(0)
	s_add_u32 s0, s16, s20
	s_addc_u32 s1, s17, s21
	s_load_dwordx2 s[2:3], s[0:1], 0x0
	v_cmp_gt_i32_e64 s[0:1], s22, v0
	v_pk_mov_b32 v[2:3], 0, 0
	s_mul_hi_i32 s11, s7, s6
	s_mul_i32 s10, s7, s6
	s_and_saveexec_b64 s[6:7], s[0:1]
	s_cbranch_execz .LBB71_6
; %bb.1:
	s_load_dword s16, s[4:5], 0x18
	s_load_dwordx4 s[24:27], s[4:5], 0x8
	s_sub_i32 s4, 1, s22
	v_lshl_add_u32 v1, v0, 3, 0
	v_add_u32_e32 v1, 0x80, v1
	s_waitcnt lgkmcnt(0)
	s_ashr_i32 s17, s16, 31
	s_mul_i32 s23, s4, s16
	v_cmp_lt_i64_e64 s[4:5], s[16:17], 1
	s_and_b64 s[4:5], s[4:5], exec
	s_cselect_b32 s4, s23, 0
	s_ashr_i32 s5, s4, 31
	s_add_u32 s20, s24, s20
	s_addc_u32 s21, s25, s21
	s_load_dwordx2 s[20:21], s[20:21], 0x0
	v_mad_i64_i32 v[2:3], s[24:25], s16, v0, 0
	s_lshl_b64 s[24:25], s[26:27], 3
	s_lshl_b64 s[4:5], s[4:5], 3
	s_waitcnt lgkmcnt(0)
	s_add_u32 s4, s20, s4
	s_addc_u32 s5, s21, s5
	s_add_u32 s4, s4, s24
	v_lshlrev_b64 v[2:3], 3, v[2:3]
	s_addc_u32 s5, s5, s25
	v_mov_b32_e32 v4, s5
	v_add_co_u32_e32 v2, vcc, s4, v2
	s_lshl_b64 s[16:17], s[16:17], 13
	v_addc_co_u32_e32 v3, vcc, v4, v3, vcc
	s_mov_b64 s[4:5], 0
	v_mov_b32_e32 v4, s17
	v_mov_b32_e32 v5, v1
	;; [unrolled: 1-line block ×3, first 2 shown]
.LBB71_2:                               ; =>This Inner Loop Header: Depth=1
	global_load_dwordx2 v[8:9], v[2:3], off
	v_add_co_u32_e32 v2, vcc, s16, v2
	v_add_u32_e32 v6, 0x400, v6
	v_addc_co_u32_e32 v3, vcc, v3, v4, vcc
	v_cmp_le_i32_e32 vcc, s22, v6
	s_or_b64 s[4:5], vcc, s[4:5]
	s_waitcnt vmcnt(0)
	ds_write_b64 v5, v[8:9]
	v_add_u32_e32 v5, 0x2000, v5
	s_andn2_b64 exec, exec, s[4:5]
	s_cbranch_execnz .LBB71_2
; %bb.3:
	s_or_b64 exec, exec, s[4:5]
	s_lshl_b64 s[4:5], s[10:11], 3
	s_lshl_b64 s[16:17], s[18:19], 3
	s_add_u32 s4, s4, s16
	s_addc_u32 s5, s5, s17
	s_add_u32 s4, s2, s4
	v_lshlrev_b32_e32 v2, 3, v0
	s_addc_u32 s5, s3, s5
	v_mov_b32_e32 v3, s5
	v_add_co_u32_e32 v4, vcc, s4, v2
	v_addc_co_u32_e32 v5, vcc, 0, v3, vcc
	s_mov_b64 s[4:5], 0
	v_pk_mov_b32 v[2:3], 0, 0
	v_mov_b32_e32 v6, v0
.LBB71_4:                               ; =>This Inner Loop Header: Depth=1
	global_load_dwordx2 v[8:9], v[4:5], off
	ds_read_b64 v[10:11], v1
	v_add_co_u32_e32 v4, vcc, 0x2000, v4
	v_add_u32_e32 v6, 0x400, v6
	v_addc_co_u32_e32 v5, vcc, 0, v5, vcc
	v_cmp_le_i32_e32 vcc, s22, v6
	v_add_u32_e32 v1, 0x2000, v1
	s_or_b64 s[4:5], vcc, s[4:5]
	s_waitcnt vmcnt(0) lgkmcnt(0)
	v_mul_f64 v[8:9], v[8:9], v[10:11]
	v_add_f64 v[2:3], v[2:3], v[8:9]
	s_andn2_b64 exec, exec, s[4:5]
	s_cbranch_execnz .LBB71_4
; %bb.5:
	s_or_b64 exec, exec, s[4:5]
.LBB71_6:
	s_or_b64 exec, exec, s[6:7]
	v_mbcnt_lo_u32_b32 v1, -1, 0
	v_mbcnt_hi_u32_b32 v1, -1, v1
	v_and_b32_e32 v6, 63, v1
	v_cmp_ne_u32_e32 vcc, 63, v6
	v_addc_co_u32_e32 v4, vcc, 0, v1, vcc
	v_lshlrev_b32_e32 v5, 2, v4
	ds_bpermute_b32 v4, v5, v2
	ds_bpermute_b32 v5, v5, v3
	v_cmp_gt_u32_e32 vcc, 62, v6
	s_waitcnt lgkmcnt(0)
	v_add_f64 v[2:3], v[2:3], v[4:5]
	v_cndmask_b32_e64 v4, 0, 1, vcc
	v_lshlrev_b32_e32 v4, 1, v4
	v_add_lshl_u32 v5, v4, v1, 2
	ds_bpermute_b32 v4, v5, v2
	ds_bpermute_b32 v5, v5, v3
	v_cmp_gt_u32_e32 vcc, 60, v6
	s_waitcnt lgkmcnt(0)
	v_add_f64 v[2:3], v[2:3], v[4:5]
	v_cndmask_b32_e64 v4, 0, 1, vcc
	v_lshlrev_b32_e32 v4, 2, v4
	v_add_lshl_u32 v5, v4, v1, 2
	;; [unrolled: 8-line block ×5, first 2 shown]
	ds_bpermute_b32 v4, v1, v2
	ds_bpermute_b32 v5, v1, v3
	v_and_b32_e32 v1, 63, v0
	v_cmp_eq_u32_e32 vcc, 0, v1
	s_waitcnt lgkmcnt(0)
	v_add_f64 v[2:3], v[2:3], v[4:5]
	s_and_saveexec_b64 s[4:5], vcc
	s_cbranch_execz .LBB71_8
; %bb.7:
	v_lshrrev_b32_e32 v1, 3, v0
	v_add_u32_e32 v1, 0, v1
	ds_write_b64 v1, v[2:3]
.LBB71_8:
	s_or_b64 exec, exec, s[4:5]
	v_cmp_eq_u32_e32 vcc, 0, v0
	s_waitcnt lgkmcnt(0)
	s_barrier
	s_and_saveexec_b64 s[4:5], vcc
	s_cbranch_execz .LBB71_10
; %bb.9:
	v_mov_b32_e32 v1, 0
	ds_read2_b64 v[4:7], v1 offset0:1 offset1:2
	ds_read2_b64 v[8:11], v1 offset0:3 offset1:4
	;; [unrolled: 1-line block ×4, first 2 shown]
	s_waitcnt lgkmcnt(3)
	v_add_f64 v[2:3], v[2:3], v[4:5]
	v_add_f64 v[2:3], v[2:3], v[6:7]
	s_waitcnt lgkmcnt(2)
	v_add_f64 v[2:3], v[2:3], v[8:9]
	v_add_f64 v[2:3], v[2:3], v[10:11]
	s_waitcnt lgkmcnt(1)
	v_add_f64 v[6:7], v[2:3], v[12:13]
	ds_read2_b64 v[2:5], v1 offset0:9 offset1:10
	v_add_f64 v[6:7], v[6:7], v[14:15]
	s_waitcnt lgkmcnt(1)
	v_add_f64 v[6:7], v[6:7], v[16:17]
	v_add_f64 v[10:11], v[6:7], v[18:19]
	ds_read2_b64 v[6:9], v1 offset0:11 offset1:12
	s_waitcnt lgkmcnt(1)
	v_add_f64 v[2:3], v[10:11], v[2:3]
	ds_read2_b64 v[10:13], v1 offset0:13 offset1:14
	v_add_f64 v[2:3], v[2:3], v[4:5]
	ds_read_b64 v[4:5], v1 offset:120
	s_waitcnt lgkmcnt(2)
	v_add_f64 v[2:3], v[2:3], v[6:7]
	v_add_f64 v[2:3], v[2:3], v[8:9]
	s_waitcnt lgkmcnt(1)
	v_add_f64 v[2:3], v[2:3], v[10:11]
	v_add_f64 v[2:3], v[2:3], v[12:13]
	s_waitcnt lgkmcnt(0)
	v_add_f64 v[2:3], v[2:3], v[4:5]
	ds_write_b64 v1, v[2:3]
.LBB71_10:
	s_or_b64 exec, exec, s[4:5]
	s_waitcnt lgkmcnt(0)
	s_barrier
	s_and_saveexec_b64 s[4:5], s[0:1]
	s_cbranch_execz .LBB71_13
; %bb.11:
	s_mul_i32 s0, s8, s15
	s_mul_hi_u32 s1, s8, s14
	s_add_i32 s0, s1, s0
	s_mul_i32 s1, s9, s14
	s_add_i32 s1, s0, s1
	s_mul_i32 s0, s8, s14
	s_lshl_b64 s[0:1], s[0:1], 3
	s_add_u32 s0, s12, s0
	s_addc_u32 s1, s13, s1
	v_mov_b32_e32 v1, 0
	s_load_dwordx2 s[0:1], s[0:1], 0x0
	ds_read_b64 v[2:3], v1
	s_lshl_b64 s[4:5], s[18:19], 3
	v_lshlrev_b32_e32 v4, 3, v0
	v_add_u32_e32 v1, 0, v4
	v_add_u32_e32 v1, 0x80, v1
	s_waitcnt lgkmcnt(0)
	v_mul_f64 v[2:3], v[2:3], -s[0:1]
	s_lshl_b64 s[0:1], s[10:11], 3
	s_add_u32 s0, s0, s4
	s_addc_u32 s1, s1, s5
	s_add_u32 s0, s2, s0
	s_addc_u32 s1, s3, s1
	v_mov_b32_e32 v5, s1
	v_add_co_u32_e32 v4, vcc, s0, v4
	v_addc_co_u32_e32 v5, vcc, 0, v5, vcc
	s_mov_b64 s[0:1], 0
.LBB71_12:                              ; =>This Inner Loop Header: Depth=1
	global_load_dwordx2 v[6:7], v[4:5], off
	ds_read_b64 v[8:9], v1
	v_add_u32_e32 v0, 0x400, v0
	v_cmp_le_i32_e32 vcc, s22, v0
	s_or_b64 s[0:1], vcc, s[0:1]
	v_add_u32_e32 v1, 0x2000, v1
	s_waitcnt vmcnt(0) lgkmcnt(0)
	v_fmac_f64_e32 v[6:7], v[2:3], v[8:9]
	global_store_dwordx2 v[4:5], v[6:7], off
	v_add_co_u32_e32 v4, vcc, 0x2000, v4
	v_addc_co_u32_e32 v5, vcc, 0, v5, vcc
	s_andn2_b64 exec, exec, s[0:1]
	s_cbranch_execnz .LBB71_12
.LBB71_13:
	s_endpgm
	.section	.rodata,"a",@progbits
	.p2align	6, 0x0
	.amdhsa_kernel _ZN9rocsolver6v33100L16larf_left_kernelILi1024EdiPKPdEEvT1_S5_T2_lS5_lPKT0_lS6_lS5_l
		.amdhsa_group_segment_fixed_size 0
		.amdhsa_private_segment_fixed_size 0
		.amdhsa_kernarg_size 88
		.amdhsa_user_sgpr_count 6
		.amdhsa_user_sgpr_private_segment_buffer 1
		.amdhsa_user_sgpr_dispatch_ptr 0
		.amdhsa_user_sgpr_queue_ptr 0
		.amdhsa_user_sgpr_kernarg_segment_ptr 1
		.amdhsa_user_sgpr_dispatch_id 0
		.amdhsa_user_sgpr_flat_scratch_init 0
		.amdhsa_user_sgpr_kernarg_preload_length 0
		.amdhsa_user_sgpr_kernarg_preload_offset 0
		.amdhsa_user_sgpr_private_segment_size 0
		.amdhsa_uses_dynamic_stack 0
		.amdhsa_system_sgpr_private_segment_wavefront_offset 0
		.amdhsa_system_sgpr_workgroup_id_x 1
		.amdhsa_system_sgpr_workgroup_id_y 1
		.amdhsa_system_sgpr_workgroup_id_z 1
		.amdhsa_system_sgpr_workgroup_info 0
		.amdhsa_system_vgpr_workitem_id 0
		.amdhsa_next_free_vgpr 20
		.amdhsa_next_free_sgpr 28
		.amdhsa_accum_offset 20
		.amdhsa_reserve_vcc 1
		.amdhsa_reserve_flat_scratch 0
		.amdhsa_float_round_mode_32 0
		.amdhsa_float_round_mode_16_64 0
		.amdhsa_float_denorm_mode_32 3
		.amdhsa_float_denorm_mode_16_64 3
		.amdhsa_dx10_clamp 1
		.amdhsa_ieee_mode 1
		.amdhsa_fp16_overflow 0
		.amdhsa_tg_split 0
		.amdhsa_exception_fp_ieee_invalid_op 0
		.amdhsa_exception_fp_denorm_src 0
		.amdhsa_exception_fp_ieee_div_zero 0
		.amdhsa_exception_fp_ieee_overflow 0
		.amdhsa_exception_fp_ieee_underflow 0
		.amdhsa_exception_fp_ieee_inexact 0
		.amdhsa_exception_int_div_zero 0
	.end_amdhsa_kernel
	.section	.text._ZN9rocsolver6v33100L16larf_left_kernelILi1024EdiPKPdEEvT1_S5_T2_lS5_lPKT0_lS6_lS5_l,"axG",@progbits,_ZN9rocsolver6v33100L16larf_left_kernelILi1024EdiPKPdEEvT1_S5_T2_lS5_lPKT0_lS6_lS5_l,comdat
.Lfunc_end71:
	.size	_ZN9rocsolver6v33100L16larf_left_kernelILi1024EdiPKPdEEvT1_S5_T2_lS5_lPKT0_lS6_lS5_l, .Lfunc_end71-_ZN9rocsolver6v33100L16larf_left_kernelILi1024EdiPKPdEEvT1_S5_T2_lS5_lPKT0_lS6_lS5_l
                                        ; -- End function
	.section	.AMDGPU.csdata,"",@progbits
; Kernel info:
; codeLenInByte = 1280
; NumSgprs: 32
; NumVgprs: 20
; NumAgprs: 0
; TotalNumVgprs: 20
; ScratchSize: 0
; MemoryBound: 0
; FloatMode: 240
; IeeeMode: 1
; LDSByteSize: 0 bytes/workgroup (compile time only)
; SGPRBlocks: 3
; VGPRBlocks: 2
; NumSGPRsForWavesPerEU: 32
; NumVGPRsForWavesPerEU: 20
; AccumOffset: 20
; Occupancy: 8
; WaveLimiterHint : 0
; COMPUTE_PGM_RSRC2:SCRATCH_EN: 0
; COMPUTE_PGM_RSRC2:USER_SGPR: 6
; COMPUTE_PGM_RSRC2:TRAP_HANDLER: 0
; COMPUTE_PGM_RSRC2:TGID_X_EN: 1
; COMPUTE_PGM_RSRC2:TGID_Y_EN: 1
; COMPUTE_PGM_RSRC2:TGID_Z_EN: 1
; COMPUTE_PGM_RSRC2:TIDIG_COMP_CNT: 0
; COMPUTE_PGM_RSRC3_GFX90A:ACCUM_OFFSET: 4
; COMPUTE_PGM_RSRC3_GFX90A:TG_SPLIT: 0
	.section	.text._ZN9rocsolver6v33100L17larf_right_kernelILi1024EdiPKPdEEvT1_S5_T2_lS5_lPKT0_lS6_lS5_l,"axG",@progbits,_ZN9rocsolver6v33100L17larf_right_kernelILi1024EdiPKPdEEvT1_S5_T2_lS5_lPKT0_lS6_lS5_l,comdat
	.globl	_ZN9rocsolver6v33100L17larf_right_kernelILi1024EdiPKPdEEvT1_S5_T2_lS5_lPKT0_lS6_lS5_l ; -- Begin function _ZN9rocsolver6v33100L17larf_right_kernelILi1024EdiPKPdEEvT1_S5_T2_lS5_lPKT0_lS6_lS5_l
	.p2align	8
	.type	_ZN9rocsolver6v33100L17larf_right_kernelILi1024EdiPKPdEEvT1_S5_T2_lS5_lPKT0_lS6_lS5_l,@function
_ZN9rocsolver6v33100L17larf_right_kernelILi1024EdiPKPdEEvT1_S5_T2_lS5_lPKT0_lS6_lS5_l: ; @_ZN9rocsolver6v33100L17larf_right_kernelILi1024EdiPKPdEEvT1_S5_T2_lS5_lPKT0_lS6_lS5_l
; %bb.0:
	s_load_dwordx8 s[12:19], s[4:5], 0x28
	s_load_dword s22, s[4:5], 0x4
	s_load_dword s2, s[4:5], 0x48
	s_ashr_i32 s9, s8, 31
	s_lshl_b64 s[0:1], s[8:9], 3
	s_waitcnt lgkmcnt(0)
	s_add_u32 s10, s16, s0
	s_addc_u32 s11, s17, s1
	s_load_dwordx2 s[10:11], s[10:11], 0x0
	s_mov_b32 s6, s7
	s_ashr_i32 s7, s7, 31
	v_cmp_gt_i32_e32 vcc, s22, v0
	v_pk_mov_b32 v[2:3], 0, 0
	v_lshl_add_u32 v1, v0, 3, 0
	s_and_saveexec_b64 s[16:17], vcc
	s_cbranch_execz .LBB72_6
; %bb.1:
	s_load_dword s20, s[4:5], 0x18
	s_load_dwordx4 s[24:27], s[4:5], 0x8
	s_sub_i32 s3, 1, s22
	v_add_u32_e32 v6, 0x80, v1
	v_mov_b32_e32 v5, v6
	s_waitcnt lgkmcnt(0)
	s_ashr_i32 s21, s20, 31
	v_cmp_lt_i64_e64 s[4:5], s[20:21], 1
	s_mul_i32 s3, s3, s20
	s_and_b64 s[4:5], s[4:5], exec
	s_cselect_b32 s4, s3, 0
	s_ashr_i32 s5, s4, 31
	s_add_u32 s0, s24, s0
	s_addc_u32 s1, s25, s1
	s_load_dwordx2 s[0:1], s[0:1], 0x0
	v_mad_i64_i32 v[2:3], s[24:25], s20, v0, 0
	s_lshl_b64 s[24:25], s[26:27], 3
	s_lshl_b64 s[4:5], s[4:5], 3
	s_waitcnt lgkmcnt(0)
	s_add_u32 s0, s0, s4
	s_addc_u32 s1, s1, s5
	s_add_u32 s0, s0, s24
	v_lshlrev_b64 v[2:3], 3, v[2:3]
	s_addc_u32 s1, s1, s25
	v_mov_b32_e32 v4, s1
	v_add_co_u32_e64 v2, s[0:1], s0, v2
	s_lshl_b64 s[20:21], s[20:21], 13
	v_addc_co_u32_e64 v3, s[0:1], v4, v3, s[0:1]
	s_mov_b64 s[4:5], 0
	v_mov_b32_e32 v4, s21
	v_mov_b32_e32 v7, v0
.LBB72_2:                               ; =>This Inner Loop Header: Depth=1
	global_load_dwordx2 v[8:9], v[2:3], off
	v_add_co_u32_e64 v2, s[0:1], s20, v2
	v_add_u32_e32 v7, 0x400, v7
	v_addc_co_u32_e64 v3, s[0:1], v3, v4, s[0:1]
	v_cmp_le_i32_e64 s[0:1], s22, v7
	s_or_b64 s[4:5], s[0:1], s[4:5]
	s_waitcnt vmcnt(0)
	ds_write_b64 v5, v[8:9]
	v_add_u32_e32 v5, 0x2000, v5
	s_andn2_b64 exec, exec, s[4:5]
	s_cbranch_execnz .LBB72_2
; %bb.3:
	s_or_b64 exec, exec, s[4:5]
	v_mad_i64_i32 v[2:3], s[0:1], s2, v0, 0
	s_ashr_i32 s3, s2, 31
	s_lshl_b64 s[0:1], s[18:19], 3
	s_lshl_b64 s[4:5], s[6:7], 3
	s_add_u32 s4, s10, s4
	s_addc_u32 s5, s11, s5
	s_add_u32 s0, s4, s0
	v_lshlrev_b64 v[2:3], 3, v[2:3]
	s_addc_u32 s1, s5, s1
	v_mov_b32_e32 v5, s1
	v_add_co_u32_e64 v4, s[0:1], s0, v2
	s_lshl_b64 s[20:21], s[2:3], 13
	v_addc_co_u32_e64 v5, s[0:1], v5, v3, s[0:1]
	s_mov_b64 s[4:5], 0
	v_pk_mov_b32 v[2:3], 0, 0
	v_mov_b32_e32 v7, s21
	v_mov_b32_e32 v8, v0
.LBB72_4:                               ; =>This Inner Loop Header: Depth=1
	global_load_dwordx2 v[10:11], v[4:5], off
	ds_read_b64 v[12:13], v6
	v_add_co_u32_e64 v4, s[0:1], s20, v4
	v_add_u32_e32 v8, 0x400, v8
	v_addc_co_u32_e64 v5, s[0:1], v5, v7, s[0:1]
	v_cmp_le_i32_e64 s[0:1], s22, v8
	v_add_u32_e32 v6, 0x2000, v6
	s_or_b64 s[4:5], s[0:1], s[4:5]
	s_waitcnt vmcnt(0) lgkmcnt(0)
	v_mul_f64 v[10:11], v[10:11], v[12:13]
	v_add_f64 v[2:3], v[2:3], v[10:11]
	s_andn2_b64 exec, exec, s[4:5]
	s_cbranch_execnz .LBB72_4
; %bb.5:
	s_or_b64 exec, exec, s[4:5]
.LBB72_6:
	s_or_b64 exec, exec, s[16:17]
	v_mbcnt_lo_u32_b32 v4, -1, 0
	v_mbcnt_hi_u32_b32 v6, -1, v4
	v_and_b32_e32 v7, 63, v6
	v_cmp_ne_u32_e64 s[0:1], 63, v7
	v_addc_co_u32_e64 v4, s[0:1], 0, v6, s[0:1]
	v_lshlrev_b32_e32 v5, 2, v4
	ds_bpermute_b32 v4, v5, v2
	ds_bpermute_b32 v5, v5, v3
	v_cmp_gt_u32_e64 s[0:1], 62, v7
	s_waitcnt lgkmcnt(0)
	v_add_f64 v[2:3], v[2:3], v[4:5]
	v_cndmask_b32_e64 v4, 0, 1, s[0:1]
	v_lshlrev_b32_e32 v4, 1, v4
	v_add_lshl_u32 v5, v4, v6, 2
	ds_bpermute_b32 v4, v5, v2
	ds_bpermute_b32 v5, v5, v3
	v_cmp_gt_u32_e64 s[0:1], 60, v7
	s_waitcnt lgkmcnt(0)
	v_add_f64 v[2:3], v[2:3], v[4:5]
	v_cndmask_b32_e64 v4, 0, 1, s[0:1]
	v_lshlrev_b32_e32 v4, 2, v4
	v_add_lshl_u32 v5, v4, v6, 2
	;; [unrolled: 8-line block ×5, first 2 shown]
	ds_bpermute_b32 v4, v5, v2
	ds_bpermute_b32 v5, v5, v3
	s_waitcnt lgkmcnt(0)
	v_add_f64 v[2:3], v[2:3], v[4:5]
	v_and_b32_e32 v4, 63, v0
	v_cmp_eq_u32_e64 s[0:1], 0, v4
	s_and_saveexec_b64 s[4:5], s[0:1]
	s_cbranch_execz .LBB72_8
; %bb.7:
	v_lshrrev_b32_e32 v4, 3, v0
	v_add_u32_e32 v4, 0, v4
	ds_write_b64 v4, v[2:3]
.LBB72_8:
	s_or_b64 exec, exec, s[4:5]
	v_cmp_eq_u32_e64 s[0:1], 0, v0
	s_waitcnt lgkmcnt(0)
	s_barrier
	s_and_saveexec_b64 s[4:5], s[0:1]
	s_cbranch_execz .LBB72_10
; %bb.9:
	v_mov_b32_e32 v20, 0
	ds_read2_b64 v[4:7], v20 offset0:1 offset1:2
	ds_read2_b64 v[8:11], v20 offset0:3 offset1:4
	;; [unrolled: 1-line block ×4, first 2 shown]
	s_waitcnt lgkmcnt(3)
	v_add_f64 v[2:3], v[2:3], v[4:5]
	v_add_f64 v[2:3], v[2:3], v[6:7]
	s_waitcnt lgkmcnt(2)
	v_add_f64 v[2:3], v[2:3], v[8:9]
	v_add_f64 v[2:3], v[2:3], v[10:11]
	s_waitcnt lgkmcnt(1)
	v_add_f64 v[6:7], v[2:3], v[12:13]
	ds_read2_b64 v[2:5], v20 offset0:9 offset1:10
	v_add_f64 v[6:7], v[6:7], v[14:15]
	s_waitcnt lgkmcnt(1)
	v_add_f64 v[6:7], v[6:7], v[16:17]
	v_add_f64 v[10:11], v[6:7], v[18:19]
	ds_read2_b64 v[6:9], v20 offset0:11 offset1:12
	s_waitcnt lgkmcnt(1)
	v_add_f64 v[2:3], v[10:11], v[2:3]
	ds_read2_b64 v[10:13], v20 offset0:13 offset1:14
	v_add_f64 v[2:3], v[2:3], v[4:5]
	ds_read_b64 v[4:5], v20 offset:120
	s_waitcnt lgkmcnt(2)
	v_add_f64 v[2:3], v[2:3], v[6:7]
	v_add_f64 v[2:3], v[2:3], v[8:9]
	s_waitcnt lgkmcnt(1)
	v_add_f64 v[2:3], v[2:3], v[10:11]
	v_add_f64 v[2:3], v[2:3], v[12:13]
	s_waitcnt lgkmcnt(0)
	v_add_f64 v[2:3], v[2:3], v[4:5]
	ds_write_b64 v20, v[2:3]
.LBB72_10:
	s_or_b64 exec, exec, s[4:5]
	s_waitcnt lgkmcnt(0)
	s_barrier
	s_and_saveexec_b64 s[0:1], vcc
	s_cbranch_execz .LBB72_13
; %bb.11:
	s_mul_i32 s0, s8, s15
	s_mul_hi_u32 s1, s8, s14
	s_add_i32 s0, s1, s0
	s_mul_i32 s1, s9, s14
	s_add_i32 s1, s0, s1
	s_mul_i32 s0, s8, s14
	s_lshl_b64 s[0:1], s[0:1], 3
	s_add_u32 s0, s12, s0
	s_addc_u32 s1, s13, s1
	v_mov_b32_e32 v2, 0
	s_load_dwordx2 s[0:1], s[0:1], 0x0
	ds_read_b64 v[2:3], v2
	s_ashr_i32 s3, s2, 31
	s_lshl_b64 s[4:5], s[6:7], 3
	v_add_u32_e32 v1, 0x80, v1
	s_waitcnt lgkmcnt(0)
	v_mul_f64 v[2:3], v[2:3], -s[0:1]
	v_mad_i64_i32 v[4:5], s[0:1], s2, v0, 0
	s_lshl_b64 s[0:1], s[18:19], 3
	s_add_u32 s4, s10, s4
	s_addc_u32 s5, s11, s5
	s_add_u32 s0, s4, s0
	v_lshlrev_b64 v[4:5], 3, v[4:5]
	s_addc_u32 s1, s5, s1
	v_mov_b32_e32 v6, s1
	v_add_co_u32_e32 v4, vcc, s0, v4
	s_lshl_b64 s[0:1], s[2:3], 13
	v_addc_co_u32_e32 v5, vcc, v6, v5, vcc
	s_mov_b64 s[2:3], 0
	v_mov_b32_e32 v6, s1
.LBB72_12:                              ; =>This Inner Loop Header: Depth=1
	global_load_dwordx2 v[8:9], v[4:5], off
	ds_read_b64 v[10:11], v1
	v_add_u32_e32 v0, 0x400, v0
	v_cmp_le_i32_e32 vcc, s22, v0
	s_or_b64 s[2:3], vcc, s[2:3]
	v_add_u32_e32 v1, 0x2000, v1
	s_waitcnt vmcnt(0) lgkmcnt(0)
	v_fmac_f64_e32 v[8:9], v[2:3], v[10:11]
	global_store_dwordx2 v[4:5], v[8:9], off
	v_add_co_u32_e32 v4, vcc, s0, v4
	v_addc_co_u32_e32 v5, vcc, v5, v6, vcc
	s_andn2_b64 exec, exec, s[2:3]
	s_cbranch_execnz .LBB72_12
.LBB72_13:
	s_endpgm
	.section	.rodata,"a",@progbits
	.p2align	6, 0x0
	.amdhsa_kernel _ZN9rocsolver6v33100L17larf_right_kernelILi1024EdiPKPdEEvT1_S5_T2_lS5_lPKT0_lS6_lS5_l
		.amdhsa_group_segment_fixed_size 0
		.amdhsa_private_segment_fixed_size 0
		.amdhsa_kernarg_size 88
		.amdhsa_user_sgpr_count 6
		.amdhsa_user_sgpr_private_segment_buffer 1
		.amdhsa_user_sgpr_dispatch_ptr 0
		.amdhsa_user_sgpr_queue_ptr 0
		.amdhsa_user_sgpr_kernarg_segment_ptr 1
		.amdhsa_user_sgpr_dispatch_id 0
		.amdhsa_user_sgpr_flat_scratch_init 0
		.amdhsa_user_sgpr_kernarg_preload_length 0
		.amdhsa_user_sgpr_kernarg_preload_offset 0
		.amdhsa_user_sgpr_private_segment_size 0
		.amdhsa_uses_dynamic_stack 0
		.amdhsa_system_sgpr_private_segment_wavefront_offset 0
		.amdhsa_system_sgpr_workgroup_id_x 1
		.amdhsa_system_sgpr_workgroup_id_y 1
		.amdhsa_system_sgpr_workgroup_id_z 1
		.amdhsa_system_sgpr_workgroup_info 0
		.amdhsa_system_vgpr_workitem_id 0
		.amdhsa_next_free_vgpr 21
		.amdhsa_next_free_sgpr 28
		.amdhsa_accum_offset 24
		.amdhsa_reserve_vcc 1
		.amdhsa_reserve_flat_scratch 0
		.amdhsa_float_round_mode_32 0
		.amdhsa_float_round_mode_16_64 0
		.amdhsa_float_denorm_mode_32 3
		.amdhsa_float_denorm_mode_16_64 3
		.amdhsa_dx10_clamp 1
		.amdhsa_ieee_mode 1
		.amdhsa_fp16_overflow 0
		.amdhsa_tg_split 0
		.amdhsa_exception_fp_ieee_invalid_op 0
		.amdhsa_exception_fp_denorm_src 0
		.amdhsa_exception_fp_ieee_div_zero 0
		.amdhsa_exception_fp_ieee_overflow 0
		.amdhsa_exception_fp_ieee_underflow 0
		.amdhsa_exception_fp_ieee_inexact 0
		.amdhsa_exception_int_div_zero 0
	.end_amdhsa_kernel
	.section	.text._ZN9rocsolver6v33100L17larf_right_kernelILi1024EdiPKPdEEvT1_S5_T2_lS5_lPKT0_lS6_lS5_l,"axG",@progbits,_ZN9rocsolver6v33100L17larf_right_kernelILi1024EdiPKPdEEvT1_S5_T2_lS5_lPKT0_lS6_lS5_l,comdat
.Lfunc_end72:
	.size	_ZN9rocsolver6v33100L17larf_right_kernelILi1024EdiPKPdEEvT1_S5_T2_lS5_lPKT0_lS6_lS5_l, .Lfunc_end72-_ZN9rocsolver6v33100L17larf_right_kernelILi1024EdiPKPdEEvT1_S5_T2_lS5_lPKT0_lS6_lS5_l
                                        ; -- End function
	.section	.AMDGPU.csdata,"",@progbits
; Kernel info:
; codeLenInByte = 1388
; NumSgprs: 32
; NumVgprs: 21
; NumAgprs: 0
; TotalNumVgprs: 21
; ScratchSize: 0
; MemoryBound: 0
; FloatMode: 240
; IeeeMode: 1
; LDSByteSize: 0 bytes/workgroup (compile time only)
; SGPRBlocks: 3
; VGPRBlocks: 2
; NumSGPRsForWavesPerEU: 32
; NumVGPRsForWavesPerEU: 21
; AccumOffset: 24
; Occupancy: 8
; WaveLimiterHint : 0
; COMPUTE_PGM_RSRC2:SCRATCH_EN: 0
; COMPUTE_PGM_RSRC2:USER_SGPR: 6
; COMPUTE_PGM_RSRC2:TRAP_HANDLER: 0
; COMPUTE_PGM_RSRC2:TGID_X_EN: 1
; COMPUTE_PGM_RSRC2:TGID_Y_EN: 1
; COMPUTE_PGM_RSRC2:TGID_Z_EN: 1
; COMPUTE_PGM_RSRC2:TIDIG_COMP_CNT: 0
; COMPUTE_PGM_RSRC3_GFX90A:ACCUM_OFFSET: 5
; COMPUTE_PGM_RSRC3_GFX90A:TG_SPLIT: 0
	.section	.text._ZN9rocsolver6v33100L9get_arrayIdiEEvPPT_S3_lT0_,"axG",@progbits,_ZN9rocsolver6v33100L9get_arrayIdiEEvPPT_S3_lT0_,comdat
	.globl	_ZN9rocsolver6v33100L9get_arrayIdiEEvPPT_S3_lT0_ ; -- Begin function _ZN9rocsolver6v33100L9get_arrayIdiEEvPPT_S3_lT0_
	.p2align	8
	.type	_ZN9rocsolver6v33100L9get_arrayIdiEEvPPT_S3_lT0_,@function
_ZN9rocsolver6v33100L9get_arrayIdiEEvPPT_S3_lT0_: ; @_ZN9rocsolver6v33100L9get_arrayIdiEEvPPT_S3_lT0_
; %bb.0:
	s_load_dword s0, s[4:5], 0x2c
	s_load_dword s1, s[4:5], 0x18
	s_waitcnt lgkmcnt(0)
	s_and_b32 s0, s0, 0xffff
	s_mul_i32 s6, s6, s0
	v_add_u32_e32 v0, s6, v0
	v_cmp_gt_i32_e32 vcc, s1, v0
	s_and_saveexec_b64 s[0:1], vcc
	s_cbranch_execz .LBB73_2
; %bb.1:
	s_load_dwordx2 s[6:7], s[4:5], 0x10
	s_load_dwordx4 s[0:3], s[4:5], 0x0
	v_ashrrev_i32_e32 v1, 31, v0
	s_waitcnt lgkmcnt(0)
	v_mul_lo_u32 v4, v0, s7
	v_mul_lo_u32 v5, v1, s6
	v_mad_u64_u32 v[2:3], s[4:5], v0, s6, 0
	v_add3_u32 v3, v3, v4, v5
	v_lshlrev_b64 v[2:3], 3, v[2:3]
	v_mov_b32_e32 v4, s3
	v_add_co_u32_e32 v2, vcc, s2, v2
	v_addc_co_u32_e32 v3, vcc, v4, v3, vcc
	v_lshlrev_b64 v[0:1], 3, v[0:1]
	v_mov_b32_e32 v4, s1
	v_add_co_u32_e32 v0, vcc, s0, v0
	v_addc_co_u32_e32 v1, vcc, v4, v1, vcc
	global_store_dwordx2 v[0:1], v[2:3], off
.LBB73_2:
	s_endpgm
	.section	.rodata,"a",@progbits
	.p2align	6, 0x0
	.amdhsa_kernel _ZN9rocsolver6v33100L9get_arrayIdiEEvPPT_S3_lT0_
		.amdhsa_group_segment_fixed_size 0
		.amdhsa_private_segment_fixed_size 0
		.amdhsa_kernarg_size 288
		.amdhsa_user_sgpr_count 6
		.amdhsa_user_sgpr_private_segment_buffer 1
		.amdhsa_user_sgpr_dispatch_ptr 0
		.amdhsa_user_sgpr_queue_ptr 0
		.amdhsa_user_sgpr_kernarg_segment_ptr 1
		.amdhsa_user_sgpr_dispatch_id 0
		.amdhsa_user_sgpr_flat_scratch_init 0
		.amdhsa_user_sgpr_kernarg_preload_length 0
		.amdhsa_user_sgpr_kernarg_preload_offset 0
		.amdhsa_user_sgpr_private_segment_size 0
		.amdhsa_uses_dynamic_stack 0
		.amdhsa_system_sgpr_private_segment_wavefront_offset 0
		.amdhsa_system_sgpr_workgroup_id_x 1
		.amdhsa_system_sgpr_workgroup_id_y 0
		.amdhsa_system_sgpr_workgroup_id_z 0
		.amdhsa_system_sgpr_workgroup_info 0
		.amdhsa_system_vgpr_workitem_id 0
		.amdhsa_next_free_vgpr 6
		.amdhsa_next_free_sgpr 8
		.amdhsa_accum_offset 8
		.amdhsa_reserve_vcc 1
		.amdhsa_reserve_flat_scratch 0
		.amdhsa_float_round_mode_32 0
		.amdhsa_float_round_mode_16_64 0
		.amdhsa_float_denorm_mode_32 3
		.amdhsa_float_denorm_mode_16_64 3
		.amdhsa_dx10_clamp 1
		.amdhsa_ieee_mode 1
		.amdhsa_fp16_overflow 0
		.amdhsa_tg_split 0
		.amdhsa_exception_fp_ieee_invalid_op 0
		.amdhsa_exception_fp_denorm_src 0
		.amdhsa_exception_fp_ieee_div_zero 0
		.amdhsa_exception_fp_ieee_overflow 0
		.amdhsa_exception_fp_ieee_underflow 0
		.amdhsa_exception_fp_ieee_inexact 0
		.amdhsa_exception_int_div_zero 0
	.end_amdhsa_kernel
	.section	.text._ZN9rocsolver6v33100L9get_arrayIdiEEvPPT_S3_lT0_,"axG",@progbits,_ZN9rocsolver6v33100L9get_arrayIdiEEvPPT_S3_lT0_,comdat
.Lfunc_end73:
	.size	_ZN9rocsolver6v33100L9get_arrayIdiEEvPPT_S3_lT0_, .Lfunc_end73-_ZN9rocsolver6v33100L9get_arrayIdiEEvPPT_S3_lT0_
                                        ; -- End function
	.section	.AMDGPU.csdata,"",@progbits
; Kernel info:
; codeLenInByte = 156
; NumSgprs: 12
; NumVgprs: 6
; NumAgprs: 0
; TotalNumVgprs: 6
; ScratchSize: 0
; MemoryBound: 0
; FloatMode: 240
; IeeeMode: 1
; LDSByteSize: 0 bytes/workgroup (compile time only)
; SGPRBlocks: 1
; VGPRBlocks: 0
; NumSGPRsForWavesPerEU: 12
; NumVGPRsForWavesPerEU: 6
; AccumOffset: 8
; Occupancy: 8
; WaveLimiterHint : 0
; COMPUTE_PGM_RSRC2:SCRATCH_EN: 0
; COMPUTE_PGM_RSRC2:USER_SGPR: 6
; COMPUTE_PGM_RSRC2:TRAP_HANDLER: 0
; COMPUTE_PGM_RSRC2:TGID_X_EN: 1
; COMPUTE_PGM_RSRC2:TGID_Y_EN: 0
; COMPUTE_PGM_RSRC2:TGID_Z_EN: 0
; COMPUTE_PGM_RSRC2:TIDIG_COMP_CNT: 0
; COMPUTE_PGM_RSRC3_GFX90A:ACCUM_OFFSET: 1
; COMPUTE_PGM_RSRC3_GFX90A:TG_SPLIT: 0
	.section	.text._ZN9rocsolver6v33100L12restore_diagIdidPKPdEEvPT1_llT2_lT0_lS8_,"axG",@progbits,_ZN9rocsolver6v33100L12restore_diagIdidPKPdEEvPT1_llT2_lT0_lS8_,comdat
	.globl	_ZN9rocsolver6v33100L12restore_diagIdidPKPdEEvPT1_llT2_lT0_lS8_ ; -- Begin function _ZN9rocsolver6v33100L12restore_diagIdidPKPdEEvPT1_llT2_lT0_lS8_
	.p2align	8
	.type	_ZN9rocsolver6v33100L12restore_diagIdidPKPdEEvPT1_llT2_lT0_lS8_,@function
_ZN9rocsolver6v33100L12restore_diagIdidPKPdEEvPT1_llT2_lT0_lS8_: ; @_ZN9rocsolver6v33100L12restore_diagIdidPKPdEEvPT1_llT2_lT0_lS8_
; %bb.0:
	s_load_dword s0, s[4:5], 0x4c
	s_load_dword s1, s[4:5], 0x38
	v_bfe_u32 v0, v0, 10, 10
	s_waitcnt lgkmcnt(0)
	s_lshr_b32 s0, s0, 16
	s_mul_i32 s7, s7, s0
	v_add_u32_e32 v0, s7, v0
	v_cmp_gt_i32_e32 vcc, s1, v0
	s_and_saveexec_b64 s[0:1], vcc
	s_cbranch_execz .LBB74_2
; %bb.1:
	s_load_dwordx8 s[8:15], s[4:5], 0x0
	s_ashr_i32 s7, s6, 31
	s_lshl_b64 s[0:1], s[6:7], 3
	s_waitcnt lgkmcnt(0)
	s_add_u32 s0, s14, s0
	s_addc_u32 s1, s15, s1
	s_load_dwordx2 s[2:3], s[4:5], 0x20
	s_load_dwordx2 s[14:15], s[0:1], 0x0
	s_load_dword s16, s[4:5], 0x28
	s_mul_i32 s4, s6, s13
	s_mul_hi_u32 s5, s6, s12
	s_waitcnt lgkmcnt(0)
	s_lshl_b64 s[0:1], s[2:3], 3
	s_add_u32 s2, s14, s0
	s_addc_u32 s3, s15, s1
	s_add_i32 s0, s5, s4
	s_mul_i32 s1, s7, s12
	s_add_i32 s1, s0, s1
	s_mul_i32 s0, s6, s12
	s_lshl_b64 s[0:1], s[0:1], 3
	s_add_u32 s4, s8, s0
	s_addc_u32 s5, s9, s1
	s_lshl_b64 s[0:1], s[10:11], 3
	s_add_u32 s4, s4, s0
	s_addc_u32 s5, s5, s1
	v_mad_u64_u32 v[2:3], s[0:1], v0, s16, v[0:1]
	v_ashrrev_i32_e32 v1, 31, v0
	v_lshlrev_b64 v[0:1], 3, v[0:1]
	v_mov_b32_e32 v3, s5
	v_add_co_u32_e32 v0, vcc, s4, v0
	v_addc_co_u32_e32 v1, vcc, v3, v1, vcc
	global_load_dwordx2 v[0:1], v[0:1], off
	v_ashrrev_i32_e32 v3, 31, v2
	v_lshlrev_b64 v[2:3], 3, v[2:3]
	v_mov_b32_e32 v4, s3
	v_add_co_u32_e32 v2, vcc, s2, v2
	v_addc_co_u32_e32 v3, vcc, v4, v3, vcc
	s_waitcnt vmcnt(0)
	global_store_dwordx2 v[2:3], v[0:1], off
.LBB74_2:
	s_endpgm
	.section	.rodata,"a",@progbits
	.p2align	6, 0x0
	.amdhsa_kernel _ZN9rocsolver6v33100L12restore_diagIdidPKPdEEvPT1_llT2_lT0_lS8_
		.amdhsa_group_segment_fixed_size 0
		.amdhsa_private_segment_fixed_size 0
		.amdhsa_kernarg_size 320
		.amdhsa_user_sgpr_count 6
		.amdhsa_user_sgpr_private_segment_buffer 1
		.amdhsa_user_sgpr_dispatch_ptr 0
		.amdhsa_user_sgpr_queue_ptr 0
		.amdhsa_user_sgpr_kernarg_segment_ptr 1
		.amdhsa_user_sgpr_dispatch_id 0
		.amdhsa_user_sgpr_flat_scratch_init 0
		.amdhsa_user_sgpr_kernarg_preload_length 0
		.amdhsa_user_sgpr_kernarg_preload_offset 0
		.amdhsa_user_sgpr_private_segment_size 0
		.amdhsa_uses_dynamic_stack 0
		.amdhsa_system_sgpr_private_segment_wavefront_offset 0
		.amdhsa_system_sgpr_workgroup_id_x 1
		.amdhsa_system_sgpr_workgroup_id_y 1
		.amdhsa_system_sgpr_workgroup_id_z 0
		.amdhsa_system_sgpr_workgroup_info 0
		.amdhsa_system_vgpr_workitem_id 1
		.amdhsa_next_free_vgpr 5
		.amdhsa_next_free_sgpr 17
		.amdhsa_accum_offset 8
		.amdhsa_reserve_vcc 1
		.amdhsa_reserve_flat_scratch 0
		.amdhsa_float_round_mode_32 0
		.amdhsa_float_round_mode_16_64 0
		.amdhsa_float_denorm_mode_32 3
		.amdhsa_float_denorm_mode_16_64 3
		.amdhsa_dx10_clamp 1
		.amdhsa_ieee_mode 1
		.amdhsa_fp16_overflow 0
		.amdhsa_tg_split 0
		.amdhsa_exception_fp_ieee_invalid_op 0
		.amdhsa_exception_fp_denorm_src 0
		.amdhsa_exception_fp_ieee_div_zero 0
		.amdhsa_exception_fp_ieee_overflow 0
		.amdhsa_exception_fp_ieee_underflow 0
		.amdhsa_exception_fp_ieee_inexact 0
		.amdhsa_exception_int_div_zero 0
	.end_amdhsa_kernel
	.section	.text._ZN9rocsolver6v33100L12restore_diagIdidPKPdEEvPT1_llT2_lT0_lS8_,"axG",@progbits,_ZN9rocsolver6v33100L12restore_diagIdidPKPdEEvPT1_llT2_lT0_lS8_,comdat
.Lfunc_end74:
	.size	_ZN9rocsolver6v33100L12restore_diagIdidPKPdEEvPT1_llT2_lT0_lS8_, .Lfunc_end74-_ZN9rocsolver6v33100L12restore_diagIdidPKPdEEvPT1_llT2_lT0_lS8_
                                        ; -- End function
	.section	.AMDGPU.csdata,"",@progbits
; Kernel info:
; codeLenInByte = 248
; NumSgprs: 21
; NumVgprs: 5
; NumAgprs: 0
; TotalNumVgprs: 5
; ScratchSize: 0
; MemoryBound: 0
; FloatMode: 240
; IeeeMode: 1
; LDSByteSize: 0 bytes/workgroup (compile time only)
; SGPRBlocks: 2
; VGPRBlocks: 0
; NumSGPRsForWavesPerEU: 21
; NumVGPRsForWavesPerEU: 5
; AccumOffset: 8
; Occupancy: 8
; WaveLimiterHint : 1
; COMPUTE_PGM_RSRC2:SCRATCH_EN: 0
; COMPUTE_PGM_RSRC2:USER_SGPR: 6
; COMPUTE_PGM_RSRC2:TRAP_HANDLER: 0
; COMPUTE_PGM_RSRC2:TGID_X_EN: 1
; COMPUTE_PGM_RSRC2:TGID_Y_EN: 1
; COMPUTE_PGM_RSRC2:TGID_Z_EN: 0
; COMPUTE_PGM_RSRC2:TIDIG_COMP_CNT: 1
; COMPUTE_PGM_RSRC3_GFX90A:ACCUM_OFFSET: 1
; COMPUTE_PGM_RSRC3_GFX90A:TG_SPLIT: 0
	.section	.text._ZN9rocsolver6v33100L14set_triangularIdPKPdTnNSt9enable_ifIXnt18rocblas_is_complexIT_EEiE4typeELi0EEEviiT0_iilPS6_lSA_il15rocblas_direct_15rocblas_storev_b,"axG",@progbits,_ZN9rocsolver6v33100L14set_triangularIdPKPdTnNSt9enable_ifIXnt18rocblas_is_complexIT_EEiE4typeELi0EEEviiT0_iilPS6_lSA_il15rocblas_direct_15rocblas_storev_b,comdat
	.globl	_ZN9rocsolver6v33100L14set_triangularIdPKPdTnNSt9enable_ifIXnt18rocblas_is_complexIT_EEiE4typeELi0EEEviiT0_iilPS6_lSA_il15rocblas_direct_15rocblas_storev_b ; -- Begin function _ZN9rocsolver6v33100L14set_triangularIdPKPdTnNSt9enable_ifIXnt18rocblas_is_complexIT_EEiE4typeELi0EEEviiT0_iilPS6_lSA_il15rocblas_direct_15rocblas_storev_b
	.p2align	8
	.type	_ZN9rocsolver6v33100L14set_triangularIdPKPdTnNSt9enable_ifIXnt18rocblas_is_complexIT_EEiE4typeELi0EEEviiT0_iilPS6_lSA_il15rocblas_direct_15rocblas_storev_b,@function
_ZN9rocsolver6v33100L14set_triangularIdPKPdTnNSt9enable_ifIXnt18rocblas_is_complexIT_EEiE4typeELi0EEEviiT0_iilPS6_lSA_il15rocblas_direct_15rocblas_storev_b: ; @_ZN9rocsolver6v33100L14set_triangularIdPKPdTnNSt9enable_ifIXnt18rocblas_is_complexIT_EEiE4typeELi0EEEviiT0_iilPS6_lSA_il15rocblas_direct_15rocblas_storev_b
; %bb.0:
	s_load_dword s0, s[4:5], 0x64
	s_load_dwordx2 s[12:13], s[4:5], 0x0
	v_and_b32_e32 v1, 0x3ff, v0
	v_bfe_u32 v0, v0, 10, 10
	s_waitcnt lgkmcnt(0)
	s_lshr_b32 s1, s0, 16
	s_and_b32 s0, s0, 0xffff
	s_mul_i32 s6, s6, s0
	s_mul_i32 s7, s7, s1
	v_add_u32_e32 v2, s6, v1
	v_add_u32_e32 v0, s7, v0
	v_max_u32_e32 v1, v2, v0
	v_cmp_gt_u32_e32 vcc, s13, v1
	s_and_saveexec_b64 s[0:1], vcc
	s_cbranch_execz .LBB75_36
; %bb.1:
	s_load_dwordx4 s[0:3], s[4:5], 0x20
	s_load_dwordx2 s[6:7], s[4:5], 0x30
	s_load_dword s14, s[4:5], 0x38
	s_load_dwordx2 s[10:11], s[4:5], 0x40
	v_cmp_ne_u32_e32 vcc, v0, v2
	s_waitcnt lgkmcnt(0)
	s_mul_i32 s3, s8, s3
	s_mul_hi_u32 s9, s8, s2
	s_add_i32 s3, s9, s3
	s_mul_i32 s2, s8, s2
	s_lshl_b64 s[2:3], s[2:3], 3
	s_add_u32 s17, s0, s2
	s_addc_u32 s18, s1, s3
	s_mul_i32 s0, s8, s11
	s_mul_hi_u32 s1, s8, s10
	s_add_i32 s1, s1, s0
	s_mul_i32 s0, s8, s10
	s_lshl_b64 s[0:1], s[0:1], 3
	s_add_u32 s15, s6, s0
	s_addc_u32 s16, s7, s1
	s_and_saveexec_b64 s[0:1], vcc
	s_xor_b64 s[10:11], exec, s[0:1]
	s_cbranch_execz .LBB75_34
; %bb.2:
	s_load_dwordx4 s[0:3], s[4:5], 0x8
	s_mov_b32 s9, 0
	s_lshl_b64 s[8:9], s[8:9], 3
	s_load_dwordx4 s[4:7], s[4:5], 0x48
	v_mov_b32_e32 v3, 0
	s_waitcnt lgkmcnt(0)
	s_ashr_i32 s21, s2, 31
	s_add_u32 s0, s0, s8
	s_addc_u32 s1, s1, s9
	s_load_dwordx2 s[0:1], s[0:1], 0x0
	s_mov_b32 s20, s2
	s_lshl_b64 s[8:9], s[20:21], 3
	s_waitcnt lgkmcnt(0)
	s_add_u32 s2, s0, s8
	s_addc_u32 s19, s1, s9
	s_bitcmp1_b32 s6, 0
	s_cselect_b64 s[0:1], -1, 0
	s_xor_b64 s[0:1], s[0:1], -1
	s_mov_b64 s[6:7], -1
	s_cmpk_lg_i32 s4, 0xab
	s_cbranch_scc0 .LBB75_18
; %bb.3:
	v_cmp_le_u32_e32 vcc, v0, v2
	s_and_saveexec_b64 s[6:7], vcc
	s_xor_b64 s[6:7], exec, s[6:7]
	s_cbranch_execz .LBB75_5
; %bb.4:
	v_mad_u64_u32 v[4:5], s[8:9], v2, s14, 0
	s_ashr_i32 s4, s14, 31
	v_mov_b32_e32 v6, v5
	v_mad_u64_u32 v[6:7], s[8:9], v2, s4, v[6:7]
	v_mov_b32_e32 v5, v6
	v_lshlrev_b64 v[4:5], 3, v[4:5]
	v_mov_b32_e32 v1, 0
	v_mov_b32_e32 v6, s16
	v_add_co_u32_e32 v7, vcc, s15, v4
	v_addc_co_u32_e32 v6, vcc, v6, v5, vcc
	v_lshlrev_b64 v[4:5], 3, v[0:1]
	v_add_co_u32_e32 v4, vcc, v7, v4
	v_addc_co_u32_e32 v5, vcc, v6, v5, vcc
	v_mov_b32_e32 v6, v1
	v_mov_b32_e32 v7, v1
	global_store_dwordx2 v[4:5], v[6:7], off
.LBB75_5:
	s_andn2_saveexec_b64 s[6:7], s[6:7]
	s_cbranch_execz .LBB75_17
; %bb.6:
	v_lshlrev_b64 v[4:5], 3, v[2:3]
	v_mov_b32_e32 v1, s18
	v_add_co_u32_e32 v4, vcc, s17, v4
	v_addc_co_u32_e32 v5, vcc, v1, v5, vcc
	global_load_dwordx2 v[4:5], v[4:5], off
	s_cmpk_lg_i32 s5, 0xb5
	s_mov_b64 s[8:9], -1
	s_cbranch_scc0 .LBB75_12
; %bb.7:
	v_mov_b32_e32 v1, 0
	s_andn2_b64 vcc, exec, s[0:1]
	v_lshlrev_b64 v[6:7], 3, v[0:1]
	s_cbranch_vccnz .LBB75_9
; %bb.8:
	s_sub_i32 s4, s12, s13
	v_add_u32_e32 v1, s4, v2
	v_mad_u64_u32 v[8:9], s[8:9], v1, s3, 0
	s_ashr_i32 s4, s3, 31
	v_mov_b32_e32 v10, v9
	v_mad_u64_u32 v[10:11], s[8:9], v1, s4, v[10:11]
	v_mov_b32_e32 v9, v10
	v_lshlrev_b64 v[8:9], 3, v[8:9]
	v_mov_b32_e32 v1, s19
	v_add_co_u32_e32 v8, vcc, s2, v8
	v_addc_co_u32_e32 v1, vcc, v1, v9, vcc
	v_add_co_u32_e32 v8, vcc, v8, v6
	v_addc_co_u32_e32 v9, vcc, v1, v7, vcc
	global_load_dwordx2 v[8:9], v[8:9], off
	v_mad_u64_u32 v[10:11], s[8:9], v2, s14, 0
	s_ashr_i32 s4, s14, 31
	v_mov_b32_e32 v12, v11
	v_mad_u64_u32 v[12:13], s[8:9], v2, s4, v[12:13]
	v_mov_b32_e32 v11, v12
	v_lshlrev_b64 v[10:11], 3, v[10:11]
	v_mov_b32_e32 v1, s16
	v_add_co_u32_e32 v10, vcc, s15, v10
	v_addc_co_u32_e32 v1, vcc, v1, v11, vcc
	v_add_co_u32_e32 v10, vcc, v10, v6
	v_addc_co_u32_e32 v11, vcc, v1, v7, vcc
	s_mov_b64 s[8:9], 0
	s_waitcnt vmcnt(0)
	v_mul_f64 v[8:9], v[8:9], -v[4:5]
	global_store_dwordx2 v[10:11], v[8:9], off
.LBB75_9:
	s_andn2_b64 vcc, exec, s[8:9]
	s_cbranch_vccnz .LBB75_11
; %bb.10:
	v_mad_u64_u32 v[8:9], s[8:9], v2, s14, 0
	s_ashr_i32 s4, s14, 31
	v_mov_b32_e32 v10, v9
	v_mad_u64_u32 v[10:11], s[8:9], v2, s4, v[10:11]
	v_mov_b32_e32 v9, v10
	v_lshlrev_b64 v[8:9], 3, v[8:9]
	v_mov_b32_e32 v1, s16
	v_add_co_u32_e32 v8, vcc, s15, v8
	v_addc_co_u32_e32 v1, vcc, v1, v9, vcc
	v_add_co_u32_e32 v8, vcc, v8, v6
	s_sub_i32 s4, s12, s13
	v_addc_co_u32_e32 v9, vcc, v1, v7, vcc
	v_add_u32_e32 v1, s4, v2
	v_mad_u64_u32 v[12:13], s[8:9], v1, s3, 0
	s_ashr_i32 s4, s3, 31
	v_mov_b32_e32 v14, v13
	v_mad_u64_u32 v[14:15], s[8:9], v1, s4, v[14:15]
	v_mov_b32_e32 v13, v14
	v_lshlrev_b64 v[12:13], 3, v[12:13]
	v_mov_b32_e32 v1, s19
	v_add_co_u32_e32 v12, vcc, s2, v12
	v_addc_co_u32_e32 v1, vcc, v1, v13, vcc
	v_add_co_u32_e32 v6, vcc, v12, v6
	v_addc_co_u32_e32 v7, vcc, v1, v7, vcc
	global_load_dwordx2 v[10:11], v[8:9], off
	s_nop 0
	global_load_dwordx2 v[6:7], v[6:7], off
	s_waitcnt vmcnt(0)
	v_add_f64 v[6:7], v[10:11], v[6:7]
	v_mul_f64 v[6:7], v[6:7], -v[4:5]
	global_store_dwordx2 v[8:9], v[6:7], off
.LBB75_11:
	s_mov_b64 s[8:9], 0
.LBB75_12:
	s_andn2_b64 vcc, exec, s[8:9]
	s_cbranch_vccnz .LBB75_17
; %bb.13:
	s_andn2_b64 vcc, exec, s[0:1]
	s_mov_b64 s[8:9], -1
	s_cbranch_vccnz .LBB75_15
; %bb.14:
	s_sub_i32 s4, s12, s13
	v_mad_u64_u32 v[8:9], s[8:9], v0, s3, 0
	v_add_u32_e32 v6, s4, v2
	s_ashr_i32 s4, s3, 31
	v_mov_b32_e32 v10, v9
	v_mad_u64_u32 v[10:11], s[8:9], v0, s4, v[10:11]
	v_mov_b32_e32 v9, v10
	v_lshlrev_b64 v[8:9], 3, v[8:9]
	v_mov_b32_e32 v7, 0
	v_mov_b32_e32 v1, s19
	v_add_co_u32_e32 v10, vcc, s2, v8
	v_addc_co_u32_e32 v1, vcc, v1, v9, vcc
	v_lshlrev_b64 v[8:9], 3, v[6:7]
	v_add_co_u32_e32 v8, vcc, v10, v8
	v_addc_co_u32_e32 v9, vcc, v1, v9, vcc
	global_load_dwordx2 v[8:9], v[8:9], off
	v_mad_u64_u32 v[10:11], s[8:9], v2, s14, 0
	s_ashr_i32 s4, s14, 31
	v_mov_b32_e32 v6, v11
	v_mov_b32_e32 v1, v7
	v_mad_u64_u32 v[6:7], s[8:9], v2, s4, v[6:7]
	v_mov_b32_e32 v11, v6
	v_lshlrev_b64 v[6:7], 3, v[10:11]
	v_mov_b32_e32 v14, s16
	v_lshlrev_b64 v[12:13], 3, v[0:1]
	v_add_co_u32_e32 v1, vcc, s15, v6
	v_addc_co_u32_e32 v7, vcc, v14, v7, vcc
	v_add_co_u32_e32 v6, vcc, v1, v12
	v_addc_co_u32_e32 v7, vcc, v7, v13, vcc
	s_mov_b64 s[8:9], 0
	s_waitcnt vmcnt(0)
	v_mul_f64 v[8:9], v[8:9], -v[4:5]
	global_store_dwordx2 v[6:7], v[8:9], off
.LBB75_15:
	s_andn2_b64 vcc, exec, s[8:9]
	s_cbranch_vccnz .LBB75_17
; %bb.16:
	v_mad_u64_u32 v[6:7], s[8:9], v2, s14, 0
	s_ashr_i32 s4, s14, 31
	v_mov_b32_e32 v8, v7
	v_mad_u64_u32 v[8:9], s[8:9], v2, s4, v[8:9]
	v_mov_b32_e32 v7, v8
	v_lshlrev_b64 v[6:7], 3, v[6:7]
	s_sub_i32 s4, s12, s13
	v_mad_u64_u32 v[12:13], s[8:9], v0, s3, 0
	v_mov_b32_e32 v1, 0
	v_mov_b32_e32 v8, s16
	v_add_co_u32_e32 v9, vcc, s15, v6
	v_add_u32_e32 v10, s4, v2
	s_ashr_i32 s4, s3, 31
	v_mov_b32_e32 v14, v13
	v_addc_co_u32_e32 v8, vcc, v8, v7, vcc
	v_lshlrev_b64 v[6:7], 3, v[0:1]
	v_mad_u64_u32 v[14:15], s[8:9], v0, s4, v[14:15]
	v_add_co_u32_e32 v6, vcc, v9, v6
	v_mov_b32_e32 v13, v14
	v_addc_co_u32_e32 v7, vcc, v8, v7, vcc
	v_lshlrev_b64 v[12:13], 3, v[12:13]
	v_mov_b32_e32 v11, v1
	v_mov_b32_e32 v1, s19
	v_add_co_u32_e32 v12, vcc, s2, v12
	v_addc_co_u32_e32 v1, vcc, v1, v13, vcc
	v_lshlrev_b64 v[10:11], 3, v[10:11]
	v_add_co_u32_e32 v10, vcc, v12, v10
	v_addc_co_u32_e32 v11, vcc, v1, v11, vcc
	global_load_dwordx2 v[8:9], v[6:7], off
	s_nop 0
	global_load_dwordx2 v[10:11], v[10:11], off
	s_waitcnt vmcnt(0)
	v_add_f64 v[8:9], v[8:9], v[10:11]
	v_mul_f64 v[4:5], v[8:9], -v[4:5]
	global_store_dwordx2 v[6:7], v[4:5], off
.LBB75_17:
	s_or_b64 exec, exec, s[6:7]
	s_mov_b64 s[6:7], 0
.LBB75_18:
	s_andn2_b64 vcc, exec, s[6:7]
	s_cbranch_vccnz .LBB75_34
; %bb.19:
	v_cmp_ge_u32_e32 vcc, v0, v2
	s_and_saveexec_b64 s[6:7], vcc
	s_xor_b64 s[6:7], exec, s[6:7]
	s_cbranch_execz .LBB75_21
; %bb.20:
	s_waitcnt vmcnt(0)
	v_mad_u64_u32 v[4:5], s[8:9], v2, s14, 0
	s_ashr_i32 s4, s14, 31
	v_mov_b32_e32 v6, v5
	v_mad_u64_u32 v[2:3], s[8:9], v2, s4, v[6:7]
	v_mov_b32_e32 v5, v2
	v_lshlrev_b64 v[2:3], 3, v[4:5]
	v_mov_b32_e32 v1, 0
	v_mov_b32_e32 v4, s16
	v_add_co_u32_e32 v5, vcc, s15, v2
	v_addc_co_u32_e32 v4, vcc, v4, v3, vcc
	v_lshlrev_b64 v[2:3], 3, v[0:1]
	v_add_co_u32_e32 v2, vcc, v5, v2
	v_addc_co_u32_e32 v3, vcc, v4, v3, vcc
	v_mov_b32_e32 v0, v1
	global_store_dwordx2 v[2:3], v[0:1], off
                                        ; implicit-def: $vgpr2_vgpr3
                                        ; implicit-def: $vgpr0
.LBB75_21:
	s_andn2_saveexec_b64 s[6:7], s[6:7]
	s_cbranch_execz .LBB75_33
; %bb.22:
	s_waitcnt vmcnt(0)
	v_lshlrev_b64 v[4:5], 3, v[2:3]
	v_mov_b32_e32 v1, s18
	v_add_co_u32_e32 v6, vcc, s17, v4
	v_addc_co_u32_e32 v7, vcc, v1, v5, vcc
	global_load_dwordx2 v[6:7], v[6:7], off
	v_cndmask_b32_e64 v3, 0, 1, s[0:1]
	s_cmpk_lg_i32 s5, 0xb5
	v_mov_b32_e32 v1, 0
	s_mov_b64 s[4:5], -1
	v_cmp_ne_u32_e64 s[0:1], 1, v3
	s_cbranch_scc0 .LBB75_28
; %bb.23:
	s_and_b64 vcc, exec, s[0:1]
	s_cbranch_vccnz .LBB75_25
; %bb.24:
	v_mad_u64_u32 v[8:9], s[4:5], v2, s3, 0
	s_ashr_i32 s8, s3, 31
	v_mov_b32_e32 v10, v9
	v_mad_u64_u32 v[10:11], s[4:5], v2, s8, v[10:11]
	v_mov_b32_e32 v9, v10
	v_lshlrev_b64 v[8:9], 3, v[8:9]
	v_mov_b32_e32 v3, s19
	v_add_co_u32_e32 v10, vcc, s2, v8
	v_addc_co_u32_e32 v3, vcc, v3, v9, vcc
	v_lshlrev_b64 v[8:9], 3, v[0:1]
	v_add_co_u32_e32 v10, vcc, v10, v8
	v_addc_co_u32_e32 v11, vcc, v3, v9, vcc
	global_load_dwordx2 v[10:11], v[10:11], off
	v_mad_u64_u32 v[12:13], s[4:5], v2, s14, 0
	s_ashr_i32 s8, s14, 31
	v_mov_b32_e32 v14, v13
	v_mad_u64_u32 v[14:15], s[4:5], v2, s8, v[14:15]
	v_mov_b32_e32 v13, v14
	v_lshlrev_b64 v[12:13], 3, v[12:13]
	v_mov_b32_e32 v3, s16
	v_add_co_u32_e32 v12, vcc, s15, v12
	v_addc_co_u32_e32 v3, vcc, v3, v13, vcc
	v_add_co_u32_e32 v8, vcc, v12, v8
	v_addc_co_u32_e32 v9, vcc, v3, v9, vcc
	s_mov_b64 s[4:5], 0
	s_waitcnt vmcnt(0)
	v_mul_f64 v[10:11], v[10:11], -v[6:7]
	global_store_dwordx2 v[8:9], v[10:11], off
.LBB75_25:
	s_andn2_b64 vcc, exec, s[4:5]
	s_cbranch_vccnz .LBB75_27
; %bb.26:
	v_mad_u64_u32 v[8:9], s[4:5], v2, s14, 0
	s_ashr_i32 s8, s14, 31
	v_mov_b32_e32 v10, v9
	v_mad_u64_u32 v[10:11], s[4:5], v2, s8, v[10:11]
	v_mov_b32_e32 v9, v10
	v_lshlrev_b64 v[8:9], 3, v[8:9]
	v_mad_u64_u32 v[14:15], s[4:5], v2, s3, 0
	v_mov_b32_e32 v3, s16
	v_add_co_u32_e32 v10, vcc, s15, v8
	s_ashr_i32 s8, s3, 31
	v_mov_b32_e32 v16, v15
	v_addc_co_u32_e32 v3, vcc, v3, v9, vcc
	v_lshlrev_b64 v[8:9], 3, v[0:1]
	v_mad_u64_u32 v[16:17], s[4:5], v2, s8, v[16:17]
	v_add_co_u32_e32 v10, vcc, v10, v8
	v_mov_b32_e32 v15, v16
	v_addc_co_u32_e32 v11, vcc, v3, v9, vcc
	v_lshlrev_b64 v[14:15], 3, v[14:15]
	v_mov_b32_e32 v3, s19
	v_add_co_u32_e32 v14, vcc, s2, v14
	v_addc_co_u32_e32 v3, vcc, v3, v15, vcc
	v_add_co_u32_e32 v8, vcc, v14, v8
	v_addc_co_u32_e32 v9, vcc, v3, v9, vcc
	global_load_dwordx2 v[12:13], v[10:11], off
	s_nop 0
	global_load_dwordx2 v[8:9], v[8:9], off
	s_waitcnt vmcnt(0)
	v_add_f64 v[8:9], v[12:13], v[8:9]
	v_mul_f64 v[8:9], v[8:9], -v[6:7]
	global_store_dwordx2 v[10:11], v[8:9], off
.LBB75_27:
	s_mov_b64 s[4:5], 0
.LBB75_28:
	s_andn2_b64 vcc, exec, s[4:5]
	s_cbranch_vccnz .LBB75_33
; %bb.29:
	s_mov_b64 s[4:5], -1
	s_and_b64 vcc, exec, s[0:1]
	v_lshlrev_b64 v[8:9], 3, v[0:1]
	s_cbranch_vccnz .LBB75_31
; %bb.30:
	v_mad_u64_u32 v[10:11], s[0:1], v0, s3, 0
	s_ashr_i32 s4, s3, 31
	v_mov_b32_e32 v12, v11
	v_mad_u64_u32 v[12:13], s[0:1], v0, s4, v[12:13]
	v_mov_b32_e32 v11, v12
	v_lshlrev_b64 v[10:11], 3, v[10:11]
	v_mov_b32_e32 v1, s19
	v_add_co_u32_e32 v3, vcc, s2, v10
	v_addc_co_u32_e32 v1, vcc, v1, v11, vcc
	v_add_co_u32_e32 v10, vcc, v3, v4
	v_addc_co_u32_e32 v11, vcc, v1, v5, vcc
	global_load_dwordx2 v[10:11], v[10:11], off
	v_mad_u64_u32 v[12:13], s[0:1], v2, s14, 0
	s_ashr_i32 s4, s14, 31
	v_mov_b32_e32 v14, v13
	v_mad_u64_u32 v[14:15], s[0:1], v2, s4, v[14:15]
	v_mov_b32_e32 v13, v14
	v_lshlrev_b64 v[12:13], 3, v[12:13]
	v_mov_b32_e32 v1, s16
	v_add_co_u32_e32 v3, vcc, s15, v12
	v_addc_co_u32_e32 v1, vcc, v1, v13, vcc
	v_add_co_u32_e32 v12, vcc, v3, v8
	v_addc_co_u32_e32 v13, vcc, v1, v9, vcc
	s_mov_b64 s[4:5], 0
	s_waitcnt vmcnt(0)
	v_mul_f64 v[10:11], v[10:11], -v[6:7]
	global_store_dwordx2 v[12:13], v[10:11], off
.LBB75_31:
	s_andn2_b64 vcc, exec, s[4:5]
	s_cbranch_vccnz .LBB75_33
; %bb.32:
	v_mad_u64_u32 v[10:11], s[0:1], v2, s14, 0
	s_ashr_i32 s4, s14, 31
	v_mov_b32_e32 v12, v11
	v_mad_u64_u32 v[2:3], s[0:1], v2, s4, v[12:13]
	v_mov_b32_e32 v11, v2
	v_lshlrev_b64 v[2:3], 3, v[10:11]
	v_mov_b32_e32 v1, s16
	v_add_co_u32_e32 v2, vcc, s15, v2
	v_addc_co_u32_e32 v1, vcc, v1, v3, vcc
	v_mad_u64_u32 v[10:11], s[0:1], v0, s3, 0
	v_add_co_u32_e32 v2, vcc, v2, v8
	s_ashr_i32 s4, s3, 31
	v_mov_b32_e32 v12, v11
	v_addc_co_u32_e32 v3, vcc, v1, v9, vcc
	v_mad_u64_u32 v[0:1], s[0:1], v0, s4, v[12:13]
	v_mov_b32_e32 v11, v0
	v_lshlrev_b64 v[0:1], 3, v[10:11]
	v_mov_b32_e32 v10, s19
	v_add_co_u32_e32 v0, vcc, s2, v0
	v_addc_co_u32_e32 v1, vcc, v10, v1, vcc
	v_add_co_u32_e32 v0, vcc, v0, v4
	v_addc_co_u32_e32 v1, vcc, v1, v5, vcc
	global_load_dwordx2 v[8:9], v[2:3], off
	s_nop 0
	global_load_dwordx2 v[0:1], v[0:1], off
	s_waitcnt vmcnt(0)
	v_add_f64 v[0:1], v[8:9], v[0:1]
	v_mul_f64 v[0:1], v[0:1], -v[6:7]
	global_store_dwordx2 v[2:3], v[0:1], off
.LBB75_33:
	s_or_b64 exec, exec, s[6:7]
                                        ; implicit-def: $vgpr2
.LBB75_34:
	s_andn2_saveexec_b64 s[0:1], s[10:11]
	s_cbranch_execz .LBB75_36
; %bb.35:
	v_mov_b32_e32 v3, 0
	v_lshlrev_b64 v[0:1], 3, v[2:3]
	v_mov_b32_e32 v3, s18
	s_waitcnt vmcnt(0)
	v_add_co_u32_e32 v4, vcc, s17, v0
	v_addc_co_u32_e32 v5, vcc, v3, v1, vcc
	global_load_dwordx2 v[4:5], v[4:5], off
	v_mad_u64_u32 v[6:7], s[0:1], v2, s14, 0
	s_ashr_i32 s2, s14, 31
	v_mov_b32_e32 v8, v7
	v_mad_u64_u32 v[2:3], s[0:1], v2, s2, v[8:9]
	v_mov_b32_e32 v7, v2
	v_lshlrev_b64 v[2:3], 3, v[6:7]
	v_mov_b32_e32 v6, s16
	v_add_co_u32_e32 v2, vcc, s15, v2
	v_addc_co_u32_e32 v3, vcc, v6, v3, vcc
	v_add_co_u32_e32 v0, vcc, v2, v0
	v_addc_co_u32_e32 v1, vcc, v3, v1, vcc
	s_waitcnt vmcnt(0)
	global_store_dwordx2 v[0:1], v[4:5], off
.LBB75_36:
	s_endpgm
	.section	.rodata,"a",@progbits
	.p2align	6, 0x0
	.amdhsa_kernel _ZN9rocsolver6v33100L14set_triangularIdPKPdTnNSt9enable_ifIXnt18rocblas_is_complexIT_EEiE4typeELi0EEEviiT0_iilPS6_lSA_il15rocblas_direct_15rocblas_storev_b
		.amdhsa_group_segment_fixed_size 0
		.amdhsa_private_segment_fixed_size 0
		.amdhsa_kernarg_size 344
		.amdhsa_user_sgpr_count 6
		.amdhsa_user_sgpr_private_segment_buffer 1
		.amdhsa_user_sgpr_dispatch_ptr 0
		.amdhsa_user_sgpr_queue_ptr 0
		.amdhsa_user_sgpr_kernarg_segment_ptr 1
		.amdhsa_user_sgpr_dispatch_id 0
		.amdhsa_user_sgpr_flat_scratch_init 0
		.amdhsa_user_sgpr_kernarg_preload_length 0
		.amdhsa_user_sgpr_kernarg_preload_offset 0
		.amdhsa_user_sgpr_private_segment_size 0
		.amdhsa_uses_dynamic_stack 0
		.amdhsa_system_sgpr_private_segment_wavefront_offset 0
		.amdhsa_system_sgpr_workgroup_id_x 1
		.amdhsa_system_sgpr_workgroup_id_y 1
		.amdhsa_system_sgpr_workgroup_id_z 1
		.amdhsa_system_sgpr_workgroup_info 0
		.amdhsa_system_vgpr_workitem_id 1
		.amdhsa_next_free_vgpr 18
		.amdhsa_next_free_sgpr 22
		.amdhsa_accum_offset 20
		.amdhsa_reserve_vcc 1
		.amdhsa_reserve_flat_scratch 0
		.amdhsa_float_round_mode_32 0
		.amdhsa_float_round_mode_16_64 0
		.amdhsa_float_denorm_mode_32 3
		.amdhsa_float_denorm_mode_16_64 3
		.amdhsa_dx10_clamp 1
		.amdhsa_ieee_mode 1
		.amdhsa_fp16_overflow 0
		.amdhsa_tg_split 0
		.amdhsa_exception_fp_ieee_invalid_op 0
		.amdhsa_exception_fp_denorm_src 0
		.amdhsa_exception_fp_ieee_div_zero 0
		.amdhsa_exception_fp_ieee_overflow 0
		.amdhsa_exception_fp_ieee_underflow 0
		.amdhsa_exception_fp_ieee_inexact 0
		.amdhsa_exception_int_div_zero 0
	.end_amdhsa_kernel
	.section	.text._ZN9rocsolver6v33100L14set_triangularIdPKPdTnNSt9enable_ifIXnt18rocblas_is_complexIT_EEiE4typeELi0EEEviiT0_iilPS6_lSA_il15rocblas_direct_15rocblas_storev_b,"axG",@progbits,_ZN9rocsolver6v33100L14set_triangularIdPKPdTnNSt9enable_ifIXnt18rocblas_is_complexIT_EEiE4typeELi0EEEviiT0_iilPS6_lSA_il15rocblas_direct_15rocblas_storev_b,comdat
.Lfunc_end75:
	.size	_ZN9rocsolver6v33100L14set_triangularIdPKPdTnNSt9enable_ifIXnt18rocblas_is_complexIT_EEiE4typeELi0EEEviiT0_iilPS6_lSA_il15rocblas_direct_15rocblas_storev_b, .Lfunc_end75-_ZN9rocsolver6v33100L14set_triangularIdPKPdTnNSt9enable_ifIXnt18rocblas_is_complexIT_EEiE4typeELi0EEEviiT0_iilPS6_lSA_il15rocblas_direct_15rocblas_storev_b
                                        ; -- End function
	.section	.AMDGPU.csdata,"",@progbits
; Kernel info:
; codeLenInByte = 2168
; NumSgprs: 26
; NumVgprs: 18
; NumAgprs: 0
; TotalNumVgprs: 18
; ScratchSize: 0
; MemoryBound: 0
; FloatMode: 240
; IeeeMode: 1
; LDSByteSize: 0 bytes/workgroup (compile time only)
; SGPRBlocks: 3
; VGPRBlocks: 2
; NumSGPRsForWavesPerEU: 26
; NumVGPRsForWavesPerEU: 18
; AccumOffset: 20
; Occupancy: 8
; WaveLimiterHint : 1
; COMPUTE_PGM_RSRC2:SCRATCH_EN: 0
; COMPUTE_PGM_RSRC2:USER_SGPR: 6
; COMPUTE_PGM_RSRC2:TRAP_HANDLER: 0
; COMPUTE_PGM_RSRC2:TGID_X_EN: 1
; COMPUTE_PGM_RSRC2:TGID_Y_EN: 1
; COMPUTE_PGM_RSRC2:TGID_Z_EN: 1
; COMPUTE_PGM_RSRC2:TIDIG_COMP_CNT: 1
; COMPUTE_PGM_RSRC3_GFX90A:ACCUM_OFFSET: 4
; COMPUTE_PGM_RSRC3_GFX90A:TG_SPLIT: 0
	.section	.text._ZN9rocsolver6v33100L7set_tauIdEEviPT_l,"axG",@progbits,_ZN9rocsolver6v33100L7set_tauIdEEviPT_l,comdat
	.globl	_ZN9rocsolver6v33100L7set_tauIdEEviPT_l ; -- Begin function _ZN9rocsolver6v33100L7set_tauIdEEviPT_l
	.p2align	8
	.type	_ZN9rocsolver6v33100L7set_tauIdEEviPT_l,@function
_ZN9rocsolver6v33100L7set_tauIdEEviPT_l: ; @_ZN9rocsolver6v33100L7set_tauIdEEviPT_l
; %bb.0:
	s_load_dword s0, s[4:5], 0x24
	s_load_dword s1, s[4:5], 0x0
	s_waitcnt lgkmcnt(0)
	s_and_b32 s0, s0, 0xffff
	s_mul_i32 s6, s6, s0
	v_add_u32_e32 v0, s6, v0
	v_cmp_gt_u32_e32 vcc, s1, v0
	s_and_saveexec_b64 s[0:1], vcc
	s_cbranch_execz .LBB76_2
; %bb.1:
	s_load_dwordx4 s[0:3], s[4:5], 0x8
	v_mov_b32_e32 v1, 0
	v_lshlrev_b64 v[0:1], 3, v[0:1]
	s_waitcnt lgkmcnt(0)
	s_mul_i32 s3, s7, s3
	s_mul_hi_u32 s4, s7, s2
	s_mul_i32 s2, s7, s2
	s_add_i32 s3, s4, s3
	s_lshl_b64 s[2:3], s[2:3], 3
	s_add_u32 s0, s0, s2
	s_addc_u32 s1, s1, s3
	v_mov_b32_e32 v2, s1
	v_add_co_u32_e32 v0, vcc, s0, v0
	v_addc_co_u32_e32 v1, vcc, v2, v1, vcc
	global_load_dwordx2 v[2:3], v[0:1], off
	s_waitcnt vmcnt(0)
	v_xor_b32_e32 v3, 0x80000000, v3
	global_store_dwordx2 v[0:1], v[2:3], off
.LBB76_2:
	s_endpgm
	.section	.rodata,"a",@progbits
	.p2align	6, 0x0
	.amdhsa_kernel _ZN9rocsolver6v33100L7set_tauIdEEviPT_l
		.amdhsa_group_segment_fixed_size 0
		.amdhsa_private_segment_fixed_size 0
		.amdhsa_kernarg_size 280
		.amdhsa_user_sgpr_count 6
		.amdhsa_user_sgpr_private_segment_buffer 1
		.amdhsa_user_sgpr_dispatch_ptr 0
		.amdhsa_user_sgpr_queue_ptr 0
		.amdhsa_user_sgpr_kernarg_segment_ptr 1
		.amdhsa_user_sgpr_dispatch_id 0
		.amdhsa_user_sgpr_flat_scratch_init 0
		.amdhsa_user_sgpr_kernarg_preload_length 0
		.amdhsa_user_sgpr_kernarg_preload_offset 0
		.amdhsa_user_sgpr_private_segment_size 0
		.amdhsa_uses_dynamic_stack 0
		.amdhsa_system_sgpr_private_segment_wavefront_offset 0
		.amdhsa_system_sgpr_workgroup_id_x 1
		.amdhsa_system_sgpr_workgroup_id_y 1
		.amdhsa_system_sgpr_workgroup_id_z 0
		.amdhsa_system_sgpr_workgroup_info 0
		.amdhsa_system_vgpr_workitem_id 0
		.amdhsa_next_free_vgpr 4
		.amdhsa_next_free_sgpr 8
		.amdhsa_accum_offset 4
		.amdhsa_reserve_vcc 1
		.amdhsa_reserve_flat_scratch 0
		.amdhsa_float_round_mode_32 0
		.amdhsa_float_round_mode_16_64 0
		.amdhsa_float_denorm_mode_32 3
		.amdhsa_float_denorm_mode_16_64 3
		.amdhsa_dx10_clamp 1
		.amdhsa_ieee_mode 1
		.amdhsa_fp16_overflow 0
		.amdhsa_tg_split 0
		.amdhsa_exception_fp_ieee_invalid_op 0
		.amdhsa_exception_fp_denorm_src 0
		.amdhsa_exception_fp_ieee_div_zero 0
		.amdhsa_exception_fp_ieee_overflow 0
		.amdhsa_exception_fp_ieee_underflow 0
		.amdhsa_exception_fp_ieee_inexact 0
		.amdhsa_exception_int_div_zero 0
	.end_amdhsa_kernel
	.section	.text._ZN9rocsolver6v33100L7set_tauIdEEviPT_l,"axG",@progbits,_ZN9rocsolver6v33100L7set_tauIdEEviPT_l,comdat
.Lfunc_end76:
	.size	_ZN9rocsolver6v33100L7set_tauIdEEviPT_l, .Lfunc_end76-_ZN9rocsolver6v33100L7set_tauIdEEviPT_l
                                        ; -- End function
	.section	.AMDGPU.csdata,"",@progbits
; Kernel info:
; codeLenInByte = 144
; NumSgprs: 12
; NumVgprs: 4
; NumAgprs: 0
; TotalNumVgprs: 4
; ScratchSize: 0
; MemoryBound: 0
; FloatMode: 240
; IeeeMode: 1
; LDSByteSize: 0 bytes/workgroup (compile time only)
; SGPRBlocks: 1
; VGPRBlocks: 0
; NumSGPRsForWavesPerEU: 12
; NumVGPRsForWavesPerEU: 4
; AccumOffset: 4
; Occupancy: 8
; WaveLimiterHint : 0
; COMPUTE_PGM_RSRC2:SCRATCH_EN: 0
; COMPUTE_PGM_RSRC2:USER_SGPR: 6
; COMPUTE_PGM_RSRC2:TRAP_HANDLER: 0
; COMPUTE_PGM_RSRC2:TGID_X_EN: 1
; COMPUTE_PGM_RSRC2:TGID_Y_EN: 1
; COMPUTE_PGM_RSRC2:TGID_Z_EN: 0
; COMPUTE_PGM_RSRC2:TIDIG_COMP_CNT: 0
; COMPUTE_PGM_RSRC3_GFX90A:ACCUM_OFFSET: 0
; COMPUTE_PGM_RSRC3_GFX90A:TG_SPLIT: 0
	.section	.text._ZN9rocsolver6v33100L20larft_kernel_forwardIdPKPdEEv15rocblas_storev_iiT0_iilPT_lS8_il,"axG",@progbits,_ZN9rocsolver6v33100L20larft_kernel_forwardIdPKPdEEv15rocblas_storev_iiT0_iilPT_lS8_il,comdat
	.globl	_ZN9rocsolver6v33100L20larft_kernel_forwardIdPKPdEEv15rocblas_storev_iiT0_iilPT_lS8_il ; -- Begin function _ZN9rocsolver6v33100L20larft_kernel_forwardIdPKPdEEv15rocblas_storev_iiT0_iilPT_lS8_il
	.p2align	8
	.type	_ZN9rocsolver6v33100L20larft_kernel_forwardIdPKPdEEv15rocblas_storev_iiT0_iilPT_lS8_il,@function
_ZN9rocsolver6v33100L20larft_kernel_forwardIdPKPdEEv15rocblas_storev_iiT0_iilPT_lS8_il: ; @_ZN9rocsolver6v33100L20larft_kernel_forwardIdPKPdEEv15rocblas_storev_iiT0_iilPT_lS8_il
; %bb.0:
	s_mov_b32 s2, s7
	s_load_dword s33, s[4:5], 0x40
	s_load_dwordx2 s[0:1], s[4:5], 0x48
	s_load_dword s3, s[4:5], 0x5c
	s_load_dwordx4 s[8:11], s[4:5], 0x0
	s_load_dwordx2 s[6:7], s[4:5], 0x10
	s_load_dwordx4 s[12:15], s[4:5], 0x28
	s_load_dwordx2 s[16:17], s[4:5], 0x38
	s_waitcnt lgkmcnt(0)
	s_and_b32 s11, s3, 0xffff
	s_ashr_i32 s3, s2, 31
	s_lshl_b64 s[18:19], s[2:3], 3
	s_add_u32 s6, s6, s18
	s_addc_u32 s7, s7, s19
	s_mul_i32 s1, s2, s1
	s_mul_hi_u32 s18, s2, s0
	s_load_dwordx2 s[6:7], s[6:7], 0x0
	s_add_i32 s1, s18, s1
	s_mul_i32 s18, s3, s0
	s_add_i32 s1, s1, s18
	s_mul_i32 s0, s2, s0
	s_lshl_b64 s[0:1], s[0:1], 3
	s_add_u32 s34, s16, s0
	s_addc_u32 s35, s17, s1
	v_cmp_gt_i32_e64 s[0:1], s10, v0
	v_lshlrev_b32_e32 v1, 3, v0
	s_and_saveexec_b64 s[16:17], s[0:1]
	s_cbranch_execz .LBB77_5
; %bb.1:
	v_add_u32_e32 v2, 8, v1
	v_mul_lo_u32 v2, s10, v2
	s_lshl_b32 s22, s10, 3
	v_add3_u32 v6, v2, v1, 0
	s_add_i32 s23, s22, 8
	s_add_i32 s24, s33, 1
	v_mad_u64_u32 v[2:3], s[18:19], v0, s33, v[0:1]
	s_mul_i32 s23, s23, s11
	s_mul_i32 s24, s24, s11
	s_mov_b64 s[18:19], 0
	v_mov_b32_e32 v3, s35
	v_mov_b32_e32 v7, v0
.LBB77_2:                               ; =>This Loop Header: Depth=1
                                        ;     Child Loop BB77_3 Depth 2
	s_mov_b64 s[20:21], 0
	v_mov_b32_e32 v4, v2
	v_mov_b32_e32 v8, v6
	;; [unrolled: 1-line block ×3, first 2 shown]
.LBB77_3:                               ;   Parent Loop BB77_2 Depth=1
                                        ; =>  This Inner Loop Header: Depth=2
	v_ashrrev_i32_e32 v5, 31, v4
	v_lshlrev_b64 v[10:11], 3, v[4:5]
	v_add_co_u32_e32 v10, vcc, s34, v10
	v_addc_co_u32_e32 v11, vcc, v3, v11, vcc
	global_load_dwordx2 v[10:11], v[10:11], off
	v_add_u32_e32 v9, 1, v9
	v_cmp_le_i32_e32 vcc, s10, v9
	v_add_u32_e32 v4, s33, v4
	s_or_b64 s[20:21], vcc, s[20:21]
	s_waitcnt vmcnt(0)
	ds_write_b64 v8, v[10:11]
	v_add_u32_e32 v8, s22, v8
	s_andn2_b64 exec, exec, s[20:21]
	s_cbranch_execnz .LBB77_3
; %bb.4:                                ;   in Loop: Header=BB77_2 Depth=1
	s_or_b64 exec, exec, s[20:21]
	v_add_u32_e32 v7, s11, v7
	v_cmp_le_i32_e32 vcc, s10, v7
	v_add_u32_e32 v6, s23, v6
	s_or_b64 s[18:19], vcc, s[18:19]
	v_add_u32_e32 v2, s24, v2
	s_andn2_b64 exec, exec, s[18:19]
	s_cbranch_execnz .LBB77_2
.LBB77_5:
	s_or_b64 exec, exec, s[16:17]
	s_cmp_lt_i32 s10, 2
	s_waitcnt lgkmcnt(0)
	s_barrier
	s_cbranch_scc1 .LBB77_31
; %bb.6:
	s_load_dwordx2 s[4:5], s[4:5], 0x18
	s_mul_i32 s15, s2, s15
	s_mul_hi_u32 s16, s2, s14
	s_add_i32 s15, s16, s15
	s_mul_i32 s3, s3, s14
	s_add_i32 s3, s15, s3
	s_mul_i32 s2, s2, s14
	s_waitcnt lgkmcnt(0)
	s_ashr_i32 s17, s4, 31
	s_lshl_b64 s[2:3], s[2:3], 3
	s_mov_b32 s16, s4
	s_add_u32 s4, s12, s2
	s_addc_u32 s36, s13, s3
	s_lshl_b32 s37, s10, 3
	s_add_i32 s38, s37, 0
	s_cmpk_lg_i32 s8, 0xb5
	s_cselect_b64 s[14:15], -1, 0
	s_lshl_b64 s[2:3], s[16:17], 3
	s_add_u32 s8, s2, 8
	s_addc_u32 s39, s3, 0
	s_ashr_i32 s19, s5, 31
	s_mov_b32 s18, s5
	s_lshl_b32 s16, s5, 1
	s_lshl_b64 s[18:19], s[18:19], 3
	s_lshl_b32 s40, s11, 3
	v_add_co_u32_e32 v2, vcc, s2, v1
	s_add_u32 s2, s2, s6
	v_mov_b32_e32 v3, s3
	s_addc_u32 s3, s3, s7
	s_add_u32 s42, s2, 16
	v_add_u32_e32 v4, 8, v1
	s_mov_b32 s13, 0
	s_addc_u32 s43, s3, 0
	v_mul_lo_u32 v4, s10, v4
	s_add_i32 s45, s37, 8
	s_mov_b32 s12, 1
	v_addc_co_u32_e32 v3, vcc, 0, v3, vcc
	s_mov_b32 s41, s13
	v_mul_lo_u32 v10, v0, s5
	s_mul_i32 s44, s5, s11
	v_add3_u32 v11, v4, v1, 0
	s_mul_i32 s45, s45, s11
	v_add_u32_e32 v12, 0, v1
	s_mov_b32 s20, s5
	s_branch .LBB77_8
.LBB77_7:                               ;   in Loop: Header=BB77_8 Depth=1
	s_or_b64 exec, exec, s[2:3]
	s_add_i32 s12, s12, 1
	s_add_u32 s8, s8, 8
	s_addc_u32 s39, s39, 0
	s_add_i32 s16, s16, s5
	s_add_u32 s42, s42, 8
	s_addc_u32 s43, s43, 0
	s_add_i32 s20, s20, s5
	s_cmp_eq_u32 s12, s10
	s_waitcnt lgkmcnt(0)
	s_barrier
	s_cbranch_scc1 .LBB77_31
.LBB77_8:                               ; =>This Loop Header: Depth=1
                                        ;     Child Loop BB77_13 Depth 2
                                        ;       Child Loop BB77_15 Depth 3
                                        ;     Child Loop BB77_22 Depth 2
                                        ;       Child Loop BB77_24 Depth 3
	;; [unrolled: 2-line block ×3, first 2 shown]
	s_mul_i32 s2, s12, s10
	s_not_b32 s47, s12
	s_lshl_b32 s2, s2, 3
	s_add_i32 s47, s47, s9
	s_add_i32 s46, s38, s2
	s_mov_b64 s[22:23], -1
	s_and_b64 vcc, exec, s[14:15]
	v_cmp_gt_u32_e64 s[2:3], s12, v0
	s_cbranch_vccz .LBB77_17
; %bb.9:                                ;   in Loop: Header=BB77_8 Depth=1
	s_and_saveexec_b64 s[22:23], s[2:3]
	s_cbranch_execz .LBB77_16
; %bb.10:                               ;   in Loop: Header=BB77_8 Depth=1
	s_ashr_i32 s17, s16, 31
	s_lshl_b64 s[2:3], s[16:17], 3
	s_add_u32 s24, s6, s2
	s_addc_u32 s25, s7, s3
	s_cmp_gt_i32 s47, 0
	s_cselect_b64 s[2:3], -1, 0
	s_lshl_b64 s[26:27], s[12:13], 3
	s_add_u32 s26, s4, s26
	s_addc_u32 s27, s36, s27
	s_load_dwordx2 s[26:27], s[26:27], 0x0
	v_cndmask_b32_e64 v4, 0, 1, s[2:3]
	s_mov_b64 s[28:29], 0
	v_cmp_ne_u32_e64 s[2:3], 1, v4
	v_pk_mov_b32 v[4:5], v[2:3], v[2:3] op_sel:[0,1]
	v_mov_b32_e32 v8, v0
	s_branch .LBB77_13
.LBB77_11:                              ;   in Loop: Header=BB77_13 Depth=2
	v_pk_mov_b32 v[6:7], 0, 0
.LBB77_12:                              ;   in Loop: Header=BB77_13 Depth=2
	v_lshlrev_b32_e32 v9, 3, v8
	v_add_u32_e32 v13, s46, v9
	ds_read_b64 v[14:15], v13
	v_add_u32_e32 v8, s11, v8
	v_cmp_le_u32_e32 vcc, s12, v8
	v_mov_b32_e32 v13, s41
	s_or_b64 s[28:29], vcc, s[28:29]
	v_add_co_u32_e32 v4, vcc, s40, v4
	v_add_u32_e32 v9, 0, v9
	s_waitcnt lgkmcnt(0)
	v_fmac_f64_e32 v[14:15], s[26:27], v[6:7]
	v_addc_co_u32_e32 v5, vcc, v5, v13, vcc
	ds_write_b64 v9, v[14:15]
	s_andn2_b64 exec, exec, s[28:29]
	s_cbranch_execz .LBB77_16
.LBB77_13:                              ;   Parent Loop BB77_8 Depth=1
                                        ; =>  This Loop Header: Depth=2
                                        ;       Child Loop BB77_15 Depth 3
	s_and_b64 vcc, exec, s[2:3]
	s_cbranch_vccnz .LBB77_11
; %bb.14:                               ;   in Loop: Header=BB77_13 Depth=2
	s_mov_b32 s17, 0
	v_pk_mov_b32 v[6:7], 0, 0
	s_mov_b64 s[30:31], s[24:25]
.LBB77_15:                              ;   Parent Loop BB77_8 Depth=1
                                        ;     Parent Loop BB77_13 Depth=2
                                        ; =>    This Inner Loop Header: Depth=3
	v_mov_b32_e32 v9, s31
	v_add_co_u32_e32 v14, vcc, s30, v4
	v_addc_co_u32_e32 v15, vcc, v9, v5, vcc
	global_load_dwordx2 v[14:15], v[14:15], off
	s_add_u32 s48, s30, s8
	s_addc_u32 s49, s31, s39
	s_load_dwordx2 s[48:49], s[48:49], 0x0
	s_add_i32 s17, s17, 1
	s_add_u32 s30, s30, s18
	s_addc_u32 s31, s31, s19
	s_cmp_ge_i32 s17, s47
	s_waitcnt vmcnt(0) lgkmcnt(0)
	v_fmac_f64_e32 v[6:7], s[48:49], v[14:15]
	s_cbranch_scc0 .LBB77_15
	s_branch .LBB77_12
.LBB77_16:                              ;   in Loop: Header=BB77_8 Depth=1
	s_or_b64 exec, exec, s[22:23]
	s_mov_b64 s[22:23], 0
.LBB77_17:                              ;   in Loop: Header=BB77_8 Depth=1
	s_andn2_b64 vcc, exec, s[22:23]
	s_cbranch_vccnz .LBB77_26
; %bb.18:                               ;   in Loop: Header=BB77_8 Depth=1
	v_cmp_gt_u32_e32 vcc, s12, v0
	s_and_saveexec_b64 s[2:3], vcc
	s_cbranch_execz .LBB77_25
; %bb.19:                               ;   in Loop: Header=BB77_8 Depth=1
	s_ashr_i32 s21, s20, 31
	s_lshl_b64 s[22:23], s[20:21], 3
	s_add_u32 s22, s42, s22
	s_addc_u32 s23, s43, s23
	s_cmp_gt_i32 s47, 0
	s_cselect_b64 s[24:25], -1, 0
	s_lshl_b64 s[26:27], s[12:13], 3
	s_add_u32 s26, s4, s26
	s_addc_u32 s27, s36, s27
	s_load_dwordx2 s[26:27], s[26:27], 0x0
	s_mov_b64 s[28:29], 0
	v_mov_b32_e32 v4, v10
	v_mov_b32_e32 v13, v0
	s_branch .LBB77_22
.LBB77_20:                              ;   in Loop: Header=BB77_22 Depth=2
	v_pk_mov_b32 v[6:7], 0, 0
.LBB77_21:                              ;   in Loop: Header=BB77_22 Depth=2
	v_lshlrev_b32_e32 v5, 3, v13
	v_add_u32_e32 v8, s46, v5
	ds_read_b64 v[8:9], v8
	v_add_u32_e32 v13, s11, v13
	v_cmp_le_u32_e32 vcc, s12, v13
	v_add_u32_e32 v5, 0, v5
	s_or_b64 s[28:29], vcc, s[28:29]
	s_waitcnt lgkmcnt(0)
	v_fmac_f64_e32 v[8:9], s[26:27], v[6:7]
	v_add_u32_e32 v4, s44, v4
	ds_write_b64 v5, v[8:9]
	s_andn2_b64 exec, exec, s[28:29]
	s_cbranch_execz .LBB77_25
.LBB77_22:                              ;   Parent Loop BB77_8 Depth=1
                                        ; =>  This Loop Header: Depth=2
                                        ;       Child Loop BB77_24 Depth 3
	s_andn2_b64 vcc, exec, s[24:25]
	s_cbranch_vccnz .LBB77_20
; %bb.23:                               ;   in Loop: Header=BB77_22 Depth=2
	v_ashrrev_i32_e32 v5, 31, v4
	v_lshlrev_b64 v[6:7], 3, v[4:5]
	v_mov_b32_e32 v5, s43
	v_add_co_u32_e32 v8, vcc, s42, v6
	v_addc_co_u32_e32 v9, vcc, v5, v7, vcc
	s_mov_b32 s17, 0
	v_pk_mov_b32 v[6:7], 0, 0
	s_mov_b64 s[30:31], s[22:23]
.LBB77_24:                              ;   Parent Loop BB77_8 Depth=1
                                        ;     Parent Loop BB77_22 Depth=2
                                        ; =>    This Inner Loop Header: Depth=3
	global_load_dwordx2 v[14:15], v[8:9], off
	s_load_dwordx2 s[48:49], s[30:31], 0x0
	s_add_i32 s17, s17, 1
	s_add_u32 s30, s30, 8
	v_add_co_u32_e32 v8, vcc, 8, v8
	s_addc_u32 s31, s31, 0
	v_addc_co_u32_e32 v9, vcc, 0, v9, vcc
	s_cmp_ge_i32 s17, s47
	s_waitcnt vmcnt(0) lgkmcnt(0)
	v_fmac_f64_e32 v[6:7], s[48:49], v[14:15]
	s_cbranch_scc0 .LBB77_24
	s_branch .LBB77_21
.LBB77_25:                              ;   in Loop: Header=BB77_8 Depth=1
	s_or_b64 exec, exec, s[2:3]
.LBB77_26:                              ;   in Loop: Header=BB77_8 Depth=1
	v_cmp_gt_u32_e32 vcc, s12, v0
	s_waitcnt lgkmcnt(0)
	s_barrier
	s_and_saveexec_b64 s[2:3], vcc
	s_cbranch_execz .LBB77_7
; %bb.27:                               ;   in Loop: Header=BB77_8 Depth=1
	s_mov_b64 s[22:23], 0
	v_mov_b32_e32 v6, v12
	v_mov_b32_e32 v7, v11
	;; [unrolled: 1-line block ×3, first 2 shown]
.LBB77_28:                              ;   Parent Loop BB77_8 Depth=1
                                        ; =>  This Loop Header: Depth=2
                                        ;       Child Loop BB77_29 Depth 3
	v_pk_mov_b32 v[4:5], 0, 0
	s_mov_b64 s[24:25], 0
	v_mov_b32_e32 v9, v6
	v_mov_b32_e32 v13, v7
	;; [unrolled: 1-line block ×3, first 2 shown]
.LBB77_29:                              ;   Parent Loop BB77_8 Depth=1
                                        ;     Parent Loop BB77_28 Depth=2
                                        ; =>    This Inner Loop Header: Depth=3
	ds_read_b64 v[16:17], v13
	ds_read_b64 v[18:19], v9
	v_add_u32_e32 v14, 1, v14
	v_cmp_le_u32_e32 vcc, s12, v14
	v_add_u32_e32 v13, s37, v13
	v_add_u32_e32 v9, 8, v9
	s_or_b64 s[24:25], vcc, s[24:25]
	s_waitcnt lgkmcnt(0)
	v_fmac_f64_e32 v[4:5], v[16:17], v[18:19]
	s_andn2_b64 exec, exec, s[24:25]
	s_cbranch_execnz .LBB77_29
; %bb.30:                               ;   in Loop: Header=BB77_28 Depth=2
	s_or_b64 exec, exec, s[24:25]
	v_lshl_add_u32 v9, v8, 3, s46
	v_add_u32_e32 v8, s11, v8
	v_cmp_le_u32_e32 vcc, s12, v8
	v_add_u32_e32 v7, s45, v7
	s_or_b64 s[22:23], vcc, s[22:23]
	v_add_u32_e32 v6, s40, v6
	ds_write_b64 v9, v[4:5]
	s_andn2_b64 exec, exec, s[22:23]
	s_cbranch_execnz .LBB77_28
	s_branch .LBB77_7
.LBB77_31:
	s_and_saveexec_b64 s[2:3], s[0:1]
	s_cbranch_execz .LBB77_36
; %bb.32:
	v_mad_u64_u32 v[2:3], s[0:1], v0, s33, v[0:1]
	v_add_u32_e32 v3, 8, v1
	s_lshl_b32 s7, s10, 3
	s_add_i32 s6, s33, 1
	v_mul_lo_u32 v3, s10, v3
	s_add_i32 s8, s7, 8
	s_mul_i32 s6, s6, s11
	v_add3_u32 v1, v3, v1, 0
	s_mul_i32 s8, s8, s11
	s_mov_b64 s[2:3], 0
	v_mov_b32_e32 v3, s35
.LBB77_33:                              ; =>This Loop Header: Depth=1
                                        ;     Child Loop BB77_34 Depth 2
	s_mov_b64 s[4:5], 0
	v_mov_b32_e32 v6, v1
	v_mov_b32_e32 v4, v2
	v_mov_b32_e32 v7, v0
.LBB77_34:                              ;   Parent Loop BB77_33 Depth=1
                                        ; =>  This Inner Loop Header: Depth=2
	ds_read_b64 v[8:9], v6
	v_ashrrev_i32_e32 v5, 31, v4
	v_add_u32_e32 v7, 1, v7
	v_lshlrev_b64 v[10:11], 3, v[4:5]
	v_cmp_le_i32_e32 vcc, s10, v7
	v_add_co_u32_e64 v10, s[0:1], s34, v10
	v_add_u32_e32 v6, s7, v6
	v_add_u32_e32 v4, s33, v4
	v_addc_co_u32_e64 v11, s[0:1], v3, v11, s[0:1]
	s_or_b64 s[4:5], vcc, s[4:5]
	s_waitcnt lgkmcnt(0)
	global_store_dwordx2 v[10:11], v[8:9], off
	s_andn2_b64 exec, exec, s[4:5]
	s_cbranch_execnz .LBB77_34
; %bb.35:                               ;   in Loop: Header=BB77_33 Depth=1
	s_or_b64 exec, exec, s[4:5]
	v_add_u32_e32 v0, s11, v0
	v_cmp_le_i32_e32 vcc, s10, v0
	v_add_u32_e32 v2, s6, v2
	s_or_b64 s[2:3], vcc, s[2:3]
	v_add_u32_e32 v1, s8, v1
	s_andn2_b64 exec, exec, s[2:3]
	s_cbranch_execnz .LBB77_33
.LBB77_36:
	s_endpgm
	.section	.rodata,"a",@progbits
	.p2align	6, 0x0
	.amdhsa_kernel _ZN9rocsolver6v33100L20larft_kernel_forwardIdPKPdEEv15rocblas_storev_iiT0_iilPT_lS8_il
		.amdhsa_group_segment_fixed_size 0
		.amdhsa_private_segment_fixed_size 0
		.amdhsa_kernarg_size 336
		.amdhsa_user_sgpr_count 6
		.amdhsa_user_sgpr_private_segment_buffer 1
		.amdhsa_user_sgpr_dispatch_ptr 0
		.amdhsa_user_sgpr_queue_ptr 0
		.amdhsa_user_sgpr_kernarg_segment_ptr 1
		.amdhsa_user_sgpr_dispatch_id 0
		.amdhsa_user_sgpr_flat_scratch_init 0
		.amdhsa_user_sgpr_kernarg_preload_length 0
		.amdhsa_user_sgpr_kernarg_preload_offset 0
		.amdhsa_user_sgpr_private_segment_size 0
		.amdhsa_uses_dynamic_stack 0
		.amdhsa_system_sgpr_private_segment_wavefront_offset 0
		.amdhsa_system_sgpr_workgroup_id_x 1
		.amdhsa_system_sgpr_workgroup_id_y 1
		.amdhsa_system_sgpr_workgroup_id_z 0
		.amdhsa_system_sgpr_workgroup_info 0
		.amdhsa_system_vgpr_workitem_id 0
		.amdhsa_next_free_vgpr 20
		.amdhsa_next_free_sgpr 50
		.amdhsa_accum_offset 20
		.amdhsa_reserve_vcc 1
		.amdhsa_reserve_flat_scratch 0
		.amdhsa_float_round_mode_32 0
		.amdhsa_float_round_mode_16_64 0
		.amdhsa_float_denorm_mode_32 3
		.amdhsa_float_denorm_mode_16_64 3
		.amdhsa_dx10_clamp 1
		.amdhsa_ieee_mode 1
		.amdhsa_fp16_overflow 0
		.amdhsa_tg_split 0
		.amdhsa_exception_fp_ieee_invalid_op 0
		.amdhsa_exception_fp_denorm_src 0
		.amdhsa_exception_fp_ieee_div_zero 0
		.amdhsa_exception_fp_ieee_overflow 0
		.amdhsa_exception_fp_ieee_underflow 0
		.amdhsa_exception_fp_ieee_inexact 0
		.amdhsa_exception_int_div_zero 0
	.end_amdhsa_kernel
	.section	.text._ZN9rocsolver6v33100L20larft_kernel_forwardIdPKPdEEv15rocblas_storev_iiT0_iilPT_lS8_il,"axG",@progbits,_ZN9rocsolver6v33100L20larft_kernel_forwardIdPKPdEEv15rocblas_storev_iiT0_iilPT_lS8_il,comdat
.Lfunc_end77:
	.size	_ZN9rocsolver6v33100L20larft_kernel_forwardIdPKPdEEv15rocblas_storev_iiT0_iilPT_lS8_il, .Lfunc_end77-_ZN9rocsolver6v33100L20larft_kernel_forwardIdPKPdEEv15rocblas_storev_iiT0_iilPT_lS8_il
                                        ; -- End function
	.section	.AMDGPU.csdata,"",@progbits
; Kernel info:
; codeLenInByte = 1508
; NumSgprs: 54
; NumVgprs: 20
; NumAgprs: 0
; TotalNumVgprs: 20
; ScratchSize: 0
; MemoryBound: 0
; FloatMode: 240
; IeeeMode: 1
; LDSByteSize: 0 bytes/workgroup (compile time only)
; SGPRBlocks: 6
; VGPRBlocks: 2
; NumSGPRsForWavesPerEU: 54
; NumVGPRsForWavesPerEU: 20
; AccumOffset: 20
; Occupancy: 8
; WaveLimiterHint : 0
; COMPUTE_PGM_RSRC2:SCRATCH_EN: 0
; COMPUTE_PGM_RSRC2:USER_SGPR: 6
; COMPUTE_PGM_RSRC2:TRAP_HANDLER: 0
; COMPUTE_PGM_RSRC2:TGID_X_EN: 1
; COMPUTE_PGM_RSRC2:TGID_Y_EN: 1
; COMPUTE_PGM_RSRC2:TGID_Z_EN: 0
; COMPUTE_PGM_RSRC2:TIDIG_COMP_CNT: 0
; COMPUTE_PGM_RSRC3_GFX90A:ACCUM_OFFSET: 4
; COMPUTE_PGM_RSRC3_GFX90A:TG_SPLIT: 0
	.section	.text._ZN9rocsolver6v33100L13conj_in_placeIdiPKPdTnNSt9enable_ifIXnt18rocblas_is_complexIT_EEiE4typeELi0EEEvT0_S9_T1_lS9_l,"axG",@progbits,_ZN9rocsolver6v33100L13conj_in_placeIdiPKPdTnNSt9enable_ifIXnt18rocblas_is_complexIT_EEiE4typeELi0EEEvT0_S9_T1_lS9_l,comdat
	.globl	_ZN9rocsolver6v33100L13conj_in_placeIdiPKPdTnNSt9enable_ifIXnt18rocblas_is_complexIT_EEiE4typeELi0EEEvT0_S9_T1_lS9_l ; -- Begin function _ZN9rocsolver6v33100L13conj_in_placeIdiPKPdTnNSt9enable_ifIXnt18rocblas_is_complexIT_EEiE4typeELi0EEEvT0_S9_T1_lS9_l
	.p2align	8
	.type	_ZN9rocsolver6v33100L13conj_in_placeIdiPKPdTnNSt9enable_ifIXnt18rocblas_is_complexIT_EEiE4typeELi0EEEvT0_S9_T1_lS9_l,@function
_ZN9rocsolver6v33100L13conj_in_placeIdiPKPdTnNSt9enable_ifIXnt18rocblas_is_complexIT_EEiE4typeELi0EEEvT0_S9_T1_lS9_l: ; @_ZN9rocsolver6v33100L13conj_in_placeIdiPKPdTnNSt9enable_ifIXnt18rocblas_is_complexIT_EEiE4typeELi0EEEvT0_S9_T1_lS9_l
; %bb.0:
	s_endpgm
	.section	.rodata,"a",@progbits
	.p2align	6, 0x0
	.amdhsa_kernel _ZN9rocsolver6v33100L13conj_in_placeIdiPKPdTnNSt9enable_ifIXnt18rocblas_is_complexIT_EEiE4typeELi0EEEvT0_S9_T1_lS9_l
		.amdhsa_group_segment_fixed_size 0
		.amdhsa_private_segment_fixed_size 0
		.amdhsa_kernarg_size 40
		.amdhsa_user_sgpr_count 6
		.amdhsa_user_sgpr_private_segment_buffer 1
		.amdhsa_user_sgpr_dispatch_ptr 0
		.amdhsa_user_sgpr_queue_ptr 0
		.amdhsa_user_sgpr_kernarg_segment_ptr 1
		.amdhsa_user_sgpr_dispatch_id 0
		.amdhsa_user_sgpr_flat_scratch_init 0
		.amdhsa_user_sgpr_kernarg_preload_length 0
		.amdhsa_user_sgpr_kernarg_preload_offset 0
		.amdhsa_user_sgpr_private_segment_size 0
		.amdhsa_uses_dynamic_stack 0
		.amdhsa_system_sgpr_private_segment_wavefront_offset 0
		.amdhsa_system_sgpr_workgroup_id_x 1
		.amdhsa_system_sgpr_workgroup_id_y 0
		.amdhsa_system_sgpr_workgroup_id_z 0
		.amdhsa_system_sgpr_workgroup_info 0
		.amdhsa_system_vgpr_workitem_id 0
		.amdhsa_next_free_vgpr 1
		.amdhsa_next_free_sgpr 0
		.amdhsa_accum_offset 4
		.amdhsa_reserve_vcc 0
		.amdhsa_reserve_flat_scratch 0
		.amdhsa_float_round_mode_32 0
		.amdhsa_float_round_mode_16_64 0
		.amdhsa_float_denorm_mode_32 3
		.amdhsa_float_denorm_mode_16_64 3
		.amdhsa_dx10_clamp 1
		.amdhsa_ieee_mode 1
		.amdhsa_fp16_overflow 0
		.amdhsa_tg_split 0
		.amdhsa_exception_fp_ieee_invalid_op 0
		.amdhsa_exception_fp_denorm_src 0
		.amdhsa_exception_fp_ieee_div_zero 0
		.amdhsa_exception_fp_ieee_overflow 0
		.amdhsa_exception_fp_ieee_underflow 0
		.amdhsa_exception_fp_ieee_inexact 0
		.amdhsa_exception_int_div_zero 0
	.end_amdhsa_kernel
	.section	.text._ZN9rocsolver6v33100L13conj_in_placeIdiPKPdTnNSt9enable_ifIXnt18rocblas_is_complexIT_EEiE4typeELi0EEEvT0_S9_T1_lS9_l,"axG",@progbits,_ZN9rocsolver6v33100L13conj_in_placeIdiPKPdTnNSt9enable_ifIXnt18rocblas_is_complexIT_EEiE4typeELi0EEEvT0_S9_T1_lS9_l,comdat
.Lfunc_end78:
	.size	_ZN9rocsolver6v33100L13conj_in_placeIdiPKPdTnNSt9enable_ifIXnt18rocblas_is_complexIT_EEiE4typeELi0EEEvT0_S9_T1_lS9_l, .Lfunc_end78-_ZN9rocsolver6v33100L13conj_in_placeIdiPKPdTnNSt9enable_ifIXnt18rocblas_is_complexIT_EEiE4typeELi0EEEvT0_S9_T1_lS9_l
                                        ; -- End function
	.section	.AMDGPU.csdata,"",@progbits
; Kernel info:
; codeLenInByte = 4
; NumSgprs: 4
; NumVgprs: 0
; NumAgprs: 0
; TotalNumVgprs: 0
; ScratchSize: 0
; MemoryBound: 0
; FloatMode: 240
; IeeeMode: 1
; LDSByteSize: 0 bytes/workgroup (compile time only)
; SGPRBlocks: 0
; VGPRBlocks: 0
; NumSGPRsForWavesPerEU: 4
; NumVGPRsForWavesPerEU: 1
; AccumOffset: 4
; Occupancy: 8
; WaveLimiterHint : 0
; COMPUTE_PGM_RSRC2:SCRATCH_EN: 0
; COMPUTE_PGM_RSRC2:USER_SGPR: 6
; COMPUTE_PGM_RSRC2:TRAP_HANDLER: 0
; COMPUTE_PGM_RSRC2:TGID_X_EN: 1
; COMPUTE_PGM_RSRC2:TGID_Y_EN: 0
; COMPUTE_PGM_RSRC2:TGID_Z_EN: 0
; COMPUTE_PGM_RSRC2:TIDIG_COMP_CNT: 0
; COMPUTE_PGM_RSRC3_GFX90A:ACCUM_OFFSET: 0
; COMPUTE_PGM_RSRC3_GFX90A:TG_SPLIT: 0
	.section	.text._ZN9rocsolver6v33100L21larft_kernel_backwardIdPKPdEEv15rocblas_storev_iiT0_iilPT_lS8_il,"axG",@progbits,_ZN9rocsolver6v33100L21larft_kernel_backwardIdPKPdEEv15rocblas_storev_iiT0_iilPT_lS8_il,comdat
	.globl	_ZN9rocsolver6v33100L21larft_kernel_backwardIdPKPdEEv15rocblas_storev_iiT0_iilPT_lS8_il ; -- Begin function _ZN9rocsolver6v33100L21larft_kernel_backwardIdPKPdEEv15rocblas_storev_iiT0_iilPT_lS8_il
	.p2align	8
	.type	_ZN9rocsolver6v33100L21larft_kernel_backwardIdPKPdEEv15rocblas_storev_iiT0_iilPT_lS8_il,@function
_ZN9rocsolver6v33100L21larft_kernel_backwardIdPKPdEEv15rocblas_storev_iiT0_iilPT_lS8_il: ; @_ZN9rocsolver6v33100L21larft_kernel_backwardIdPKPdEEv15rocblas_storev_iiT0_iilPT_lS8_il
; %bb.0:
	s_mov_b32 s6, s7
	s_load_dword s28, s[4:5], 0x40
	s_load_dwordx2 s[0:1], s[4:5], 0x48
	s_load_dword s7, s[4:5], 0x5c
	s_load_dwordx4 s[8:11], s[4:5], 0x0
	s_load_dwordx2 s[2:3], s[4:5], 0x10
	s_load_dwordx4 s[12:15], s[4:5], 0x28
	s_load_dwordx2 s[16:17], s[4:5], 0x38
	s_waitcnt lgkmcnt(0)
	s_and_b32 s11, s7, 0xffff
	s_ashr_i32 s7, s6, 31
	s_lshl_b64 s[18:19], s[6:7], 3
	s_add_u32 s2, s2, s18
	s_addc_u32 s3, s3, s19
	s_mul_i32 s1, s6, s1
	s_mul_hi_u32 s18, s6, s0
	s_load_dwordx2 s[2:3], s[2:3], 0x0
	s_add_i32 s1, s18, s1
	s_mul_i32 s18, s7, s0
	s_add_i32 s1, s1, s18
	s_mul_i32 s0, s6, s0
	s_lshl_b64 s[0:1], s[0:1], 3
	s_add_u32 s29, s16, s0
	s_addc_u32 s30, s17, s1
	v_cmp_gt_i32_e64 s[0:1], s10, v0
	v_add_u32_e32 v1, 1, v0
	s_and_saveexec_b64 s[16:17], s[0:1]
	s_cbranch_execz .LBB79_5
; %bb.1:
	s_lshl_b32 s22, s10, 3
	s_add_i32 s18, s22, 0
	v_add_u32_e32 v4, 1, v0
	v_lshl_add_u32 v5, v0, 3, s18
	s_lshl_b32 s23, s11, 3
	s_mov_b64 s[18:19], 0
	v_mov_b32_e32 v6, s30
	v_mov_b32_e32 v7, v0
.LBB79_2:                               ; =>This Loop Header: Depth=1
                                        ;     Child Loop BB79_3 Depth 2
	s_mov_b64 s[20:21], 0
	v_mov_b32_e32 v2, v7
	v_mov_b32_e32 v8, v5
	s_mov_b32 s24, 0
.LBB79_3:                               ;   Parent Loop BB79_2 Depth=1
                                        ; =>  This Inner Loop Header: Depth=2
	v_ashrrev_i32_e32 v3, 31, v2
	v_lshlrev_b64 v[10:11], 3, v[2:3]
	v_add_co_u32_e32 v10, vcc, s29, v10
	v_addc_co_u32_e32 v11, vcc, v6, v11, vcc
	global_load_dwordx2 v[10:11], v[10:11], off
	s_add_i32 s24, s24, 1
	v_cmp_eq_u32_e32 vcc, s24, v4
	v_add_u32_e32 v2, s28, v2
	s_or_b64 s[20:21], vcc, s[20:21]
	s_waitcnt vmcnt(0)
	ds_write_b64 v8, v[10:11]
	v_add_u32_e32 v8, s22, v8
	s_andn2_b64 exec, exec, s[20:21]
	s_cbranch_execnz .LBB79_3
; %bb.4:                                ;   in Loop: Header=BB79_2 Depth=1
	s_or_b64 exec, exec, s[20:21]
	v_add_u32_e32 v7, s11, v7
	v_cmp_le_i32_e32 vcc, s10, v7
	v_add_u32_e32 v4, s11, v4
	s_or_b64 s[18:19], vcc, s[18:19]
	v_add_u32_e32 v5, s23, v5
	s_andn2_b64 exec, exec, s[18:19]
	s_cbranch_execnz .LBB79_2
.LBB79_5:
	s_or_b64 exec, exec, s[16:17]
	s_cmp_lt_i32 s10, 2
	s_waitcnt lgkmcnt(0)
	s_barrier
	s_cbranch_scc1 .LBB79_31
; %bb.6:
	s_load_dwordx2 s[4:5], s[4:5], 0x18
	s_mul_i32 s15, s6, s15
	s_mul_hi_u32 s16, s6, s14
	s_add_i32 s15, s16, s15
	s_mul_i32 s6, s6, s14
	s_waitcnt lgkmcnt(0)
	s_ashr_i32 s17, s4, 31
	s_mov_b32 s16, s4
	s_mul_i32 s4, s7, s14
	s_add_i32 s7, s15, s4
	s_lshl_b64 s[6:7], s[6:7], 3
	s_add_u32 s4, s12, s6
	s_addc_u32 s31, s13, s7
	s_lshl_b32 s33, s10, 3
	s_add_i32 s34, s33, 0
	s_add_i32 s6, s10, -2
	s_sub_i32 s35, s9, s10
	s_mov_b32 s7, 0
	s_cmpk_lg_i32 s8, 0xb5
	s_cselect_b64 s[8:9], -1, 0
	s_lshl_b64 s[14:15], s[16:17], 3
	s_lshl_b64 s[16:17], s[6:7], 3
	s_add_u32 s12, s14, s16
	s_addc_u32 s13, s15, s17
	s_add_u32 s36, s2, s12
	s_addc_u32 s37, s3, s13
	s_ashr_i32 s13, s5, 31
	s_mov_b32 s12, s5
	s_lshl_b64 s[12:13], s[12:13], 3
	s_add_u32 s38, s2, s14
	s_addc_u32 s39, s3, s15
	v_lshlrev_b32_e32 v4, 3, v0
	s_add_u32 s2, s38, s16
	s_addc_u32 s3, s39, s17
	v_add_co_u32_e32 v3, vcc, s2, v4
	s_add_i32 s2, s10, -1
	v_mov_b32_e32 v2, s3
	s_mul_i32 s14, s5, s2
	s_add_i32 s2, s33, 8
	v_addc_co_u32_e32 v5, vcc, 0, v2, vcc
	s_mul_i32 s2, s10, s2
	v_add_co_u32_e32 v2, vcc, 8, v3
	s_add_i32 s2, s2, 0
	v_addc_co_u32_e32 v3, vcc, 0, v5, vcc
	s_lshl_b32 s40, s11, 3
	s_mov_b32 s41, s7
	v_mul_lo_u32 v10, v0, s5
	s_mul_i32 s42, s5, s11
	s_mul_i32 s16, s5, s6
	v_add3_u32 v11, s2, v4, -8
	s_xor_b32 s43, s33, -8
	s_branch .LBB79_8
.LBB79_7:                               ;   in Loop: Header=BB79_8 Depth=1
	s_or_b64 exec, exec, s[2:3]
	s_add_i32 s2, s6, -1
	s_add_u32 s36, s36, -8
	s_addc_u32 s37, s37, -1
	v_add_co_u32_e32 v2, vcc, -8, v2
	s_sub_i32 s14, s14, s5
	s_sub_i32 s16, s16, s5
	v_addc_co_u32_e32 v3, vcc, -1, v3, vcc
	v_add_u32_e32 v11, s43, v11
	s_cmp_lt_i32 s6, 1
	s_mov_b32 s6, s2
	s_waitcnt lgkmcnt(0)
	s_barrier
	s_cbranch_scc1 .LBB79_31
.LBB79_8:                               ; =>This Loop Header: Depth=1
                                        ;     Child Loop BB79_13 Depth 2
                                        ;       Child Loop BB79_15 Depth 3
                                        ;     Child Loop BB79_22 Depth 2
                                        ;       Child Loop BB79_24 Depth 3
	;; [unrolled: 2-line block ×3, first 2 shown]
	s_lshl_b32 s2, s6, 3
	s_not_b32 s44, s6
	s_add_i32 s45, s34, s2
	s_mul_i32 s2, s6, s10
	s_add_i32 s44, s44, s10
	s_lshl_b32 s2, s2, 3
	s_add_i32 s46, s6, s35
	s_add_i32 s45, s45, s2
	s_mov_b64 s[18:19], -1
	s_and_b64 vcc, exec, s[8:9]
	v_cmp_gt_i32_e64 s[2:3], s44, v0
	s_cbranch_vccz .LBB79_17
; %bb.9:                                ;   in Loop: Header=BB79_8 Depth=1
	s_and_saveexec_b64 s[18:19], s[2:3]
	s_cbranch_execz .LBB79_16
; %bb.10:                               ;   in Loop: Header=BB79_8 Depth=1
	s_cmp_gt_i32 s46, 0
	s_cselect_b64 s[2:3], -1, 0
	s_lshl_b64 s[20:21], s[6:7], 3
	s_add_u32 s20, s4, s20
	s_addc_u32 s21, s31, s21
	s_load_dwordx2 s[20:21], s[20:21], 0x0
	v_cndmask_b32_e64 v4, 0, 1, s[2:3]
	s_add_i32 s15, s45, 8
	s_mov_b64 s[22:23], 0
	v_cmp_ne_u32_e64 s[2:3], 1, v4
	v_pk_mov_b32 v[4:5], v[2:3], v[2:3] op_sel:[0,1]
	v_mov_b32_e32 v8, v0
	s_branch .LBB79_13
.LBB79_11:                              ;   in Loop: Header=BB79_13 Depth=2
	v_pk_mov_b32 v[6:7], 0, 0
.LBB79_12:                              ;   in Loop: Header=BB79_13 Depth=2
	v_lshlrev_b32_e32 v9, 3, v8
	v_add_u32_e32 v12, s15, v9
	ds_read_b64 v[12:13], v12
	v_add_u32_e32 v8, s11, v8
	v_cmp_le_i32_e32 vcc, s44, v8
	v_mov_b32_e32 v14, s41
	s_or_b64 s[22:23], vcc, s[22:23]
	v_add_co_u32_e32 v4, vcc, s40, v4
	v_add_u32_e32 v9, 0, v9
	s_waitcnt lgkmcnt(0)
	v_fmac_f64_e32 v[12:13], s[20:21], v[6:7]
	v_addc_co_u32_e32 v5, vcc, v5, v14, vcc
	ds_write_b64 v9, v[12:13]
	s_andn2_b64 exec, exec, s[22:23]
	s_cbranch_execz .LBB79_16
.LBB79_13:                              ;   Parent Loop BB79_8 Depth=1
                                        ; =>  This Loop Header: Depth=2
                                        ;       Child Loop BB79_15 Depth 3
	s_and_b64 vcc, exec, s[2:3]
	s_cbranch_vccnz .LBB79_11
; %bb.14:                               ;   in Loop: Header=BB79_13 Depth=2
	s_mov_b32 s17, 0
	s_mov_b64 s[24:25], 0
	v_pk_mov_b32 v[6:7], 0, 0
.LBB79_15:                              ;   Parent Loop BB79_8 Depth=1
                                        ;     Parent Loop BB79_13 Depth=2
                                        ; =>    This Inner Loop Header: Depth=3
	v_mov_b32_e32 v9, s25
	v_add_co_u32_e32 v12, vcc, s24, v4
	v_addc_co_u32_e32 v13, vcc, v5, v9, vcc
	global_load_dwordx2 v[12:13], v[12:13], off
	s_add_u32 s26, s36, s24
	s_addc_u32 s27, s37, s25
	s_load_dwordx2 s[26:27], s[26:27], 0x0
	s_add_i32 s17, s17, 1
	s_add_u32 s24, s24, s12
	s_addc_u32 s25, s25, s13
	s_cmp_ge_i32 s17, s46
	s_waitcnt vmcnt(0) lgkmcnt(0)
	v_fmac_f64_e32 v[6:7], s[26:27], v[12:13]
	s_cbranch_scc0 .LBB79_15
	s_branch .LBB79_12
.LBB79_16:                              ;   in Loop: Header=BB79_8 Depth=1
	s_or_b64 exec, exec, s[18:19]
	s_mov_b64 s[18:19], 0
.LBB79_17:                              ;   in Loop: Header=BB79_8 Depth=1
	s_andn2_b64 vcc, exec, s[18:19]
	s_cbranch_vccnz .LBB79_26
; %bb.18:                               ;   in Loop: Header=BB79_8 Depth=1
	v_cmp_gt_i32_e32 vcc, s44, v0
	s_and_saveexec_b64 s[2:3], vcc
	s_cbranch_execz .LBB79_25
; %bb.19:                               ;   in Loop: Header=BB79_8 Depth=1
	s_ashr_i32 s15, s14, 31
	s_ashr_i32 s17, s16, 31
	s_lshl_b64 s[24:25], s[14:15], 3
	s_lshl_b64 s[18:19], s[16:17], 3
	s_add_u32 s18, s38, s18
	s_addc_u32 s19, s39, s19
	s_cmp_gt_i32 s46, 0
	s_cselect_b64 s[20:21], -1, 0
	s_lshl_b64 s[22:23], s[6:7], 3
	s_add_u32 s22, s4, s22
	s_addc_u32 s23, s31, s23
	s_load_dwordx2 s[22:23], s[22:23], 0x0
	s_add_i32 s15, s45, 8
	s_add_u32 s17, s38, s24
	s_addc_u32 s47, s39, s25
	s_mov_b64 s[24:25], 0
	v_mov_b32_e32 v4, v10
	v_mov_b32_e32 v12, v0
	s_branch .LBB79_22
.LBB79_20:                              ;   in Loop: Header=BB79_22 Depth=2
	v_pk_mov_b32 v[6:7], 0, 0
.LBB79_21:                              ;   in Loop: Header=BB79_22 Depth=2
	v_lshlrev_b32_e32 v5, 3, v12
	v_add_u32_e32 v8, s15, v5
	ds_read_b64 v[8:9], v8
	v_add_u32_e32 v12, s11, v12
	v_cmp_le_i32_e32 vcc, s44, v12
	v_add_u32_e32 v5, 0, v5
	s_or_b64 s[24:25], vcc, s[24:25]
	s_waitcnt lgkmcnt(0)
	v_fmac_f64_e32 v[8:9], s[22:23], v[6:7]
	v_add_u32_e32 v4, s42, v4
	ds_write_b64 v5, v[8:9]
	s_andn2_b64 exec, exec, s[24:25]
	s_cbranch_execz .LBB79_25
.LBB79_22:                              ;   Parent Loop BB79_8 Depth=1
                                        ; =>  This Loop Header: Depth=2
                                        ;       Child Loop BB79_24 Depth 3
	s_andn2_b64 vcc, exec, s[20:21]
	s_cbranch_vccnz .LBB79_20
; %bb.23:                               ;   in Loop: Header=BB79_22 Depth=2
	v_ashrrev_i32_e32 v5, 31, v4
	v_lshlrev_b64 v[6:7], 3, v[4:5]
	v_mov_b32_e32 v5, s47
	v_add_co_u32_e32 v8, vcc, s17, v6
	v_addc_co_u32_e32 v9, vcc, v5, v7, vcc
	s_mov_b32 s48, 0
	v_pk_mov_b32 v[6:7], 0, 0
	s_mov_b64 s[26:27], s[18:19]
.LBB79_24:                              ;   Parent Loop BB79_8 Depth=1
                                        ;     Parent Loop BB79_22 Depth=2
                                        ; =>    This Inner Loop Header: Depth=3
	global_load_dwordx2 v[14:15], v[8:9], off
	s_load_dwordx2 s[50:51], s[26:27], 0x0
	s_add_i32 s48, s48, 1
	s_add_u32 s26, s26, 8
	v_add_co_u32_e32 v8, vcc, 8, v8
	s_addc_u32 s27, s27, 0
	v_addc_co_u32_e32 v9, vcc, 0, v9, vcc
	s_cmp_ge_i32 s48, s46
	s_waitcnt vmcnt(0) lgkmcnt(0)
	v_fmac_f64_e32 v[6:7], s[50:51], v[14:15]
	s_cbranch_scc0 .LBB79_24
	s_branch .LBB79_21
.LBB79_25:                              ;   in Loop: Header=BB79_8 Depth=1
	s_or_b64 exec, exec, s[2:3]
.LBB79_26:                              ;   in Loop: Header=BB79_8 Depth=1
	v_cmp_gt_i32_e32 vcc, s44, v0
	s_waitcnt lgkmcnt(0)
	s_barrier
	s_and_saveexec_b64 s[2:3], vcc
	s_cbranch_execz .LBB79_7
; %bb.27:                               ;   in Loop: Header=BB79_8 Depth=1
	s_add_i32 s45, s45, 8
	s_mov_b64 s[18:19], 0
	v_mov_b32_e32 v6, v11
	v_mov_b32_e32 v7, v0
.LBB79_28:                              ;   Parent Loop BB79_8 Depth=1
                                        ; =>  This Loop Header: Depth=2
                                        ;       Child Loop BB79_29 Depth 3
	s_mov_b32 s15, -1
	s_mov_b32 s17, 0
	v_pk_mov_b32 v[4:5], 0, 0
	s_mov_b64 s[20:21], 0
	v_mov_b32_e32 v8, v6
.LBB79_29:                              ;   Parent Loop BB79_8 Depth=1
                                        ;     Parent Loop BB79_28 Depth=2
                                        ; =>    This Inner Loop Header: Depth=3
	v_mov_b32_e32 v9, s17
	ds_read_b64 v[12:13], v8
	ds_read_b64 v[14:15], v9
	s_add_i32 s15, s15, 1
	s_add_i32 s17, s17, 8
	v_cmp_eq_u32_e32 vcc, s15, v7
	v_add_u32_e32 v8, s33, v8
	s_or_b64 s[20:21], vcc, s[20:21]
	s_waitcnt lgkmcnt(0)
	v_fmac_f64_e32 v[4:5], v[12:13], v[14:15]
	s_andn2_b64 exec, exec, s[20:21]
	s_cbranch_execnz .LBB79_29
; %bb.30:                               ;   in Loop: Header=BB79_28 Depth=2
	s_or_b64 exec, exec, s[20:21]
	v_lshl_add_u32 v8, v7, 3, s45
	v_add_u32_e32 v7, s11, v7
	v_cmp_le_i32_e32 vcc, s44, v7
	s_or_b64 s[18:19], vcc, s[18:19]
	v_add_u32_e32 v6, s40, v6
	ds_write_b64 v8, v[4:5]
	s_andn2_b64 exec, exec, s[18:19]
	s_cbranch_execnz .LBB79_28
	s_branch .LBB79_7
.LBB79_31:
	s_and_saveexec_b64 s[2:3], s[0:1]
	s_cbranch_execz .LBB79_36
; %bb.32:
	s_lshl_b32 s6, s10, 3
	s_add_i32 s0, s6, 0
	v_lshl_add_u32 v4, v0, 3, s0
	s_lshl_b32 s7, s11, 3
	s_mov_b64 s[2:3], 0
	v_mov_b32_e32 v5, s30
.LBB79_33:                              ; =>This Loop Header: Depth=1
                                        ;     Child Loop BB79_34 Depth 2
	s_mov_b64 s[4:5], 0
	v_mov_b32_e32 v6, v4
	v_mov_b32_e32 v2, v0
	s_mov_b32 s8, 0
.LBB79_34:                              ;   Parent Loop BB79_33 Depth=1
                                        ; =>  This Inner Loop Header: Depth=2
	ds_read_b64 v[8:9], v6
	v_ashrrev_i32_e32 v3, 31, v2
	s_add_i32 s8, s8, 1
	v_lshlrev_b64 v[10:11], 3, v[2:3]
	v_cmp_eq_u32_e32 vcc, s8, v1
	v_add_co_u32_e64 v10, s[0:1], s29, v10
	v_add_u32_e32 v6, s6, v6
	v_add_u32_e32 v2, s28, v2
	v_addc_co_u32_e64 v11, s[0:1], v5, v11, s[0:1]
	s_or_b64 s[4:5], vcc, s[4:5]
	s_waitcnt lgkmcnt(0)
	global_store_dwordx2 v[10:11], v[8:9], off
	s_andn2_b64 exec, exec, s[4:5]
	s_cbranch_execnz .LBB79_34
; %bb.35:                               ;   in Loop: Header=BB79_33 Depth=1
	s_or_b64 exec, exec, s[4:5]
	v_add_u32_e32 v0, s11, v0
	v_cmp_le_i32_e32 vcc, s10, v0
	v_add_u32_e32 v1, s11, v1
	s_or_b64 s[2:3], vcc, s[2:3]
	v_add_u32_e32 v4, s7, v4
	s_andn2_b64 exec, exec, s[2:3]
	s_cbranch_execnz .LBB79_33
.LBB79_36:
	s_endpgm
	.section	.rodata,"a",@progbits
	.p2align	6, 0x0
	.amdhsa_kernel _ZN9rocsolver6v33100L21larft_kernel_backwardIdPKPdEEv15rocblas_storev_iiT0_iilPT_lS8_il
		.amdhsa_group_segment_fixed_size 0
		.amdhsa_private_segment_fixed_size 0
		.amdhsa_kernarg_size 336
		.amdhsa_user_sgpr_count 6
		.amdhsa_user_sgpr_private_segment_buffer 1
		.amdhsa_user_sgpr_dispatch_ptr 0
		.amdhsa_user_sgpr_queue_ptr 0
		.amdhsa_user_sgpr_kernarg_segment_ptr 1
		.amdhsa_user_sgpr_dispatch_id 0
		.amdhsa_user_sgpr_flat_scratch_init 0
		.amdhsa_user_sgpr_kernarg_preload_length 0
		.amdhsa_user_sgpr_kernarg_preload_offset 0
		.amdhsa_user_sgpr_private_segment_size 0
		.amdhsa_uses_dynamic_stack 0
		.amdhsa_system_sgpr_private_segment_wavefront_offset 0
		.amdhsa_system_sgpr_workgroup_id_x 1
		.amdhsa_system_sgpr_workgroup_id_y 1
		.amdhsa_system_sgpr_workgroup_id_z 0
		.amdhsa_system_sgpr_workgroup_info 0
		.amdhsa_system_vgpr_workitem_id 0
		.amdhsa_next_free_vgpr 16
		.amdhsa_next_free_sgpr 52
		.amdhsa_accum_offset 16
		.amdhsa_reserve_vcc 1
		.amdhsa_reserve_flat_scratch 0
		.amdhsa_float_round_mode_32 0
		.amdhsa_float_round_mode_16_64 0
		.amdhsa_float_denorm_mode_32 3
		.amdhsa_float_denorm_mode_16_64 3
		.amdhsa_dx10_clamp 1
		.amdhsa_ieee_mode 1
		.amdhsa_fp16_overflow 0
		.amdhsa_tg_split 0
		.amdhsa_exception_fp_ieee_invalid_op 0
		.amdhsa_exception_fp_denorm_src 0
		.amdhsa_exception_fp_ieee_div_zero 0
		.amdhsa_exception_fp_ieee_overflow 0
		.amdhsa_exception_fp_ieee_underflow 0
		.amdhsa_exception_fp_ieee_inexact 0
		.amdhsa_exception_int_div_zero 0
	.end_amdhsa_kernel
	.section	.text._ZN9rocsolver6v33100L21larft_kernel_backwardIdPKPdEEv15rocblas_storev_iiT0_iilPT_lS8_il,"axG",@progbits,_ZN9rocsolver6v33100L21larft_kernel_backwardIdPKPdEEv15rocblas_storev_iiT0_iilPT_lS8_il,comdat
.Lfunc_end79:
	.size	_ZN9rocsolver6v33100L21larft_kernel_backwardIdPKPdEEv15rocblas_storev_iiT0_iilPT_lS8_il, .Lfunc_end79-_ZN9rocsolver6v33100L21larft_kernel_backwardIdPKPdEEv15rocblas_storev_iiT0_iilPT_lS8_il
                                        ; -- End function
	.section	.AMDGPU.csdata,"",@progbits
; Kernel info:
; codeLenInByte = 1508
; NumSgprs: 56
; NumVgprs: 16
; NumAgprs: 0
; TotalNumVgprs: 16
; ScratchSize: 0
; MemoryBound: 0
; FloatMode: 240
; IeeeMode: 1
; LDSByteSize: 0 bytes/workgroup (compile time only)
; SGPRBlocks: 6
; VGPRBlocks: 1
; NumSGPRsForWavesPerEU: 56
; NumVGPRsForWavesPerEU: 16
; AccumOffset: 16
; Occupancy: 8
; WaveLimiterHint : 0
; COMPUTE_PGM_RSRC2:SCRATCH_EN: 0
; COMPUTE_PGM_RSRC2:USER_SGPR: 6
; COMPUTE_PGM_RSRC2:TRAP_HANDLER: 0
; COMPUTE_PGM_RSRC2:TGID_X_EN: 1
; COMPUTE_PGM_RSRC2:TGID_Y_EN: 1
; COMPUTE_PGM_RSRC2:TGID_Z_EN: 0
; COMPUTE_PGM_RSRC2:TIDIG_COMP_CNT: 0
; COMPUTE_PGM_RSRC3_GFX90A:ACCUM_OFFSET: 3
; COMPUTE_PGM_RSRC3_GFX90A:TG_SPLIT: 0
	.section	.text._ZN9rocsolver6v33100L9copymatA1IdPKPdEEviiT0_iilPT_,"axG",@progbits,_ZN9rocsolver6v33100L9copymatA1IdPKPdEEviiT0_iilPT_,comdat
	.globl	_ZN9rocsolver6v33100L9copymatA1IdPKPdEEviiT0_iilPT_ ; -- Begin function _ZN9rocsolver6v33100L9copymatA1IdPKPdEEviiT0_iilPT_
	.p2align	8
	.type	_ZN9rocsolver6v33100L9copymatA1IdPKPdEEviiT0_iilPT_,@function
_ZN9rocsolver6v33100L9copymatA1IdPKPdEEviiT0_iilPT_: ; @_ZN9rocsolver6v33100L9copymatA1IdPKPdEEviiT0_iilPT_
; %bb.0:
	s_load_dword s0, s[4:5], 0x34
	s_load_dwordx2 s[2:3], s[4:5], 0x0
	v_and_b32_e32 v1, 0x3ff, v0
	v_bfe_u32 v0, v0, 10, 10
	s_waitcnt lgkmcnt(0)
	s_lshr_b32 s1, s0, 16
	s_and_b32 s0, s0, 0xffff
	s_mul_i32 s6, s6, s0
	s_mul_i32 s7, s7, s1
	v_add_u32_e32 v1, s6, v1
	v_add_u32_e32 v0, s7, v0
	v_cmp_gt_u32_e32 vcc, s2, v0
	v_cmp_gt_u32_e64 s[0:1], s3, v1
	s_and_b64 s[0:1], s[0:1], vcc
	s_and_saveexec_b64 s[6:7], s[0:1]
	s_cbranch_execz .LBB80_2
; %bb.1:
	s_load_dwordx4 s[12:15], s[4:5], 0x8
	s_load_dwordx2 s[0:1], s[4:5], 0x20
	s_ashr_i32 s4, s2, 31
	s_mul_hi_u32 s6, s2, s8
	s_mul_i32 s4, s4, s8
	s_ashr_i32 s5, s3, 31
	s_add_i32 s4, s6, s4
	s_mul_i32 s6, s2, s8
	s_mul_i32 s5, s6, s5
	s_mul_hi_u32 s7, s6, s3
	s_add_i32 s5, s7, s5
	s_mul_i32 s4, s4, s3
	s_add_i32 s5, s5, s4
	s_mul_i32 s4, s6, s3
	s_lshl_b64 s[4:5], s[4:5], 3
	s_mov_b32 s9, 0
	s_waitcnt lgkmcnt(0)
	s_add_u32 s3, s0, s4
	s_addc_u32 s6, s1, s5
	s_ashr_i32 s1, s14, 31
	s_lshl_b64 s[4:5], s[8:9], 3
	s_add_u32 s4, s12, s4
	s_addc_u32 s5, s13, s5
	s_load_dwordx2 s[4:5], s[4:5], 0x0
	s_mov_b32 s0, s14
	s_lshl_b64 s[0:1], s[0:1], 3
	s_waitcnt lgkmcnt(0)
	s_add_u32 s4, s4, s0
	s_addc_u32 s5, s5, s1
	v_mad_u64_u32 v[2:3], s[0:1], v1, s15, v[0:1]
	v_mov_b32_e32 v3, 0
	v_lshlrev_b64 v[4:5], 3, v[2:3]
	v_mov_b32_e32 v2, s5
	v_add_co_u32_e32 v4, vcc, s4, v4
	v_addc_co_u32_e32 v5, vcc, v2, v5, vcc
	global_load_dwordx2 v[4:5], v[4:5], off
	v_mad_u64_u32 v[0:1], s[0:1], v1, s2, v[0:1]
	v_mov_b32_e32 v1, v3
	v_lshlrev_b64 v[0:1], 3, v[0:1]
	v_mov_b32_e32 v2, s6
	v_add_co_u32_e32 v0, vcc, s3, v0
	v_addc_co_u32_e32 v1, vcc, v2, v1, vcc
	s_waitcnt vmcnt(0)
	global_store_dwordx2 v[0:1], v[4:5], off
.LBB80_2:
	s_endpgm
	.section	.rodata,"a",@progbits
	.p2align	6, 0x0
	.amdhsa_kernel _ZN9rocsolver6v33100L9copymatA1IdPKPdEEviiT0_iilPT_
		.amdhsa_group_segment_fixed_size 0
		.amdhsa_private_segment_fixed_size 0
		.amdhsa_kernarg_size 296
		.amdhsa_user_sgpr_count 6
		.amdhsa_user_sgpr_private_segment_buffer 1
		.amdhsa_user_sgpr_dispatch_ptr 0
		.amdhsa_user_sgpr_queue_ptr 0
		.amdhsa_user_sgpr_kernarg_segment_ptr 1
		.amdhsa_user_sgpr_dispatch_id 0
		.amdhsa_user_sgpr_flat_scratch_init 0
		.amdhsa_user_sgpr_kernarg_preload_length 0
		.amdhsa_user_sgpr_kernarg_preload_offset 0
		.amdhsa_user_sgpr_private_segment_size 0
		.amdhsa_uses_dynamic_stack 0
		.amdhsa_system_sgpr_private_segment_wavefront_offset 0
		.amdhsa_system_sgpr_workgroup_id_x 1
		.amdhsa_system_sgpr_workgroup_id_y 1
		.amdhsa_system_sgpr_workgroup_id_z 1
		.amdhsa_system_sgpr_workgroup_info 0
		.amdhsa_system_vgpr_workitem_id 1
		.amdhsa_next_free_vgpr 6
		.amdhsa_next_free_sgpr 16
		.amdhsa_accum_offset 8
		.amdhsa_reserve_vcc 1
		.amdhsa_reserve_flat_scratch 0
		.amdhsa_float_round_mode_32 0
		.amdhsa_float_round_mode_16_64 0
		.amdhsa_float_denorm_mode_32 3
		.amdhsa_float_denorm_mode_16_64 3
		.amdhsa_dx10_clamp 1
		.amdhsa_ieee_mode 1
		.amdhsa_fp16_overflow 0
		.amdhsa_tg_split 0
		.amdhsa_exception_fp_ieee_invalid_op 0
		.amdhsa_exception_fp_denorm_src 0
		.amdhsa_exception_fp_ieee_div_zero 0
		.amdhsa_exception_fp_ieee_overflow 0
		.amdhsa_exception_fp_ieee_underflow 0
		.amdhsa_exception_fp_ieee_inexact 0
		.amdhsa_exception_int_div_zero 0
	.end_amdhsa_kernel
	.section	.text._ZN9rocsolver6v33100L9copymatA1IdPKPdEEviiT0_iilPT_,"axG",@progbits,_ZN9rocsolver6v33100L9copymatA1IdPKPdEEviiT0_iilPT_,comdat
.Lfunc_end80:
	.size	_ZN9rocsolver6v33100L9copymatA1IdPKPdEEviiT0_iilPT_, .Lfunc_end80-_ZN9rocsolver6v33100L9copymatA1IdPKPdEEviiT0_iilPT_
                                        ; -- End function
	.section	.AMDGPU.csdata,"",@progbits
; Kernel info:
; codeLenInByte = 304
; NumSgprs: 20
; NumVgprs: 6
; NumAgprs: 0
; TotalNumVgprs: 6
; ScratchSize: 0
; MemoryBound: 0
; FloatMode: 240
; IeeeMode: 1
; LDSByteSize: 0 bytes/workgroup (compile time only)
; SGPRBlocks: 2
; VGPRBlocks: 0
; NumSGPRsForWavesPerEU: 20
; NumVGPRsForWavesPerEU: 6
; AccumOffset: 8
; Occupancy: 8
; WaveLimiterHint : 1
; COMPUTE_PGM_RSRC2:SCRATCH_EN: 0
; COMPUTE_PGM_RSRC2:USER_SGPR: 6
; COMPUTE_PGM_RSRC2:TRAP_HANDLER: 0
; COMPUTE_PGM_RSRC2:TGID_X_EN: 1
; COMPUTE_PGM_RSRC2:TGID_Y_EN: 1
; COMPUTE_PGM_RSRC2:TGID_Z_EN: 1
; COMPUTE_PGM_RSRC2:TIDIG_COMP_CNT: 1
; COMPUTE_PGM_RSRC3_GFX90A:ACCUM_OFFSET: 1
; COMPUTE_PGM_RSRC3_GFX90A:TG_SPLIT: 0
	.section	.text._ZN9rocsolver6v33100L8addmatA1IdPKPdEEviiT0_iilPT_,"axG",@progbits,_ZN9rocsolver6v33100L8addmatA1IdPKPdEEviiT0_iilPT_,comdat
	.globl	_ZN9rocsolver6v33100L8addmatA1IdPKPdEEviiT0_iilPT_ ; -- Begin function _ZN9rocsolver6v33100L8addmatA1IdPKPdEEviiT0_iilPT_
	.p2align	8
	.type	_ZN9rocsolver6v33100L8addmatA1IdPKPdEEviiT0_iilPT_,@function
_ZN9rocsolver6v33100L8addmatA1IdPKPdEEviiT0_iilPT_: ; @_ZN9rocsolver6v33100L8addmatA1IdPKPdEEviiT0_iilPT_
; %bb.0:
	s_load_dword s0, s[4:5], 0x34
	s_load_dwordx2 s[10:11], s[4:5], 0x0
	v_and_b32_e32 v1, 0x3ff, v0
	v_bfe_u32 v0, v0, 10, 10
	s_waitcnt lgkmcnt(0)
	s_lshr_b32 s1, s0, 16
	s_and_b32 s0, s0, 0xffff
	s_mul_i32 s6, s6, s0
	s_mul_i32 s7, s7, s1
	v_add_u32_e32 v1, s6, v1
	v_add_u32_e32 v0, s7, v0
	v_cmp_gt_u32_e32 vcc, s10, v0
	v_cmp_gt_u32_e64 s[0:1], s11, v1
	s_and_b64 s[0:1], s[0:1], vcc
	s_and_saveexec_b64 s[2:3], s[0:1]
	s_cbranch_execz .LBB81_2
; %bb.1:
	s_load_dwordx4 s[0:3], s[4:5], 0x8
	s_load_dwordx2 s[6:7], s[4:5], 0x20
	s_ashr_i32 s4, s10, 31
	s_mul_hi_u32 s12, s10, s8
	s_mul_i32 s4, s4, s8
	s_ashr_i32 s5, s11, 31
	s_add_i32 s4, s12, s4
	s_mul_i32 s12, s10, s8
	s_mul_i32 s5, s12, s5
	s_mul_hi_u32 s13, s12, s11
	s_add_i32 s5, s13, s5
	s_mul_i32 s4, s4, s11
	s_add_i32 s5, s5, s4
	s_mul_i32 s4, s12, s11
	s_lshl_b64 s[4:5], s[4:5], 3
	s_mov_b32 s9, 0
	s_waitcnt lgkmcnt(0)
	s_add_u32 s11, s6, s4
	s_addc_u32 s12, s7, s5
	s_ashr_i32 s5, s2, 31
	s_lshl_b64 s[6:7], s[8:9], 3
	s_add_u32 s0, s0, s6
	s_addc_u32 s1, s1, s7
	s_load_dwordx2 s[0:1], s[0:1], 0x0
	s_mov_b32 s4, s2
	s_lshl_b64 s[4:5], s[4:5], 3
	s_waitcnt lgkmcnt(0)
	s_add_u32 s2, s0, s4
	s_addc_u32 s4, s1, s5
	v_mad_u64_u32 v[2:3], s[0:1], v1, s10, v[0:1]
	v_mov_b32_e32 v3, 0
	v_lshlrev_b64 v[4:5], 3, v[2:3]
	v_mad_u64_u32 v[0:1], s[0:1], v1, s3, v[0:1]
	v_mov_b32_e32 v2, s12
	v_add_co_u32_e32 v4, vcc, s11, v4
	v_mov_b32_e32 v1, v3
	v_addc_co_u32_e32 v5, vcc, v2, v5, vcc
	v_lshlrev_b64 v[0:1], 3, v[0:1]
	v_mov_b32_e32 v2, s4
	v_add_co_u32_e32 v0, vcc, s2, v0
	v_addc_co_u32_e32 v1, vcc, v2, v1, vcc
	global_load_dwordx2 v[4:5], v[4:5], off
	s_nop 0
	global_load_dwordx2 v[2:3], v[0:1], off
	s_waitcnt vmcnt(0)
	v_add_f64 v[2:3], v[2:3], -v[4:5]
	global_store_dwordx2 v[0:1], v[2:3], off
.LBB81_2:
	s_endpgm
	.section	.rodata,"a",@progbits
	.p2align	6, 0x0
	.amdhsa_kernel _ZN9rocsolver6v33100L8addmatA1IdPKPdEEviiT0_iilPT_
		.amdhsa_group_segment_fixed_size 0
		.amdhsa_private_segment_fixed_size 0
		.amdhsa_kernarg_size 296
		.amdhsa_user_sgpr_count 6
		.amdhsa_user_sgpr_private_segment_buffer 1
		.amdhsa_user_sgpr_dispatch_ptr 0
		.amdhsa_user_sgpr_queue_ptr 0
		.amdhsa_user_sgpr_kernarg_segment_ptr 1
		.amdhsa_user_sgpr_dispatch_id 0
		.amdhsa_user_sgpr_flat_scratch_init 0
		.amdhsa_user_sgpr_kernarg_preload_length 0
		.amdhsa_user_sgpr_kernarg_preload_offset 0
		.amdhsa_user_sgpr_private_segment_size 0
		.amdhsa_uses_dynamic_stack 0
		.amdhsa_system_sgpr_private_segment_wavefront_offset 0
		.amdhsa_system_sgpr_workgroup_id_x 1
		.amdhsa_system_sgpr_workgroup_id_y 1
		.amdhsa_system_sgpr_workgroup_id_z 1
		.amdhsa_system_sgpr_workgroup_info 0
		.amdhsa_system_vgpr_workitem_id 1
		.amdhsa_next_free_vgpr 6
		.amdhsa_next_free_sgpr 14
		.amdhsa_accum_offset 8
		.amdhsa_reserve_vcc 1
		.amdhsa_reserve_flat_scratch 0
		.amdhsa_float_round_mode_32 0
		.amdhsa_float_round_mode_16_64 0
		.amdhsa_float_denorm_mode_32 3
		.amdhsa_float_denorm_mode_16_64 3
		.amdhsa_dx10_clamp 1
		.amdhsa_ieee_mode 1
		.amdhsa_fp16_overflow 0
		.amdhsa_tg_split 0
		.amdhsa_exception_fp_ieee_invalid_op 0
		.amdhsa_exception_fp_denorm_src 0
		.amdhsa_exception_fp_ieee_div_zero 0
		.amdhsa_exception_fp_ieee_overflow 0
		.amdhsa_exception_fp_ieee_underflow 0
		.amdhsa_exception_fp_ieee_inexact 0
		.amdhsa_exception_int_div_zero 0
	.end_amdhsa_kernel
	.section	.text._ZN9rocsolver6v33100L8addmatA1IdPKPdEEviiT0_iilPT_,"axG",@progbits,_ZN9rocsolver6v33100L8addmatA1IdPKPdEEviiT0_iilPT_,comdat
.Lfunc_end81:
	.size	_ZN9rocsolver6v33100L8addmatA1IdPKPdEEviiT0_iilPT_, .Lfunc_end81-_ZN9rocsolver6v33100L8addmatA1IdPKPdEEviiT0_iilPT_
                                        ; -- End function
	.section	.AMDGPU.csdata,"",@progbits
; Kernel info:
; codeLenInByte = 324
; NumSgprs: 18
; NumVgprs: 6
; NumAgprs: 0
; TotalNumVgprs: 6
; ScratchSize: 0
; MemoryBound: 0
; FloatMode: 240
; IeeeMode: 1
; LDSByteSize: 0 bytes/workgroup (compile time only)
; SGPRBlocks: 2
; VGPRBlocks: 0
; NumSGPRsForWavesPerEU: 18
; NumVGPRsForWavesPerEU: 6
; AccumOffset: 8
; Occupancy: 8
; WaveLimiterHint : 1
; COMPUTE_PGM_RSRC2:SCRATCH_EN: 0
; COMPUTE_PGM_RSRC2:USER_SGPR: 6
; COMPUTE_PGM_RSRC2:TRAP_HANDLER: 0
; COMPUTE_PGM_RSRC2:TGID_X_EN: 1
; COMPUTE_PGM_RSRC2:TGID_Y_EN: 1
; COMPUTE_PGM_RSRC2:TGID_Z_EN: 1
; COMPUTE_PGM_RSRC2:TIDIG_COMP_CNT: 1
; COMPUTE_PGM_RSRC3_GFX90A:ACCUM_OFFSET: 1
; COMPUTE_PGM_RSRC3_GFX90A:TG_SPLIT: 0
	.section	.text._ZN9rocsolver6v33100L8set_zeroIdPKPdEEviiT0_iil13rocblas_fill_,"axG",@progbits,_ZN9rocsolver6v33100L8set_zeroIdPKPdEEviiT0_iil13rocblas_fill_,comdat
	.globl	_ZN9rocsolver6v33100L8set_zeroIdPKPdEEviiT0_iil13rocblas_fill_ ; -- Begin function _ZN9rocsolver6v33100L8set_zeroIdPKPdEEviiT0_iil13rocblas_fill_
	.p2align	8
	.type	_ZN9rocsolver6v33100L8set_zeroIdPKPdEEviiT0_iil13rocblas_fill_,@function
_ZN9rocsolver6v33100L8set_zeroIdPKPdEEviiT0_iil13rocblas_fill_: ; @_ZN9rocsolver6v33100L8set_zeroIdPKPdEEviiT0_iil13rocblas_fill_
; %bb.0:
	s_load_dword s2, s[4:5], 0x34
	s_load_dwordx2 s[0:1], s[4:5], 0x0
	v_and_b32_e32 v1, 0x3ff, v0
	v_bfe_u32 v0, v0, 10, 10
	s_waitcnt lgkmcnt(0)
	s_lshr_b32 s3, s2, 16
	s_and_b32 s2, s2, 0xffff
	s_mul_i32 s6, s6, s2
	s_mul_i32 s7, s7, s3
	v_add_u32_e32 v2, s6, v1
	v_add_u32_e32 v0, s7, v0
	v_cmp_gt_u32_e32 vcc, s0, v2
	v_cmp_gt_u32_e64 s[0:1], s1, v0
	s_and_b64 s[0:1], vcc, s[0:1]
	s_and_saveexec_b64 s[2:3], s[0:1]
	s_cbranch_execz .LBB82_12
; %bb.1:
	s_load_dword s6, s[4:5], 0x20
	s_waitcnt lgkmcnt(0)
	s_cmpk_lt_i32 s6, 0x7a
	s_cbranch_scc1 .LBB82_4
; %bb.2:
	s_cmpk_gt_i32 s6, 0x7a
	s_cbranch_scc0 .LBB82_5
; %bb.3:
	s_cmpk_eq_i32 s6, 0x7b
	s_cselect_b64 s[0:1], -1, 0
	s_cbranch_execz .LBB82_6
	s_branch .LBB82_7
.LBB82_4:
	s_mov_b64 s[0:1], 0
	s_cbranch_execnz .LBB82_8
	s_branch .LBB82_10
.LBB82_5:
	s_mov_b64 s[0:1], 0
.LBB82_6:
	v_cmp_gt_u32_e32 vcc, v0, v2
	s_andn2_b64 s[0:1], s[0:1], exec
	s_and_b64 s[2:3], vcc, exec
	s_or_b64 s[0:1], s[0:1], s[2:3]
.LBB82_7:
	s_branch .LBB82_10
.LBB82_8:
	s_cmpk_eq_i32 s6, 0x79
	s_cbranch_scc0 .LBB82_10
; %bb.9:
	v_cmp_gt_u32_e32 vcc, v2, v0
	s_andn2_b64 s[0:1], s[0:1], exec
	s_and_b64 s[2:3], vcc, exec
	s_or_b64 s[0:1], s[0:1], s[2:3]
.LBB82_10:
	s_and_b64 exec, exec, s[0:1]
	s_cbranch_execz .LBB82_12
; %bb.11:
	s_load_dwordx4 s[0:3], s[4:5], 0x8
	s_mov_b32 s9, 0
	s_lshl_b64 s[4:5], s[8:9], 3
	s_waitcnt lgkmcnt(0)
	s_ashr_i32 s7, s2, 31
	s_add_u32 s0, s0, s4
	s_addc_u32 s1, s1, s5
	s_load_dwordx2 s[0:1], s[0:1], 0x0
	s_mov_b32 s6, s2
	v_mad_u64_u32 v[0:1], s[2:3], v0, s3, v[2:3]
	s_lshl_b64 s[2:3], s[6:7], 3
	v_mov_b32_e32 v1, 0
	s_waitcnt lgkmcnt(0)
	s_add_u32 s0, s0, s2
	v_lshlrev_b64 v[2:3], 3, v[0:1]
	s_addc_u32 s1, s1, s3
	v_mov_b32_e32 v0, s1
	v_add_co_u32_e32 v2, vcc, s0, v2
	v_addc_co_u32_e32 v3, vcc, v0, v3, vcc
	v_mov_b32_e32 v0, v1
	global_store_dwordx2 v[2:3], v[0:1], off
.LBB82_12:
	s_endpgm
	.section	.rodata,"a",@progbits
	.p2align	6, 0x0
	.amdhsa_kernel _ZN9rocsolver6v33100L8set_zeroIdPKPdEEviiT0_iil13rocblas_fill_
		.amdhsa_group_segment_fixed_size 0
		.amdhsa_private_segment_fixed_size 0
		.amdhsa_kernarg_size 296
		.amdhsa_user_sgpr_count 6
		.amdhsa_user_sgpr_private_segment_buffer 1
		.amdhsa_user_sgpr_dispatch_ptr 0
		.amdhsa_user_sgpr_queue_ptr 0
		.amdhsa_user_sgpr_kernarg_segment_ptr 1
		.amdhsa_user_sgpr_dispatch_id 0
		.amdhsa_user_sgpr_flat_scratch_init 0
		.amdhsa_user_sgpr_kernarg_preload_length 0
		.amdhsa_user_sgpr_kernarg_preload_offset 0
		.amdhsa_user_sgpr_private_segment_size 0
		.amdhsa_uses_dynamic_stack 0
		.amdhsa_system_sgpr_private_segment_wavefront_offset 0
		.amdhsa_system_sgpr_workgroup_id_x 1
		.amdhsa_system_sgpr_workgroup_id_y 1
		.amdhsa_system_sgpr_workgroup_id_z 1
		.amdhsa_system_sgpr_workgroup_info 0
		.amdhsa_system_vgpr_workitem_id 1
		.amdhsa_next_free_vgpr 4
		.amdhsa_next_free_sgpr 10
		.amdhsa_accum_offset 4
		.amdhsa_reserve_vcc 1
		.amdhsa_reserve_flat_scratch 0
		.amdhsa_float_round_mode_32 0
		.amdhsa_float_round_mode_16_64 0
		.amdhsa_float_denorm_mode_32 3
		.amdhsa_float_denorm_mode_16_64 3
		.amdhsa_dx10_clamp 1
		.amdhsa_ieee_mode 1
		.amdhsa_fp16_overflow 0
		.amdhsa_tg_split 0
		.amdhsa_exception_fp_ieee_invalid_op 0
		.amdhsa_exception_fp_denorm_src 0
		.amdhsa_exception_fp_ieee_div_zero 0
		.amdhsa_exception_fp_ieee_overflow 0
		.amdhsa_exception_fp_ieee_underflow 0
		.amdhsa_exception_fp_ieee_inexact 0
		.amdhsa_exception_int_div_zero 0
	.end_amdhsa_kernel
	.section	.text._ZN9rocsolver6v33100L8set_zeroIdPKPdEEviiT0_iil13rocblas_fill_,"axG",@progbits,_ZN9rocsolver6v33100L8set_zeroIdPKPdEEviiT0_iil13rocblas_fill_,comdat
.Lfunc_end82:
	.size	_ZN9rocsolver6v33100L8set_zeroIdPKPdEEviiT0_iil13rocblas_fill_, .Lfunc_end82-_ZN9rocsolver6v33100L8set_zeroIdPKPdEEviiT0_iil13rocblas_fill_
                                        ; -- End function
	.section	.AMDGPU.csdata,"",@progbits
; Kernel info:
; codeLenInByte = 308
; NumSgprs: 14
; NumVgprs: 4
; NumAgprs: 0
; TotalNumVgprs: 4
; ScratchSize: 0
; MemoryBound: 0
; FloatMode: 240
; IeeeMode: 1
; LDSByteSize: 0 bytes/workgroup (compile time only)
; SGPRBlocks: 1
; VGPRBlocks: 0
; NumSGPRsForWavesPerEU: 14
; NumVGPRsForWavesPerEU: 4
; AccumOffset: 4
; Occupancy: 8
; WaveLimiterHint : 1
; COMPUTE_PGM_RSRC2:SCRATCH_EN: 0
; COMPUTE_PGM_RSRC2:USER_SGPR: 6
; COMPUTE_PGM_RSRC2:TRAP_HANDLER: 0
; COMPUTE_PGM_RSRC2:TGID_X_EN: 1
; COMPUTE_PGM_RSRC2:TGID_Y_EN: 1
; COMPUTE_PGM_RSRC2:TGID_Z_EN: 1
; COMPUTE_PGM_RSRC2:TIDIG_COMP_CNT: 1
; COMPUTE_PGM_RSRC3_GFX90A:ACCUM_OFFSET: 0
; COMPUTE_PGM_RSRC3_GFX90A:TG_SPLIT: 0
	.section	.text._ZN9rocsolver6v33100L16org2r_init_identIdPKPdEEviiiT0_iil,"axG",@progbits,_ZN9rocsolver6v33100L16org2r_init_identIdPKPdEEviiiT0_iil,comdat
	.globl	_ZN9rocsolver6v33100L16org2r_init_identIdPKPdEEviiiT0_iil ; -- Begin function _ZN9rocsolver6v33100L16org2r_init_identIdPKPdEEviiiT0_iil
	.p2align	8
	.type	_ZN9rocsolver6v33100L16org2r_init_identIdPKPdEEviiiT0_iil,@function
_ZN9rocsolver6v33100L16org2r_init_identIdPKPdEEviiiT0_iil: ; @_ZN9rocsolver6v33100L16org2r_init_identIdPKPdEEviiiT0_iil
; %bb.0:
	s_load_dword s0, s[4:5], 0x34
	s_load_dwordx4 s[12:15], s[4:5], 0x0
	v_bfe_u32 v1, v0, 10, 10
	v_and_b32_e32 v0, 0x3ff, v0
	s_waitcnt lgkmcnt(0)
	s_lshr_b32 s1, s0, 16
	s_and_b32 s0, s0, 0xffff
	s_mul_i32 s7, s7, s1
	s_mul_i32 s6, s6, s0
	v_add_u32_e32 v2, s7, v1
	v_add_u32_e32 v4, s6, v0
	v_cmp_gt_u32_e32 vcc, s12, v4
	v_cmp_gt_u32_e64 s[0:1], s13, v2
	s_and_b64 s[0:1], vcc, s[0:1]
	s_and_saveexec_b64 s[2:3], s[0:1]
	s_cbranch_execz .LBB83_5
; %bb.1:
	s_load_dwordx4 s[0:3], s[4:5], 0x10
	s_mov_b32 s9, 0
	s_lshl_b64 s[4:5], s[8:9], 3
	v_cmp_ne_u32_e32 vcc, v4, v2
	s_mov_b64 s[6:7], 0
	s_waitcnt lgkmcnt(0)
	s_add_u32 s0, s0, s4
	s_addc_u32 s1, s1, s5
	s_load_dwordx2 s[0:1], s[0:1], 0x0
                                        ; implicit-def: $vgpr6_vgpr7
                                        ; implicit-def: $vgpr0
	s_and_saveexec_b64 s[4:5], vcc
	s_xor_b64 s[4:5], exec, s[4:5]
	s_cbranch_execnz .LBB83_6
; %bb.2:
	s_andn2_saveexec_b64 s[4:5], s[4:5]
	s_cbranch_execnz .LBB83_13
.LBB83_3:
	s_or_b64 exec, exec, s[4:5]
	s_and_b64 exec, exec, s[6:7]
	s_cbranch_execz .LBB83_5
.LBB83_4:
	s_ashr_i32 s3, s2, 31
	s_lshl_b64 s[2:3], s[2:3], 3
	s_waitcnt lgkmcnt(0)
	s_add_u32 s0, s0, s2
	v_mov_b32_e32 v1, 0
	s_addc_u32 s1, s1, s3
	v_lshlrev_b64 v[0:1], 3, v[0:1]
	v_mov_b32_e32 v2, s1
	v_add_co_u32_e32 v0, vcc, s0, v0
	v_addc_co_u32_e32 v1, vcc, v2, v1, vcc
	global_store_dwordx2 v[0:1], v[6:7], off
.LBB83_5:
	s_endpgm
.LBB83_6:
	v_cmp_le_u32_e32 vcc, v2, v4
                                        ; implicit-def: $sgpr8_sgpr9
                                        ; implicit-def: $vgpr0
	s_and_saveexec_b64 s[10:11], vcc
	s_xor_b64 s[10:11], exec, s[10:11]
	s_cbranch_execz .LBB83_10
; %bb.7:
	v_cmp_le_u32_e32 vcc, s14, v2
                                        ; implicit-def: $sgpr8_sgpr9
                                        ; implicit-def: $vgpr0
	s_and_saveexec_b64 s[12:13], vcc
	s_xor_b64 s[12:13], exec, s[12:13]
; %bb.8:
	v_mad_u64_u32 v[0:1], s[8:9], v2, s3, v[4:5]
	s_mov_b64 s[6:7], exec
	s_mov_b64 s[8:9], 0
; %bb.9:
	s_or_b64 exec, exec, s[12:13]
	s_and_b64 s[6:7], s[6:7], exec
                                        ; implicit-def: $vgpr4
                                        ; implicit-def: $vgpr2
.LBB83_10:
	s_or_saveexec_b64 s[10:11], s[10:11]
	v_pk_mov_b32 v[6:7], s[8:9], s[8:9] op_sel:[0,1]
	s_xor_b64 exec, exec, s[10:11]
; %bb.11:
	v_mad_u64_u32 v[0:1], s[8:9], v2, s3, v[4:5]
	v_pk_mov_b32 v[6:7], 0, 0
	s_or_b64 s[6:7], s[6:7], exec
; %bb.12:
	s_or_b64 exec, exec, s[10:11]
	s_and_b64 s[6:7], s[6:7], exec
                                        ; implicit-def: $vgpr2
	s_andn2_saveexec_b64 s[4:5], s[4:5]
	s_cbranch_execz .LBB83_3
.LBB83_13:
	v_mov_b32_e32 v6, 0
	v_mad_u64_u32 v[0:1], s[8:9], v2, s3, v[2:3]
	v_mov_b32_e32 v7, 0x3ff00000
	s_or_b64 s[6:7], s[6:7], exec
	s_or_b64 exec, exec, s[4:5]
	s_and_b64 exec, exec, s[6:7]
	s_cbranch_execnz .LBB83_4
	s_branch .LBB83_5
	.section	.rodata,"a",@progbits
	.p2align	6, 0x0
	.amdhsa_kernel _ZN9rocsolver6v33100L16org2r_init_identIdPKPdEEviiiT0_iil
		.amdhsa_group_segment_fixed_size 0
		.amdhsa_private_segment_fixed_size 0
		.amdhsa_kernarg_size 296
		.amdhsa_user_sgpr_count 6
		.amdhsa_user_sgpr_private_segment_buffer 1
		.amdhsa_user_sgpr_dispatch_ptr 0
		.amdhsa_user_sgpr_queue_ptr 0
		.amdhsa_user_sgpr_kernarg_segment_ptr 1
		.amdhsa_user_sgpr_dispatch_id 0
		.amdhsa_user_sgpr_flat_scratch_init 0
		.amdhsa_user_sgpr_kernarg_preload_length 0
		.amdhsa_user_sgpr_kernarg_preload_offset 0
		.amdhsa_user_sgpr_private_segment_size 0
		.amdhsa_uses_dynamic_stack 0
		.amdhsa_system_sgpr_private_segment_wavefront_offset 0
		.amdhsa_system_sgpr_workgroup_id_x 1
		.amdhsa_system_sgpr_workgroup_id_y 1
		.amdhsa_system_sgpr_workgroup_id_z 1
		.amdhsa_system_sgpr_workgroup_info 0
		.amdhsa_system_vgpr_workitem_id 1
		.amdhsa_next_free_vgpr 8
		.amdhsa_next_free_sgpr 16
		.amdhsa_accum_offset 8
		.amdhsa_reserve_vcc 1
		.amdhsa_reserve_flat_scratch 0
		.amdhsa_float_round_mode_32 0
		.amdhsa_float_round_mode_16_64 0
		.amdhsa_float_denorm_mode_32 3
		.amdhsa_float_denorm_mode_16_64 3
		.amdhsa_dx10_clamp 1
		.amdhsa_ieee_mode 1
		.amdhsa_fp16_overflow 0
		.amdhsa_tg_split 0
		.amdhsa_exception_fp_ieee_invalid_op 0
		.amdhsa_exception_fp_denorm_src 0
		.amdhsa_exception_fp_ieee_div_zero 0
		.amdhsa_exception_fp_ieee_overflow 0
		.amdhsa_exception_fp_ieee_underflow 0
		.amdhsa_exception_fp_ieee_inexact 0
		.amdhsa_exception_int_div_zero 0
	.end_amdhsa_kernel
	.section	.text._ZN9rocsolver6v33100L16org2r_init_identIdPKPdEEviiiT0_iil,"axG",@progbits,_ZN9rocsolver6v33100L16org2r_init_identIdPKPdEEviiiT0_iil,comdat
.Lfunc_end83:
	.size	_ZN9rocsolver6v33100L16org2r_init_identIdPKPdEEviiiT0_iil, .Lfunc_end83-_ZN9rocsolver6v33100L16org2r_init_identIdPKPdEEviiiT0_iil
                                        ; -- End function
	.section	.AMDGPU.csdata,"",@progbits
; Kernel info:
; codeLenInByte = 364
; NumSgprs: 20
; NumVgprs: 8
; NumAgprs: 0
; TotalNumVgprs: 8
; ScratchSize: 0
; MemoryBound: 0
; FloatMode: 240
; IeeeMode: 1
; LDSByteSize: 0 bytes/workgroup (compile time only)
; SGPRBlocks: 2
; VGPRBlocks: 0
; NumSGPRsForWavesPerEU: 20
; NumVGPRsForWavesPerEU: 8
; AccumOffset: 8
; Occupancy: 8
; WaveLimiterHint : 1
; COMPUTE_PGM_RSRC2:SCRATCH_EN: 0
; COMPUTE_PGM_RSRC2:USER_SGPR: 6
; COMPUTE_PGM_RSRC2:TRAP_HANDLER: 0
; COMPUTE_PGM_RSRC2:TGID_X_EN: 1
; COMPUTE_PGM_RSRC2:TGID_Y_EN: 1
; COMPUTE_PGM_RSRC2:TGID_Z_EN: 1
; COMPUTE_PGM_RSRC2:TIDIG_COMP_CNT: 1
; COMPUTE_PGM_RSRC3_GFX90A:ACCUM_OFFSET: 1
; COMPUTE_PGM_RSRC3_GFX90A:TG_SPLIT: 0
	.section	.text._ZN9rocsolver6v33100L12subtract_tauIdPKPdEEviiT0_iilPT_l,"axG",@progbits,_ZN9rocsolver6v33100L12subtract_tauIdPKPdEEviiT0_iilPT_l,comdat
	.globl	_ZN9rocsolver6v33100L12subtract_tauIdPKPdEEviiT0_iilPT_l ; -- Begin function _ZN9rocsolver6v33100L12subtract_tauIdPKPdEEviiT0_iilPT_l
	.p2align	8
	.type	_ZN9rocsolver6v33100L12subtract_tauIdPKPdEEviiT0_iilPT_l,@function
_ZN9rocsolver6v33100L12subtract_tauIdPKPdEEviiT0_iilPT_l: ; @_ZN9rocsolver6v33100L12subtract_tauIdPKPdEEviiT0_iilPT_l
; %bb.0:
	s_load_dwordx2 s[12:13], s[4:5], 0x10
	s_load_dwordx4 s[0:3], s[4:5], 0x0
	s_mov_b32 s7, 0
	s_load_dwordx4 s[8:11], s[4:5], 0x20
	s_lshl_b64 s[14:15], s[6:7], 3
	s_waitcnt lgkmcnt(0)
	s_ashr_i32 s5, s12, 31
	s_add_u32 s2, s2, s14
	s_addc_u32 s3, s3, s15
	s_load_dwordx2 s[2:3], s[2:3], 0x0
	s_mov_b32 s4, s12
	s_lshl_b64 s[4:5], s[4:5], 3
	s_mul_i32 s7, s6, s11
	s_mul_i32 s1, s13, s1
	s_waitcnt lgkmcnt(0)
	s_add_u32 s11, s2, s4
	s_mul_hi_u32 s2, s6, s10
	s_addc_u32 s12, s3, s5
	s_add_i32 s3, s2, s7
	s_mul_i32 s2, s6, s10
	s_lshl_b64 s[2:3], s[2:3], 3
	s_add_u32 s2, s8, s2
	s_addc_u32 s3, s9, s3
	s_load_dwordx2 s[4:5], s[2:3], 0x0
	s_add_i32 s0, s1, s0
	s_ashr_i32 s1, s0, 31
	s_lshl_b64 s[0:1], s[0:1], 3
	v_mov_b32_e32 v2, 0
	s_waitcnt lgkmcnt(0)
	s_xor_b32 s6, s5, 0x80000000
	v_mov_b32_e32 v0, s4
	v_mov_b32_e32 v1, s6
	s_add_u32 s0, s11, s0
	global_store_dwordx2 v2, v[0:1], s[2:3]
	v_add_f64 v[0:1], -s[4:5], 1.0
	s_addc_u32 s1, s12, s1
	global_store_dwordx2 v2, v[0:1], s[0:1]
	s_endpgm
	.section	.rodata,"a",@progbits
	.p2align	6, 0x0
	.amdhsa_kernel _ZN9rocsolver6v33100L12subtract_tauIdPKPdEEviiT0_iilPT_l
		.amdhsa_group_segment_fixed_size 0
		.amdhsa_private_segment_fixed_size 0
		.amdhsa_kernarg_size 48
		.amdhsa_user_sgpr_count 6
		.amdhsa_user_sgpr_private_segment_buffer 1
		.amdhsa_user_sgpr_dispatch_ptr 0
		.amdhsa_user_sgpr_queue_ptr 0
		.amdhsa_user_sgpr_kernarg_segment_ptr 1
		.amdhsa_user_sgpr_dispatch_id 0
		.amdhsa_user_sgpr_flat_scratch_init 0
		.amdhsa_user_sgpr_kernarg_preload_length 0
		.amdhsa_user_sgpr_kernarg_preload_offset 0
		.amdhsa_user_sgpr_private_segment_size 0
		.amdhsa_uses_dynamic_stack 0
		.amdhsa_system_sgpr_private_segment_wavefront_offset 0
		.amdhsa_system_sgpr_workgroup_id_x 1
		.amdhsa_system_sgpr_workgroup_id_y 0
		.amdhsa_system_sgpr_workgroup_id_z 0
		.amdhsa_system_sgpr_workgroup_info 0
		.amdhsa_system_vgpr_workitem_id 0
		.amdhsa_next_free_vgpr 3
		.amdhsa_next_free_sgpr 16
		.amdhsa_accum_offset 4
		.amdhsa_reserve_vcc 0
		.amdhsa_reserve_flat_scratch 0
		.amdhsa_float_round_mode_32 0
		.amdhsa_float_round_mode_16_64 0
		.amdhsa_float_denorm_mode_32 3
		.amdhsa_float_denorm_mode_16_64 3
		.amdhsa_dx10_clamp 1
		.amdhsa_ieee_mode 1
		.amdhsa_fp16_overflow 0
		.amdhsa_tg_split 0
		.amdhsa_exception_fp_ieee_invalid_op 0
		.amdhsa_exception_fp_denorm_src 0
		.amdhsa_exception_fp_ieee_div_zero 0
		.amdhsa_exception_fp_ieee_overflow 0
		.amdhsa_exception_fp_ieee_underflow 0
		.amdhsa_exception_fp_ieee_inexact 0
		.amdhsa_exception_int_div_zero 0
	.end_amdhsa_kernel
	.section	.text._ZN9rocsolver6v33100L12subtract_tauIdPKPdEEviiT0_iilPT_l,"axG",@progbits,_ZN9rocsolver6v33100L12subtract_tauIdPKPdEEviiT0_iilPT_l,comdat
.Lfunc_end84:
	.size	_ZN9rocsolver6v33100L12subtract_tauIdPKPdEEviiT0_iilPT_l, .Lfunc_end84-_ZN9rocsolver6v33100L12subtract_tauIdPKPdEEviiT0_iilPT_l
                                        ; -- End function
	.section	.AMDGPU.csdata,"",@progbits
; Kernel info:
; codeLenInByte = 188
; NumSgprs: 20
; NumVgprs: 3
; NumAgprs: 0
; TotalNumVgprs: 3
; ScratchSize: 0
; MemoryBound: 0
; FloatMode: 240
; IeeeMode: 1
; LDSByteSize: 0 bytes/workgroup (compile time only)
; SGPRBlocks: 2
; VGPRBlocks: 0
; NumSGPRsForWavesPerEU: 20
; NumVGPRsForWavesPerEU: 3
; AccumOffset: 4
; Occupancy: 8
; WaveLimiterHint : 1
; COMPUTE_PGM_RSRC2:SCRATCH_EN: 0
; COMPUTE_PGM_RSRC2:USER_SGPR: 6
; COMPUTE_PGM_RSRC2:TRAP_HANDLER: 0
; COMPUTE_PGM_RSRC2:TGID_X_EN: 1
; COMPUTE_PGM_RSRC2:TGID_Y_EN: 0
; COMPUTE_PGM_RSRC2:TGID_Z_EN: 0
; COMPUTE_PGM_RSRC2:TIDIG_COMP_CNT: 0
; COMPUTE_PGM_RSRC3_GFX90A:ACCUM_OFFSET: 0
; COMPUTE_PGM_RSRC3_GFX90A:TG_SPLIT: 0
	.section	.text._ZN9rocsolver6v33100L6restauIdEEviPT_l,"axG",@progbits,_ZN9rocsolver6v33100L6restauIdEEviPT_l,comdat
	.globl	_ZN9rocsolver6v33100L6restauIdEEviPT_l ; -- Begin function _ZN9rocsolver6v33100L6restauIdEEviPT_l
	.p2align	8
	.type	_ZN9rocsolver6v33100L6restauIdEEviPT_l,@function
_ZN9rocsolver6v33100L6restauIdEEviPT_l: ; @_ZN9rocsolver6v33100L6restauIdEEviPT_l
; %bb.0:
	s_load_dword s0, s[4:5], 0x24
	s_load_dword s1, s[4:5], 0x0
	s_waitcnt lgkmcnt(0)
	s_and_b32 s0, s0, 0xffff
	s_mul_i32 s6, s6, s0
	v_add_u32_e32 v0, s6, v0
	v_cmp_gt_u32_e32 vcc, s1, v0
	s_and_saveexec_b64 s[0:1], vcc
	s_cbranch_execz .LBB85_2
; %bb.1:
	s_load_dwordx4 s[0:3], s[4:5], 0x8
	v_mov_b32_e32 v1, 0
	v_lshlrev_b64 v[0:1], 3, v[0:1]
	s_waitcnt lgkmcnt(0)
	s_mul_i32 s3, s7, s3
	s_mul_hi_u32 s4, s7, s2
	s_mul_i32 s2, s7, s2
	s_add_i32 s3, s4, s3
	s_lshl_b64 s[2:3], s[2:3], 3
	s_add_u32 s0, s0, s2
	s_addc_u32 s1, s1, s3
	v_mov_b32_e32 v2, s1
	v_add_co_u32_e32 v0, vcc, s0, v0
	v_addc_co_u32_e32 v1, vcc, v2, v1, vcc
	global_load_dwordx2 v[2:3], v[0:1], off
	s_waitcnt vmcnt(0)
	v_xor_b32_e32 v3, 0x80000000, v3
	global_store_dwordx2 v[0:1], v[2:3], off
.LBB85_2:
	s_endpgm
	.section	.rodata,"a",@progbits
	.p2align	6, 0x0
	.amdhsa_kernel _ZN9rocsolver6v33100L6restauIdEEviPT_l
		.amdhsa_group_segment_fixed_size 0
		.amdhsa_private_segment_fixed_size 0
		.amdhsa_kernarg_size 280
		.amdhsa_user_sgpr_count 6
		.amdhsa_user_sgpr_private_segment_buffer 1
		.amdhsa_user_sgpr_dispatch_ptr 0
		.amdhsa_user_sgpr_queue_ptr 0
		.amdhsa_user_sgpr_kernarg_segment_ptr 1
		.amdhsa_user_sgpr_dispatch_id 0
		.amdhsa_user_sgpr_flat_scratch_init 0
		.amdhsa_user_sgpr_kernarg_preload_length 0
		.amdhsa_user_sgpr_kernarg_preload_offset 0
		.amdhsa_user_sgpr_private_segment_size 0
		.amdhsa_uses_dynamic_stack 0
		.amdhsa_system_sgpr_private_segment_wavefront_offset 0
		.amdhsa_system_sgpr_workgroup_id_x 1
		.amdhsa_system_sgpr_workgroup_id_y 1
		.amdhsa_system_sgpr_workgroup_id_z 0
		.amdhsa_system_sgpr_workgroup_info 0
		.amdhsa_system_vgpr_workitem_id 0
		.amdhsa_next_free_vgpr 4
		.amdhsa_next_free_sgpr 8
		.amdhsa_accum_offset 4
		.amdhsa_reserve_vcc 1
		.amdhsa_reserve_flat_scratch 0
		.amdhsa_float_round_mode_32 0
		.amdhsa_float_round_mode_16_64 0
		.amdhsa_float_denorm_mode_32 3
		.amdhsa_float_denorm_mode_16_64 3
		.amdhsa_dx10_clamp 1
		.amdhsa_ieee_mode 1
		.amdhsa_fp16_overflow 0
		.amdhsa_tg_split 0
		.amdhsa_exception_fp_ieee_invalid_op 0
		.amdhsa_exception_fp_denorm_src 0
		.amdhsa_exception_fp_ieee_div_zero 0
		.amdhsa_exception_fp_ieee_overflow 0
		.amdhsa_exception_fp_ieee_underflow 0
		.amdhsa_exception_fp_ieee_inexact 0
		.amdhsa_exception_int_div_zero 0
	.end_amdhsa_kernel
	.section	.text._ZN9rocsolver6v33100L6restauIdEEviPT_l,"axG",@progbits,_ZN9rocsolver6v33100L6restauIdEEviPT_l,comdat
.Lfunc_end85:
	.size	_ZN9rocsolver6v33100L6restauIdEEviPT_l, .Lfunc_end85-_ZN9rocsolver6v33100L6restauIdEEviPT_l
                                        ; -- End function
	.section	.AMDGPU.csdata,"",@progbits
; Kernel info:
; codeLenInByte = 144
; NumSgprs: 12
; NumVgprs: 4
; NumAgprs: 0
; TotalNumVgprs: 4
; ScratchSize: 0
; MemoryBound: 0
; FloatMode: 240
; IeeeMode: 1
; LDSByteSize: 0 bytes/workgroup (compile time only)
; SGPRBlocks: 1
; VGPRBlocks: 0
; NumSGPRsForWavesPerEU: 12
; NumVGPRsForWavesPerEU: 4
; AccumOffset: 4
; Occupancy: 8
; WaveLimiterHint : 0
; COMPUTE_PGM_RSRC2:SCRATCH_EN: 0
; COMPUTE_PGM_RSRC2:USER_SGPR: 6
; COMPUTE_PGM_RSRC2:TRAP_HANDLER: 0
; COMPUTE_PGM_RSRC2:TGID_X_EN: 1
; COMPUTE_PGM_RSRC2:TGID_Y_EN: 1
; COMPUTE_PGM_RSRC2:TGID_Z_EN: 0
; COMPUTE_PGM_RSRC2:TIDIG_COMP_CNT: 0
; COMPUTE_PGM_RSRC3_GFX90A:ACCUM_OFFSET: 0
; COMPUTE_PGM_RSRC3_GFX90A:TG_SPLIT: 0
	.section	.text._ZN9rocsolver6v33100L15copyshift_rightIdPKPdEEvbiT0_iilPT_iil,"axG",@progbits,_ZN9rocsolver6v33100L15copyshift_rightIdPKPdEEvbiT0_iilPT_iil,comdat
	.globl	_ZN9rocsolver6v33100L15copyshift_rightIdPKPdEEvbiT0_iilPT_iil ; -- Begin function _ZN9rocsolver6v33100L15copyshift_rightIdPKPdEEvbiT0_iilPT_iil
	.p2align	8
	.type	_ZN9rocsolver6v33100L15copyshift_rightIdPKPdEEvbiT0_iilPT_iil,@function
_ZN9rocsolver6v33100L15copyshift_rightIdPKPdEEvbiT0_iilPT_iil: ; @_ZN9rocsolver6v33100L15copyshift_rightIdPKPdEEvbiT0_iilPT_iil
; %bb.0:
	s_load_dwordx4 s[0:3], s[4:5], 0x0
	s_load_dword s9, s[4:5], 0x44
	s_load_dwordx2 s[10:11], s[4:5], 0x10
	v_and_b32_e32 v1, 0x3ff, v0
	v_bfe_u32 v0, v0, 10, 10
	s_waitcnt lgkmcnt(0)
	s_bitcmp1_b32 s0, 0
	s_cselect_b64 s[12:13], -1, 0
	s_and_b32 s0, s9, 0xffff
	s_lshr_b32 s9, s9, 16
	s_mul_i32 s16, s7, s9
	s_mov_b32 s9, 0
	s_xor_b64 s[12:13], s[12:13], -1
	s_ashr_i32 s7, s10, 31
	s_lshl_b64 s[14:15], s[8:9], 3
	s_add_u32 s2, s2, s14
	s_addc_u32 s3, s3, s15
	s_load_dwordx2 s[2:3], s[2:3], 0x0
	s_mul_i32 s6, s6, s0
	v_add_u32_e32 v2, s6, v1
	v_add_u32_e32 v0, s16, v0
	s_mov_b32 s6, s10
	s_lshl_b64 s[6:7], s[6:7], 3
	v_or_b32_e32 v1, v2, v0
	s_waitcnt lgkmcnt(0)
	s_add_u32 s6, s2, s6
	v_cmp_eq_u32_e32 vcc, 0, v1
	s_addc_u32 s7, s3, s7
	s_and_b64 s[14:15], vcc, s[12:13]
	s_and_saveexec_b64 s[2:3], s[14:15]
	s_cbranch_execz .LBB86_2
; %bb.1:
	v_mov_b32_e32 v4, 0
	v_mov_b32_e32 v5, 0x3ff00000
	global_store_dwordx2 v4, v[4:5], s[6:7]
.LBB86_2:
	s_or_b64 exec, exec, s[2:3]
	v_max_u32_e32 v1, v0, v2
	v_cmp_gt_u32_e32 vcc, s1, v1
	v_cmp_le_u32_e64 s[0:1], v0, v2
	s_and_b64 s[0:1], s[0:1], vcc
	s_and_saveexec_b64 s[2:3], s[0:1]
	s_cbranch_execz .LBB86_13
; %bb.3:
	s_load_dwordx4 s[0:3], s[4:5], 0x20
	s_load_dwordx2 s[14:15], s[4:5], 0x30
	s_waitcnt lgkmcnt(0)
	s_ashr_i32 s5, s2, 31
	s_mov_b32 s4, s2
	s_mul_i32 s2, s8, s15
	s_mul_hi_u32 s9, s8, s14
	s_add_i32 s9, s9, s2
	s_mul_i32 s8, s8, s14
	s_lshl_b64 s[8:9], s[8:9], 3
	s_add_u32 s2, s0, s8
	s_addc_u32 s8, s1, s9
	s_lshl_b64 s[0:1], s[4:5], 3
	s_add_u32 s4, s2, s0
	s_addc_u32 s5, s8, s1
	v_mad_u64_u32 v[4:5], s[0:1], v0, v0, v[0:1]
	v_lshrrev_b32_e32 v1, 1, v4
	s_and_b64 vcc, exec, s[12:13]
	s_cbranch_vccz .LBB86_7
; %bb.4:
	v_mad_u64_u32 v[4:5], s[0:1], v0, s3, v[2:3]
	v_sub_u32_e32 v4, v4, v1
	v_mov_b32_e32 v5, 0
	v_lshlrev_b64 v[6:7], 3, v[4:5]
	v_mov_b32_e32 v3, s5
	v_add_co_u32_e32 v6, vcc, s4, v6
	v_addc_co_u32_e32 v7, vcc, v3, v7, vcc
	global_load_dwordx2 v[6:7], v[6:7], off
	v_mul_lo_u32 v3, v0, s11
	v_add3_u32 v4, v2, v3, 1
	v_lshlrev_b64 v[4:5], 3, v[4:5]
	v_mov_b32_e32 v8, s7
	v_add_co_u32_e64 v4, s[0:1], s6, v4
	v_addc_co_u32_e64 v5, s[0:1], v8, v5, s[0:1]
	v_cmp_eq_u32_e32 vcc, v2, v0
	s_mov_b64 s[8:9], 0
	s_mov_b64 s[0:1], 0
                                        ; implicit-def: $sgpr12_sgpr13
	s_waitcnt vmcnt(0)
	global_store_dwordx2 v[4:5], v[6:7], off
                                        ; implicit-def: $vgpr4
	s_and_saveexec_b64 s[14:15], vcc
	s_xor_b64 s[14:15], exec, s[14:15]
; %bb.5:
	s_mov_b64 s[0:1], exec
	v_add_u32_e32 v4, s11, v3
	s_mov_b64 s[12:13], 0
; %bb.6:
	s_or_b64 exec, exec, s[14:15]
	s_and_b64 vcc, exec, s[8:9]
	v_pk_mov_b32 v[6:7], s[12:13], s[12:13] op_sel:[0,1]
	s_cbranch_vccnz .LBB86_8
	s_branch .LBB86_11
.LBB86_7:
	s_mov_b64 s[0:1], 0
                                        ; implicit-def: $sgpr12_sgpr13
                                        ; implicit-def: $vgpr4
	v_pk_mov_b32 v[6:7], s[12:13], s[12:13] op_sel:[0,1]
	s_cbranch_execz .LBB86_11
.LBB86_8:
	v_cmp_ne_u32_e32 vcc, 0, v0
	v_pk_mov_b32 v[6:7], 0, 0
	s_and_saveexec_b64 s[0:1], vcc
	s_cbranch_execz .LBB86_10
; %bb.9:
	v_add_u32_e32 v3, -1, v0
	v_mul_lo_u32 v3, v3, s11
	v_add3_u32 v4, v2, v3, 1
	v_mov_b32_e32 v5, 0
	v_lshlrev_b64 v[4:5], 3, v[4:5]
	v_mov_b32_e32 v3, s7
	v_add_co_u32_e32 v4, vcc, s6, v4
	v_addc_co_u32_e32 v5, vcc, v3, v5, vcc
	global_load_dwordx2 v[6:7], v[4:5], off
.LBB86_10:
	s_or_b64 exec, exec, s[0:1]
	v_mad_u64_u32 v[2:3], s[0:1], v0, s3, v[2:3]
	v_sub_u32_e32 v4, v2, v1
	s_mov_b64 s[0:1], -1
	s_mov_b64 s[6:7], s[4:5]
.LBB86_11:
	s_and_b64 exec, exec, s[0:1]
	s_cbranch_execz .LBB86_13
; %bb.12:
	v_mov_b32_e32 v5, 0
	v_lshlrev_b64 v[0:1], 3, v[4:5]
	v_mov_b32_e32 v2, s7
	v_add_co_u32_e32 v0, vcc, s6, v0
	v_addc_co_u32_e32 v1, vcc, v2, v1, vcc
	s_waitcnt vmcnt(0)
	global_store_dwordx2 v[0:1], v[6:7], off
.LBB86_13:
	s_endpgm
	.section	.rodata,"a",@progbits
	.p2align	6, 0x0
	.amdhsa_kernel _ZN9rocsolver6v33100L15copyshift_rightIdPKPdEEvbiT0_iilPT_iil
		.amdhsa_group_segment_fixed_size 0
		.amdhsa_private_segment_fixed_size 0
		.amdhsa_kernarg_size 312
		.amdhsa_user_sgpr_count 6
		.amdhsa_user_sgpr_private_segment_buffer 1
		.amdhsa_user_sgpr_dispatch_ptr 0
		.amdhsa_user_sgpr_queue_ptr 0
		.amdhsa_user_sgpr_kernarg_segment_ptr 1
		.amdhsa_user_sgpr_dispatch_id 0
		.amdhsa_user_sgpr_flat_scratch_init 0
		.amdhsa_user_sgpr_kernarg_preload_length 0
		.amdhsa_user_sgpr_kernarg_preload_offset 0
		.amdhsa_user_sgpr_private_segment_size 0
		.amdhsa_uses_dynamic_stack 0
		.amdhsa_system_sgpr_private_segment_wavefront_offset 0
		.amdhsa_system_sgpr_workgroup_id_x 1
		.amdhsa_system_sgpr_workgroup_id_y 1
		.amdhsa_system_sgpr_workgroup_id_z 1
		.amdhsa_system_sgpr_workgroup_info 0
		.amdhsa_system_vgpr_workitem_id 1
		.amdhsa_next_free_vgpr 9
		.amdhsa_next_free_sgpr 17
		.amdhsa_accum_offset 12
		.amdhsa_reserve_vcc 1
		.amdhsa_reserve_flat_scratch 0
		.amdhsa_float_round_mode_32 0
		.amdhsa_float_round_mode_16_64 0
		.amdhsa_float_denorm_mode_32 3
		.amdhsa_float_denorm_mode_16_64 3
		.amdhsa_dx10_clamp 1
		.amdhsa_ieee_mode 1
		.amdhsa_fp16_overflow 0
		.amdhsa_tg_split 0
		.amdhsa_exception_fp_ieee_invalid_op 0
		.amdhsa_exception_fp_denorm_src 0
		.amdhsa_exception_fp_ieee_div_zero 0
		.amdhsa_exception_fp_ieee_overflow 0
		.amdhsa_exception_fp_ieee_underflow 0
		.amdhsa_exception_fp_ieee_inexact 0
		.amdhsa_exception_int_div_zero 0
	.end_amdhsa_kernel
	.section	.text._ZN9rocsolver6v33100L15copyshift_rightIdPKPdEEvbiT0_iilPT_iil,"axG",@progbits,_ZN9rocsolver6v33100L15copyshift_rightIdPKPdEEvbiT0_iilPT_iil,comdat
.Lfunc_end86:
	.size	_ZN9rocsolver6v33100L15copyshift_rightIdPKPdEEvbiT0_iilPT_iil, .Lfunc_end86-_ZN9rocsolver6v33100L15copyshift_rightIdPKPdEEvbiT0_iilPT_iil
                                        ; -- End function
	.section	.AMDGPU.csdata,"",@progbits
; Kernel info:
; codeLenInByte = 608
; NumSgprs: 21
; NumVgprs: 9
; NumAgprs: 0
; TotalNumVgprs: 9
; ScratchSize: 0
; MemoryBound: 0
; FloatMode: 240
; IeeeMode: 1
; LDSByteSize: 0 bytes/workgroup (compile time only)
; SGPRBlocks: 2
; VGPRBlocks: 1
; NumSGPRsForWavesPerEU: 21
; NumVGPRsForWavesPerEU: 9
; AccumOffset: 12
; Occupancy: 8
; WaveLimiterHint : 1
; COMPUTE_PGM_RSRC2:SCRATCH_EN: 0
; COMPUTE_PGM_RSRC2:USER_SGPR: 6
; COMPUTE_PGM_RSRC2:TRAP_HANDLER: 0
; COMPUTE_PGM_RSRC2:TGID_X_EN: 1
; COMPUTE_PGM_RSRC2:TGID_Y_EN: 1
; COMPUTE_PGM_RSRC2:TGID_Z_EN: 1
; COMPUTE_PGM_RSRC2:TIDIG_COMP_CNT: 1
; COMPUTE_PGM_RSRC3_GFX90A:ACCUM_OFFSET: 2
; COMPUTE_PGM_RSRC3_GFX90A:TG_SPLIT: 0
	.section	.text._ZN9rocsolver6v33100L16orgl2_init_identIdPKPdEEviiiT0_iil,"axG",@progbits,_ZN9rocsolver6v33100L16orgl2_init_identIdPKPdEEviiiT0_iil,comdat
	.globl	_ZN9rocsolver6v33100L16orgl2_init_identIdPKPdEEviiiT0_iil ; -- Begin function _ZN9rocsolver6v33100L16orgl2_init_identIdPKPdEEviiiT0_iil
	.p2align	8
	.type	_ZN9rocsolver6v33100L16orgl2_init_identIdPKPdEEviiiT0_iil,@function
_ZN9rocsolver6v33100L16orgl2_init_identIdPKPdEEviiiT0_iil: ; @_ZN9rocsolver6v33100L16orgl2_init_identIdPKPdEEviiiT0_iil
; %bb.0:
	s_load_dword s0, s[4:5], 0x34
	s_load_dwordx4 s[12:15], s[4:5], 0x0
	v_bfe_u32 v1, v0, 10, 10
	v_and_b32_e32 v0, 0x3ff, v0
	s_waitcnt lgkmcnt(0)
	s_lshr_b32 s1, s0, 16
	s_and_b32 s0, s0, 0xffff
	s_mul_i32 s7, s7, s1
	s_mul_i32 s6, s6, s0
	v_add_u32_e32 v2, s7, v1
	v_add_u32_e32 v4, s6, v0
	v_cmp_gt_u32_e32 vcc, s12, v4
	v_cmp_gt_u32_e64 s[0:1], s13, v2
	s_and_b64 s[0:1], vcc, s[0:1]
	s_and_saveexec_b64 s[2:3], s[0:1]
	s_cbranch_execz .LBB87_5
; %bb.1:
	s_load_dwordx4 s[0:3], s[4:5], 0x10
	s_mov_b32 s9, 0
	s_lshl_b64 s[4:5], s[8:9], 3
	v_cmp_ne_u32_e32 vcc, v4, v2
	s_mov_b64 s[6:7], 0
	s_waitcnt lgkmcnt(0)
	s_add_u32 s0, s0, s4
	s_addc_u32 s1, s1, s5
	s_load_dwordx2 s[0:1], s[0:1], 0x0
                                        ; implicit-def: $vgpr6_vgpr7
                                        ; implicit-def: $vgpr0
	s_and_saveexec_b64 s[4:5], vcc
	s_xor_b64 s[4:5], exec, s[4:5]
	s_cbranch_execnz .LBB87_6
; %bb.2:
	s_andn2_saveexec_b64 s[4:5], s[4:5]
	s_cbranch_execnz .LBB87_13
.LBB87_3:
	s_or_b64 exec, exec, s[4:5]
	s_and_b64 exec, exec, s[6:7]
	s_cbranch_execz .LBB87_5
.LBB87_4:
	s_ashr_i32 s3, s2, 31
	s_lshl_b64 s[2:3], s[2:3], 3
	s_waitcnt lgkmcnt(0)
	s_add_u32 s0, s0, s2
	v_mov_b32_e32 v1, 0
	s_addc_u32 s1, s1, s3
	v_lshlrev_b64 v[0:1], 3, v[0:1]
	v_mov_b32_e32 v2, s1
	v_add_co_u32_e32 v0, vcc, s0, v0
	v_addc_co_u32_e32 v1, vcc, v2, v1, vcc
	global_store_dwordx2 v[0:1], v[6:7], off
.LBB87_5:
	s_endpgm
.LBB87_6:
	v_cmp_ge_u32_e32 vcc, v2, v4
                                        ; implicit-def: $sgpr8_sgpr9
                                        ; implicit-def: $vgpr0
	s_and_saveexec_b64 s[10:11], vcc
	s_xor_b64 s[10:11], exec, s[10:11]
	s_cbranch_execz .LBB87_10
; %bb.7:
	v_cmp_le_u32_e32 vcc, s14, v4
                                        ; implicit-def: $sgpr8_sgpr9
                                        ; implicit-def: $vgpr0
	s_and_saveexec_b64 s[12:13], vcc
	s_xor_b64 s[12:13], exec, s[12:13]
; %bb.8:
	v_mad_u64_u32 v[0:1], s[8:9], v2, s3, v[4:5]
	s_mov_b64 s[6:7], exec
	s_mov_b64 s[8:9], 0
; %bb.9:
	s_or_b64 exec, exec, s[12:13]
	s_and_b64 s[6:7], s[6:7], exec
                                        ; implicit-def: $vgpr4
                                        ; implicit-def: $vgpr2
.LBB87_10:
	s_or_saveexec_b64 s[10:11], s[10:11]
	v_pk_mov_b32 v[6:7], s[8:9], s[8:9] op_sel:[0,1]
	s_xor_b64 exec, exec, s[10:11]
; %bb.11:
	v_mad_u64_u32 v[0:1], s[8:9], v2, s3, v[4:5]
	v_pk_mov_b32 v[6:7], 0, 0
	s_or_b64 s[6:7], s[6:7], exec
; %bb.12:
	s_or_b64 exec, exec, s[10:11]
	s_and_b64 s[6:7], s[6:7], exec
                                        ; implicit-def: $vgpr2
	s_andn2_saveexec_b64 s[4:5], s[4:5]
	s_cbranch_execz .LBB87_3
.LBB87_13:
	v_mov_b32_e32 v6, 0
	v_mad_u64_u32 v[0:1], s[8:9], v2, s3, v[2:3]
	v_mov_b32_e32 v7, 0x3ff00000
	s_or_b64 s[6:7], s[6:7], exec
	s_or_b64 exec, exec, s[4:5]
	s_and_b64 exec, exec, s[6:7]
	s_cbranch_execnz .LBB87_4
	s_branch .LBB87_5
	.section	.rodata,"a",@progbits
	.p2align	6, 0x0
	.amdhsa_kernel _ZN9rocsolver6v33100L16orgl2_init_identIdPKPdEEviiiT0_iil
		.amdhsa_group_segment_fixed_size 0
		.amdhsa_private_segment_fixed_size 0
		.amdhsa_kernarg_size 296
		.amdhsa_user_sgpr_count 6
		.amdhsa_user_sgpr_private_segment_buffer 1
		.amdhsa_user_sgpr_dispatch_ptr 0
		.amdhsa_user_sgpr_queue_ptr 0
		.amdhsa_user_sgpr_kernarg_segment_ptr 1
		.amdhsa_user_sgpr_dispatch_id 0
		.amdhsa_user_sgpr_flat_scratch_init 0
		.amdhsa_user_sgpr_kernarg_preload_length 0
		.amdhsa_user_sgpr_kernarg_preload_offset 0
		.amdhsa_user_sgpr_private_segment_size 0
		.amdhsa_uses_dynamic_stack 0
		.amdhsa_system_sgpr_private_segment_wavefront_offset 0
		.amdhsa_system_sgpr_workgroup_id_x 1
		.amdhsa_system_sgpr_workgroup_id_y 1
		.amdhsa_system_sgpr_workgroup_id_z 1
		.amdhsa_system_sgpr_workgroup_info 0
		.amdhsa_system_vgpr_workitem_id 1
		.amdhsa_next_free_vgpr 8
		.amdhsa_next_free_sgpr 16
		.amdhsa_accum_offset 8
		.amdhsa_reserve_vcc 1
		.amdhsa_reserve_flat_scratch 0
		.amdhsa_float_round_mode_32 0
		.amdhsa_float_round_mode_16_64 0
		.amdhsa_float_denorm_mode_32 3
		.amdhsa_float_denorm_mode_16_64 3
		.amdhsa_dx10_clamp 1
		.amdhsa_ieee_mode 1
		.amdhsa_fp16_overflow 0
		.amdhsa_tg_split 0
		.amdhsa_exception_fp_ieee_invalid_op 0
		.amdhsa_exception_fp_denorm_src 0
		.amdhsa_exception_fp_ieee_div_zero 0
		.amdhsa_exception_fp_ieee_overflow 0
		.amdhsa_exception_fp_ieee_underflow 0
		.amdhsa_exception_fp_ieee_inexact 0
		.amdhsa_exception_int_div_zero 0
	.end_amdhsa_kernel
	.section	.text._ZN9rocsolver6v33100L16orgl2_init_identIdPKPdEEviiiT0_iil,"axG",@progbits,_ZN9rocsolver6v33100L16orgl2_init_identIdPKPdEEviiiT0_iil,comdat
.Lfunc_end87:
	.size	_ZN9rocsolver6v33100L16orgl2_init_identIdPKPdEEviiiT0_iil, .Lfunc_end87-_ZN9rocsolver6v33100L16orgl2_init_identIdPKPdEEviiiT0_iil
                                        ; -- End function
	.section	.AMDGPU.csdata,"",@progbits
; Kernel info:
; codeLenInByte = 364
; NumSgprs: 20
; NumVgprs: 8
; NumAgprs: 0
; TotalNumVgprs: 8
; ScratchSize: 0
; MemoryBound: 0
; FloatMode: 240
; IeeeMode: 1
; LDSByteSize: 0 bytes/workgroup (compile time only)
; SGPRBlocks: 2
; VGPRBlocks: 0
; NumSGPRsForWavesPerEU: 20
; NumVGPRsForWavesPerEU: 8
; AccumOffset: 8
; Occupancy: 8
; WaveLimiterHint : 1
; COMPUTE_PGM_RSRC2:SCRATCH_EN: 0
; COMPUTE_PGM_RSRC2:USER_SGPR: 6
; COMPUTE_PGM_RSRC2:TRAP_HANDLER: 0
; COMPUTE_PGM_RSRC2:TGID_X_EN: 1
; COMPUTE_PGM_RSRC2:TGID_Y_EN: 1
; COMPUTE_PGM_RSRC2:TGID_Z_EN: 1
; COMPUTE_PGM_RSRC2:TIDIG_COMP_CNT: 1
; COMPUTE_PGM_RSRC3_GFX90A:ACCUM_OFFSET: 1
; COMPUTE_PGM_RSRC3_GFX90A:TG_SPLIT: 0
	.section	.text._ZN9rocsolver6v33100L14copyshift_downIdPKPdEEvbiT0_iilPT_iil,"axG",@progbits,_ZN9rocsolver6v33100L14copyshift_downIdPKPdEEvbiT0_iilPT_iil,comdat
	.globl	_ZN9rocsolver6v33100L14copyshift_downIdPKPdEEvbiT0_iilPT_iil ; -- Begin function _ZN9rocsolver6v33100L14copyshift_downIdPKPdEEvbiT0_iilPT_iil
	.p2align	8
	.type	_ZN9rocsolver6v33100L14copyshift_downIdPKPdEEvbiT0_iilPT_iil,@function
_ZN9rocsolver6v33100L14copyshift_downIdPKPdEEvbiT0_iilPT_iil: ; @_ZN9rocsolver6v33100L14copyshift_downIdPKPdEEvbiT0_iilPT_iil
; %bb.0:
	s_load_dwordx4 s[0:3], s[4:5], 0x0
	s_load_dword s9, s[4:5], 0x44
	s_load_dwordx2 s[10:11], s[4:5], 0x10
	v_and_b32_e32 v1, 0x3ff, v0
	v_bfe_u32 v0, v0, 10, 10
	s_waitcnt lgkmcnt(0)
	s_bitcmp1_b32 s0, 0
	s_cselect_b64 s[12:13], -1, 0
	s_and_b32 s0, s9, 0xffff
	s_lshr_b32 s9, s9, 16
	s_mul_i32 s16, s7, s9
	s_mov_b32 s9, 0
	s_xor_b64 s[12:13], s[12:13], -1
	s_ashr_i32 s7, s10, 31
	s_lshl_b64 s[14:15], s[8:9], 3
	s_add_u32 s2, s2, s14
	s_addc_u32 s3, s3, s15
	s_load_dwordx2 s[2:3], s[2:3], 0x0
	s_mul_i32 s6, s6, s0
	v_add_u32_e32 v2, s6, v1
	v_add_u32_e32 v3, s16, v0
	s_mov_b32 s6, s10
	s_lshl_b64 s[6:7], s[6:7], 3
	v_or_b32_e32 v0, v2, v3
	s_waitcnt lgkmcnt(0)
	s_add_u32 s2, s2, s6
	v_cmp_eq_u32_e32 vcc, 0, v0
	s_addc_u32 s3, s3, s7
	s_and_b64 s[14:15], vcc, s[12:13]
	s_and_saveexec_b64 s[6:7], s[14:15]
	s_cbranch_execz .LBB88_2
; %bb.1:
	v_mov_b32_e32 v0, 0
	v_mov_b32_e32 v1, 0x3ff00000
	global_store_dwordx2 v0, v[0:1], s[2:3]
.LBB88_2:
	s_or_b64 exec, exec, s[6:7]
	v_max_u32_e32 v0, v3, v2
	v_cmp_gt_u32_e32 vcc, s1, v0
	v_cmp_le_u32_e64 s[0:1], v2, v3
	s_and_b64 s[0:1], s[0:1], vcc
	s_and_saveexec_b64 s[6:7], s[0:1]
	s_cbranch_execz .LBB88_11
; %bb.3:
	s_load_dword s0, s[4:5], 0x28
	s_load_dwordx2 s[6:7], s[4:5], 0x30
	s_load_dwordx2 s[14:15], s[4:5], 0x20
	v_add_u32_e32 v0, 1, v3
	v_mul_lo_u32 v1, v0, v3
	s_waitcnt lgkmcnt(0)
	s_ashr_i32 s1, s0, 31
	s_mul_i32 s4, s8, s7
	s_mul_hi_u32 s5, s8, s6
	s_add_i32 s5, s5, s4
	s_mul_i32 s4, s8, s6
	s_lshl_b64 s[4:5], s[4:5], 3
	s_add_u32 s4, s14, s4
	s_addc_u32 s5, s15, s5
	s_lshl_b64 s[0:1], s[0:1], 3
	s_add_u32 s4, s4, s0
	v_lshrrev_b32_e32 v4, 1, v1
	s_addc_u32 s5, s5, s1
	s_and_b64 vcc, exec, s[12:13]
	v_add_u32_e32 v1, v2, v4
	s_cbranch_vccz .LBB88_5
; %bb.4:
	v_add_u32_e32 v4, v2, v4
	v_mov_b32_e32 v5, 0
	v_lshlrev_b64 v[6:7], 3, v[4:5]
	v_mov_b32_e32 v4, s5
	v_add_co_u32_e32 v6, vcc, s4, v6
	v_addc_co_u32_e32 v7, vcc, v4, v7, vcc
	global_load_dwordx2 v[6:7], v[6:7], off
	v_mad_u64_u32 v[8:9], s[0:1], v0, s11, v[2:3]
	v_mov_b32_e32 v9, v5
	v_lshlrev_b64 v[4:5], 3, v[8:9]
	v_mov_b32_e32 v10, s3
	v_add_co_u32_e64 v4, s[0:1], s2, v4
	v_cmp_eq_u32_e32 vcc, v2, v3
	v_addc_co_u32_e64 v5, s[0:1], v10, v5, s[0:1]
	s_mov_b64 s[8:9], 0
	s_and_b64 s[0:1], vcc, exec
	s_waitcnt vmcnt(0)
	global_store_dwordx2 v[4:5], v[6:7], off
	v_pk_mov_b32 v[4:5], s[8:9], s[8:9] op_sel:[0,1]
	s_cbranch_execz .LBB88_6
	s_branch .LBB88_9
.LBB88_5:
	s_mov_b64 s[0:1], 0
                                        ; implicit-def: $sgpr8_sgpr9
	v_pk_mov_b32 v[4:5], s[8:9], s[8:9] op_sel:[0,1]
.LBB88_6:
	v_cmp_ne_u32_e32 vcc, 0, v2
	v_pk_mov_b32 v[4:5], 0, 0
	s_and_saveexec_b64 s[0:1], vcc
	s_cbranch_execz .LBB88_8
; %bb.7:
	v_mul_lo_u32 v0, v0, s11
	v_add3_u32 v2, v2, v0, -1
	v_mov_b32_e32 v3, 0
	v_lshlrev_b64 v[2:3], 3, v[2:3]
	v_mov_b32_e32 v0, s3
	v_add_co_u32_e32 v2, vcc, s2, v2
	v_addc_co_u32_e32 v3, vcc, v0, v3, vcc
	global_load_dwordx2 v[4:5], v[2:3], off
.LBB88_8:
	s_or_b64 exec, exec, s[0:1]
	s_mov_b64 s[0:1], -1
	s_mov_b64 s[2:3], s[4:5]
	v_mov_b32_e32 v0, v1
.LBB88_9:
	s_and_b64 exec, exec, s[0:1]
	s_cbranch_execz .LBB88_11
; %bb.10:
	v_mov_b32_e32 v1, 0
	v_lshlrev_b64 v[0:1], 3, v[0:1]
	v_mov_b32_e32 v2, s3
	v_add_co_u32_e32 v0, vcc, s2, v0
	v_addc_co_u32_e32 v1, vcc, v2, v1, vcc
	s_waitcnt vmcnt(0)
	global_store_dwordx2 v[0:1], v[4:5], off
.LBB88_11:
	s_endpgm
	.section	.rodata,"a",@progbits
	.p2align	6, 0x0
	.amdhsa_kernel _ZN9rocsolver6v33100L14copyshift_downIdPKPdEEvbiT0_iilPT_iil
		.amdhsa_group_segment_fixed_size 0
		.amdhsa_private_segment_fixed_size 0
		.amdhsa_kernarg_size 312
		.amdhsa_user_sgpr_count 6
		.amdhsa_user_sgpr_private_segment_buffer 1
		.amdhsa_user_sgpr_dispatch_ptr 0
		.amdhsa_user_sgpr_queue_ptr 0
		.amdhsa_user_sgpr_kernarg_segment_ptr 1
		.amdhsa_user_sgpr_dispatch_id 0
		.amdhsa_user_sgpr_flat_scratch_init 0
		.amdhsa_user_sgpr_kernarg_preload_length 0
		.amdhsa_user_sgpr_kernarg_preload_offset 0
		.amdhsa_user_sgpr_private_segment_size 0
		.amdhsa_uses_dynamic_stack 0
		.amdhsa_system_sgpr_private_segment_wavefront_offset 0
		.amdhsa_system_sgpr_workgroup_id_x 1
		.amdhsa_system_sgpr_workgroup_id_y 1
		.amdhsa_system_sgpr_workgroup_id_z 1
		.amdhsa_system_sgpr_workgroup_info 0
		.amdhsa_system_vgpr_workitem_id 1
		.amdhsa_next_free_vgpr 11
		.amdhsa_next_free_sgpr 17
		.amdhsa_accum_offset 12
		.amdhsa_reserve_vcc 1
		.amdhsa_reserve_flat_scratch 0
		.amdhsa_float_round_mode_32 0
		.amdhsa_float_round_mode_16_64 0
		.amdhsa_float_denorm_mode_32 3
		.amdhsa_float_denorm_mode_16_64 3
		.amdhsa_dx10_clamp 1
		.amdhsa_ieee_mode 1
		.amdhsa_fp16_overflow 0
		.amdhsa_tg_split 0
		.amdhsa_exception_fp_ieee_invalid_op 0
		.amdhsa_exception_fp_denorm_src 0
		.amdhsa_exception_fp_ieee_div_zero 0
		.amdhsa_exception_fp_ieee_overflow 0
		.amdhsa_exception_fp_ieee_underflow 0
		.amdhsa_exception_fp_ieee_inexact 0
		.amdhsa_exception_int_div_zero 0
	.end_amdhsa_kernel
	.section	.text._ZN9rocsolver6v33100L14copyshift_downIdPKPdEEvbiT0_iilPT_iil,"axG",@progbits,_ZN9rocsolver6v33100L14copyshift_downIdPKPdEEvbiT0_iilPT_iil,comdat
.Lfunc_end88:
	.size	_ZN9rocsolver6v33100L14copyshift_downIdPKPdEEvbiT0_iilPT_iil, .Lfunc_end88-_ZN9rocsolver6v33100L14copyshift_downIdPKPdEEvbiT0_iilPT_iil
                                        ; -- End function
	.section	.AMDGPU.csdata,"",@progbits
; Kernel info:
; codeLenInByte = 564
; NumSgprs: 21
; NumVgprs: 11
; NumAgprs: 0
; TotalNumVgprs: 11
; ScratchSize: 0
; MemoryBound: 0
; FloatMode: 240
; IeeeMode: 1
; LDSByteSize: 0 bytes/workgroup (compile time only)
; SGPRBlocks: 2
; VGPRBlocks: 1
; NumSGPRsForWavesPerEU: 21
; NumVGPRsForWavesPerEU: 11
; AccumOffset: 12
; Occupancy: 8
; WaveLimiterHint : 1
; COMPUTE_PGM_RSRC2:SCRATCH_EN: 0
; COMPUTE_PGM_RSRC2:USER_SGPR: 6
; COMPUTE_PGM_RSRC2:TRAP_HANDLER: 0
; COMPUTE_PGM_RSRC2:TGID_X_EN: 1
; COMPUTE_PGM_RSRC2:TGID_Y_EN: 1
; COMPUTE_PGM_RSRC2:TGID_Z_EN: 1
; COMPUTE_PGM_RSRC2:TIDIG_COMP_CNT: 1
; COMPUTE_PGM_RSRC3_GFX90A:ACCUM_OFFSET: 2
; COMPUTE_PGM_RSRC3_GFX90A:TG_SPLIT: 0
	.section	.text._ZN9rocsolver6v33100L10bdsqr_initIddEEviPT0_lS3_lPiiS2_S2_S4_S3_lS4_,"axG",@progbits,_ZN9rocsolver6v33100L10bdsqr_initIddEEviPT0_lS3_lPiiS2_S2_S4_S3_lS4_,comdat
	.globl	_ZN9rocsolver6v33100L10bdsqr_initIddEEviPT0_lS3_lPiiS2_S2_S4_S3_lS4_ ; -- Begin function _ZN9rocsolver6v33100L10bdsqr_initIddEEviPT0_lS3_lPiiS2_S2_S4_S3_lS4_
	.p2align	8
	.type	_ZN9rocsolver6v33100L10bdsqr_initIddEEviPT0_lS3_lPiiS2_S2_S4_S3_lS4_,@function
_ZN9rocsolver6v33100L10bdsqr_initIddEEviPT0_lS3_lPiiS2_S2_S4_S3_lS4_: ; @_ZN9rocsolver6v33100L10bdsqr_initIddEEviPT0_lS3_lPiiS2_S2_S4_S3_lS4_
; %bb.0:
	s_load_dword s6, s[4:5], 0x0
	s_load_dwordx8 s[8:15], s[4:5], 0x8
	s_mov_b32 s16, s7
	s_ashr_i32 s17, s7, 31
	s_waitcnt lgkmcnt(0)
	s_ashr_i32 s7, s6, 31
	s_mul_i32 s0, s16, s11
	s_mul_hi_u32 s1, s16, s10
	s_add_i32 s0, s1, s0
	s_mul_i32 s1, s17, s10
	s_add_i32 s1, s0, s1
	s_mul_i32 s0, s16, s10
	s_lshl_b64 s[0:1], s[0:1], 3
	s_add_u32 s18, s8, s0
	s_addc_u32 s19, s9, s1
	s_mul_i32 s0, s16, s15
	s_mul_hi_u32 s1, s16, s14
	s_add_i32 s0, s1, s0
	s_mul_i32 s1, s17, s14
	s_add_i32 s1, s0, s1
	s_mul_i32 s0, s16, s14
	s_lshl_b64 s[0:1], s[0:1], 3
	s_add_u32 s22, s12, s0
	s_addc_u32 s23, s13, s1
	s_lshl_b64 s[0:1], s[6:7], 3
	s_add_u32 s20, s18, s0
	s_addc_u32 s21, s19, s1
	s_add_u32 s0, s20, -8
	s_addc_u32 s1, s21, -1
	s_load_dwordx2 s[2:3], s[0:1], 0x0
	s_load_dwordx2 s[8:9], s[18:19], 0x0
	;; [unrolled: 1-line block ×3, first 2 shown]
	v_cmp_lt_i64_e64 s[10:11], s[6:7], 2
	v_cmp_gt_i64_e64 s[26:27], s[6:7], 1
	s_waitcnt lgkmcnt(0)
	v_pk_mov_b32 v[0:1], s[2:3], s[2:3] op_sel:[0,1]
	v_cmp_ge_f64_e64 s[0:1], s[8:9], v[0:1]
	s_and_b64 s[12:13], s[0:1], exec
	s_cselect_b32 s3, s9, s3
	s_cselect_b32 s2, s8, s2
	s_bitset0_b32 s3, 31
	s_and_b64 vcc, exec, s[10:11]
	v_pk_mov_b32 v[0:1], s[2:3], s[2:3] op_sel:[0,1]
	s_cbranch_vccnz .LBB89_3
; %bb.1:
	s_add_i32 s7, s6, -2
	s_mov_b32 s8, 1
	v_pk_mov_b32 v[0:1], s[2:3], s[2:3] op_sel:[0,1]
	v_pk_mov_b32 v[2:3], s[2:3], s[2:3] op_sel:[0,1]
.LBB89_2:                               ; =>This Inner Loop Header: Depth=1
	s_and_b64 s[2:3], s[0:1], exec
	s_cselect_b32 s2, s8, s7
	s_add_i32 s3, s8, -1
	s_and_b64 s[10:11], s[0:1], exec
	s_cselect_b32 s10, s3, s7
	s_ashr_i32 s11, s10, 31
	s_lshl_b64 s[10:11], s[10:11], 3
	s_add_u32 s10, s22, s10
	s_addc_u32 s11, s23, s11
	s_load_dwordx2 s[10:11], s[10:11], 0x0
	s_ashr_i32 s3, s2, 31
	s_lshl_b64 s[2:3], s[2:3], 3
	s_add_u32 s2, s18, s2
	s_addc_u32 s3, s19, s3
	s_waitcnt lgkmcnt(0)
	v_add_f64 v[4:5], v[2:3], |s[10:11]|
	v_div_scale_f64 v[6:7], s[10:11], v[4:5], v[4:5], v[2:3]
	v_rcp_f64_e32 v[8:9], v[6:7]
	s_load_dwordx2 s[2:3], s[2:3], 0x0
	v_div_scale_f64 v[10:11], vcc, v[2:3], v[4:5], v[2:3]
	v_fma_f64 v[12:13], -v[6:7], v[8:9], 1.0
	v_fmac_f64_e32 v[8:9], v[8:9], v[12:13]
	v_fma_f64 v[12:13], -v[6:7], v[8:9], 1.0
	v_fmac_f64_e32 v[8:9], v[8:9], v[12:13]
	v_mul_f64 v[12:13], v[10:11], v[8:9]
	v_fma_f64 v[6:7], -v[6:7], v[12:13], v[10:11]
	v_div_fmas_f64 v[6:7], v[6:7], v[8:9], v[12:13]
	v_div_fixup_f64 v[2:3], v[6:7], v[4:5], v[2:3]
	s_waitcnt lgkmcnt(0)
	v_mul_f64 v[2:3], |s[2:3]|, v[2:3]
	s_add_i32 s7, s7, -1
	s_add_i32 s8, s8, 1
	v_cmp_lt_f64_e32 vcc, v[2:3], v[0:1]
	s_cmp_lg_u32 s8, s6
	v_cndmask_b32_e32 v1, v1, v3, vcc
	v_cndmask_b32_e32 v0, v0, v2, vcc
	s_cbranch_scc1 .LBB89_2
.LBB89_3:
	s_load_dwordx8 s[8:15], s[4:5], 0x38
	s_load_dwordx4 s[0:3], s[4:5], 0x58
	s_lshl_b32 s31, s6, 1
	s_mul_i32 s28, s31, s16
	s_ashr_i32 s29, s28, 31
	s_lshl_b64 s[34:35], s[28:29], 2
	s_waitcnt lgkmcnt(0)
	s_add_u32 s29, s12, s34
	s_addc_u32 s30, s13, s35
	s_mov_b32 s34, 0
	v_cvt_f64_i32_e32 v[2:3], s6
	s_brev_b32 s35, 8
	v_cmp_gt_f64_e32 vcc, s[34:35], v[2:3]
	v_cndmask_b32_e64 v4, 0, 1, vcc
	v_lshlrev_b32_e32 v4, 8, v4
	v_ldexp_f64 v[2:3], v[2:3], v4
	v_rsq_f64_e32 v[4:5], v[2:3]
	s_mul_i32 s1, s16, s1
	s_mul_hi_u32 s7, s16, s0
	s_add_i32 s1, s7, s1
	s_mul_i32 s7, s17, s0
	v_mul_f64 v[8:9], v[2:3], v[4:5]
	v_mul_f64 v[4:5], v[4:5], 0.5
	s_add_i32 s1, s1, s7
	s_mul_i32 s0, s16, s0
	v_fma_f64 v[10:11], -v[4:5], v[8:9], 0.5
	s_lshl_b64 s[0:1], s[0:1], 3
	v_fmac_f64_e32 v[8:9], v[8:9], v[10:11]
	s_add_u32 s12, s14, s0
	v_fma_f64 v[12:13], -v[8:9], v[8:9], v[2:3]
	v_fmac_f64_e32 v[4:5], v[4:5], v[10:11]
	s_addc_u32 s13, s15, s1
	s_add_i32 s7, s6, -1
	v_fmac_f64_e32 v[8:9], v[12:13], v[4:5]
	v_fma_f64 v[10:11], -v[8:9], v[8:9], v[2:3]
	s_and_b64 s[0:1], vcc, exec
	v_fmac_f64_e32 v[8:9], v[10:11], v[4:5]
	s_cselect_b32 s0, 0xffffff80, 0
	v_ldexp_f64 v[4:5], v[8:9], s0
	v_mov_b32_e32 v8, 0x260
	v_cmp_class_f64_e32 vcc, v[2:3], v8
	v_mul_f64 v[6:7], v[0:1], s[10:11]
	v_cndmask_b32_e32 v3, v5, v3, vcc
	v_cndmask_b32_e32 v2, v4, v2, vcc
	v_div_scale_f64 v[8:9], s[0:1], v[2:3], v[2:3], v[6:7]
	v_rcp_f64_e32 v[10:11], v[8:9]
	s_load_dword s0, s[4:5], 0x30
	v_mov_b32_e32 v4, 0
	s_mov_b32 s28, 0
	v_fma_f64 v[12:13], -v[8:9], v[10:11], 1.0
	v_fmac_f64_e32 v[10:11], v[10:11], v[12:13]
	v_fma_f64 v[12:13], -v[8:9], v[10:11], 1.0
	v_fmac_f64_e32 v[10:11], v[10:11], v[12:13]
	v_div_scale_f64 v[12:13], vcc, v[6:7], v[2:3], v[6:7]
	v_mul_f64 v[14:15], v[12:13], v[10:11]
	v_fma_f64 v[8:9], -v[8:9], v[14:15], v[12:13]
	s_mov_b64 s[4:5], 0
	s_nop 0
	v_div_fmas_f64 v[8:9], v[8:9], v[10:11], v[14:15]
	v_div_fixup_f64 v[2:3], v[8:9], v[2:3], v[6:7]
	s_waitcnt lgkmcnt(0)
	v_cvt_f64_i32_e32 v[6:7], s0
	v_mul_f64 v[6:7], v[6:7], s[8:9]
	v_cmp_lt_f64_e32 vcc, v[2:3], v[6:7]
	v_cndmask_b32_e32 v3, v3, v7, vcc
	v_cndmask_b32_e32 v2, v2, v6, vcc
	global_store_dwordx4 v4, v[0:3], s[12:13]
	s_andn2_b64 vcc, exec, s[26:27]
	v_cndmask_b32_e64 v0, 0, 1, s[26:27]
	v_cmp_ne_u32_e64 s[0:1], 1, v0
	s_mov_b32 s8, 0
	s_cbranch_vccnz .LBB89_20
; %bb.4:
	s_add_u32 s33, s29, 4
	s_mov_b32 s11, 0
	s_addc_u32 s34, s30, 0
	s_movk_i32 s35, 0x1f8
	s_mov_b32 s8, s11
	s_mov_b32 s10, s11
	s_lshl_b32 s14, s10, 2
	s_or_b32 s9, s14, 3
	s_cmp_ge_i32 s9, s31
	s_cbranch_scc1 .LBB89_6
.LBB89_5:
	s_mov_b32 s15, s11
	s_lshl_b64 s[14:15], s[14:15], 2
	s_add_u32 s14, s29, s14
	s_addc_u32 s15, s30, s15
	v_mov_b32_e32 v5, v4
	v_mov_b32_e32 v6, v4
	;; [unrolled: 1-line block ×3, first 2 shown]
	global_store_dwordx4 v4, v[4:7], s[14:15]
	s_waitcnt vmcnt(0)
	buffer_wbinvl1_vol
.LBB89_6:                               ; =>This Inner Loop Header: Depth=1
	s_lshl_b64 s[14:15], s[10:11], 3
	s_add_u32 s26, s18, s14
	s_addc_u32 s27, s19, s15
	global_load_dwordx2 v[6:7], v4, s[26:27]
	s_add_u32 s14, s22, s14
	s_addc_u32 s15, s23, s15
	global_load_dwordx2 v[0:1], v4, s[14:15]
	s_waitcnt vmcnt(1)
	v_cmp_class_f64_e64 s[26:27], v[6:7], s35
	s_and_b64 vcc, exec, s[26:27]
	s_cbranch_vccz .LBB89_19
; %bb.7:                                ;   in Loop: Header=BB89_6 Depth=1
	s_waitcnt vmcnt(0)
	v_cmp_class_f64_e64 s[26:27], v[0:1], s35
	s_and_b64 vcc, exec, s[26:27]
	s_cbranch_vccnz .LBB89_9
; %bb.8:                                ;   in Loop: Header=BB89_6 Depth=1
	s_mov_b64 s[4:5], -1
.LBB89_9:                               ;   in Loop: Header=BB89_6 Depth=1
	v_and_b32_e32 v7, 0x7fffffff, v1
	v_mov_b32_e32 v6, v0
	s_cbranch_execnz .LBB89_11
.LBB89_10:                              ;   in Loop: Header=BB89_6 Depth=1
	s_waitcnt vmcnt(0)
	v_and_b32_e32 v1, 0x7fffffff, v1
	s_mov_b64 s[4:5], -1
	v_pk_mov_b32 v[6:7], v[0:1], v[0:1] op_sel:[0,1]
.LBB89_11:                              ;   in Loop: Header=BB89_6 Depth=1
	v_cmp_lt_f64_e32 vcc, v[6:7], v[2:3]
	s_mov_b64 s[26:27], -1
                                        ; implicit-def: $sgpr9
	s_cbranch_vccz .LBB89_14
; %bb.12:                               ;   in Loop: Header=BB89_6 Depth=1
	s_andn2_b64 vcc, exec, s[26:27]
	s_cbranch_vccz .LBB89_15
.LBB89_13:                              ;   in Loop: Header=BB89_6 Depth=1
	s_cmp_eq_u32 s9, s7
	s_cbranch_scc0 .LBB89_18
	s_branch .LBB89_20
.LBB89_14:                              ;   in Loop: Header=BB89_6 Depth=1
	s_add_i32 s9, s10, 1
	s_cbranch_execnz .LBB89_13
.LBB89_15:                              ;   in Loop: Header=BB89_6 Depth=1
	v_mov_b32_e32 v5, v4
	s_cmp_ge_i32 s8, s10
	global_store_dwordx2 v4, v[4:5], s[14:15]
	s_cbranch_scc1 .LBB89_17
; %bb.16:                               ;   in Loop: Header=BB89_6 Depth=1
	s_lshl_b32 s14, s28, 2
	s_ashr_i32 s15, s14, 31
	s_lshl_b64 s[14:15], s[14:15], 2
	s_mov_b32 s9, s10
	s_add_u32 s14, s33, s14
	s_addc_u32 s15, s34, s15
	s_waitcnt vmcnt(1)
	v_pk_mov_b32 v[0:1], s[8:9], s[8:9] op_sel:[0,1]
	s_add_i32 s28, s28, 1
	global_store_dwordx2 v4, v[0:1], s[14:15]
.LBB89_17:                              ;   in Loop: Header=BB89_6 Depth=1
	s_add_i32 s9, s10, 1
	s_mov_b32 s8, s9
	s_cmp_eq_u32 s9, s7
	s_cbranch_scc1 .LBB89_20
.LBB89_18:                              ;   in Loop: Header=BB89_6 Depth=1
	s_mov_b32 s10, s9
	s_lshl_b32 s14, s10, 2
	s_or_b32 s9, s14, 3
	s_cmp_ge_i32 s9, s31
	s_cbranch_scc0 .LBB89_5
	s_branch .LBB89_6
.LBB89_19:                              ;   in Loop: Header=BB89_6 Depth=1
                                        ; implicit-def: $sgpr4_sgpr5
                                        ; implicit-def: $vgpr6_vgpr7
	s_branch .LBB89_10
.LBB89_20:
	v_mov_b32_e32 v2, 0
	global_load_dwordx2 v[0:1], v2, s[20:21] offset:-8
	s_cmp_lt_i32 s8, s7
	s_cbranch_scc0 .LBB89_22
; %bb.21:
	s_lshl_b32 s10, s28, 2
	s_ashr_i32 s11, s10, 31
	s_lshl_b64 s[10:11], s[10:11], 2
	s_add_u32 s10, s29, s10
	s_addc_u32 s11, s30, s11
	v_mov_b32_e32 v4, s8
	v_mov_b32_e32 v5, s7
	global_store_dwordx2 v2, v[4:5], s[10:11] offset:4
.LBB89_22:
	s_mov_b32 s8, 0
	s_mov_b32 s9, 0x7ff00000
	s_waitcnt vmcnt(0)
	v_cmp_nlg_f64_e64 s[8:9], |v[0:1]|, s[8:9]
	s_or_b64 s[4:5], s[8:9], s[4:5]
	s_andn2_b64 vcc, exec, s[4:5]
	s_mov_b64 s[4:5], -1
	s_cbranch_vccz .LBB89_28
; %bb.23:
	s_add_i32 s8, s28, 1
	s_lshl_b64 s[4:5], s[16:17], 2
	s_add_u32 s4, s24, s4
	v_mov_b32_e32 v2, 0
	s_addc_u32 s5, s25, s5
	v_cvt_f64_i32_e32 v[0:1], s8
	v_mov_b32_e32 v3, v2
	s_cmp_lt_i32 s28, 0
	global_store_dwordx4 v2, v[0:3], s[12:13] offset:16
	global_store_dword v2, v2, s[4:5]
	s_cbranch_scc1 .LBB89_27
; %bb.24:
	s_mov_b64 s[4:5], 0
	v_mov_b32_e32 v1, 0
.LBB89_25:                              ; =>This Inner Loop Header: Depth=1
	v_mov_b32_e32 v0, s8
	global_atomic_cmpswap v1, v2, v[0:1], s[2:3] offset:4 glc
	s_waitcnt vmcnt(0)
	v_cmp_lt_i32_e32 vcc, s28, v1
	s_or_b64 s[4:5], vcc, s[4:5]
	s_andn2_b64 exec, exec, s[4:5]
	s_cbranch_execnz .LBB89_25
; %bb.26:
	s_or_b64 exec, exec, s[4:5]
.LBB89_27:
	s_mov_b64 s[4:5], 0
.LBB89_28:
	s_andn2_b64 vcc, exec, s[4:5]
	s_cbranch_vccnz .LBB89_34
; %bb.29:
	s_and_b64 vcc, exec, s[0:1]
	s_cbranch_vccnz .LBB89_32
; %bb.30:
	s_mov_b32 s0, 0
	s_mov_b32 s1, 0x7ff80000
	v_mov_b32_e32 v2, 0
	v_pk_mov_b32 v[0:1], s[0:1], s[0:1] op_sel:[0,1]
.LBB89_31:                              ; =>This Inner Loop Header: Depth=1
	s_add_i32 s7, s7, -1
	global_store_dwordx2 v2, v[0:1], s[18:19]
	global_store_dwordx2 v2, v[0:1], s[22:23]
	s_add_u32 s18, s18, 8
	s_addc_u32 s19, s19, 0
	s_add_u32 s22, s22, 8
	s_addc_u32 s23, s23, 0
	s_cmp_eq_u32 s7, 0
	s_cbranch_scc0 .LBB89_31
.LBB89_32:
	s_lshl_b64 s[4:5], s[16:17], 2
	s_add_u32 s8, s24, s4
	v_mov_b32_e32 v0, 0
	v_mov_b32_e32 v1, 0x7ff80000
	s_addc_u32 s9, s25, s5
	global_store_dwordx2 v0, v[0:1], s[20:21] offset:-8
	v_mov_b32_e32 v1, s6
	s_add_u32 s4, s2, s4
	s_mov_b64 s[0:1], exec
	global_store_dword v0, v1, s[8:9]
	s_addc_u32 s5, s3, s5
	v_mov_b32_e32 v1, 2
	global_store_dword v0, v1, s[4:5] offset:8
	v_mbcnt_lo_u32_b32 v1, s0, 0
	v_mbcnt_hi_u32_b32 v1, s1, v1
	v_cmp_eq_u32_e32 vcc, 0, v1
	s_and_saveexec_b64 s[4:5], vcc
	s_cbranch_execz .LBB89_34
; %bb.33:
	s_bcnt1_i32_b64 s0, s[0:1]
	v_mov_b32_e32 v1, s0
	global_atomic_add v0, v1, s[2:3]
.LBB89_34:
	s_endpgm
	.section	.rodata,"a",@progbits
	.p2align	6, 0x0
	.amdhsa_kernel _ZN9rocsolver6v33100L10bdsqr_initIddEEviPT0_lS3_lPiiS2_S2_S4_S3_lS4_
		.amdhsa_group_segment_fixed_size 0
		.amdhsa_private_segment_fixed_size 0
		.amdhsa_kernarg_size 104
		.amdhsa_user_sgpr_count 6
		.amdhsa_user_sgpr_private_segment_buffer 1
		.amdhsa_user_sgpr_dispatch_ptr 0
		.amdhsa_user_sgpr_queue_ptr 0
		.amdhsa_user_sgpr_kernarg_segment_ptr 1
		.amdhsa_user_sgpr_dispatch_id 0
		.amdhsa_user_sgpr_flat_scratch_init 0
		.amdhsa_user_sgpr_kernarg_preload_length 0
		.amdhsa_user_sgpr_kernarg_preload_offset 0
		.amdhsa_user_sgpr_private_segment_size 0
		.amdhsa_uses_dynamic_stack 0
		.amdhsa_system_sgpr_private_segment_wavefront_offset 0
		.amdhsa_system_sgpr_workgroup_id_x 1
		.amdhsa_system_sgpr_workgroup_id_y 1
		.amdhsa_system_sgpr_workgroup_id_z 0
		.amdhsa_system_sgpr_workgroup_info 0
		.amdhsa_system_vgpr_workitem_id 0
		.amdhsa_next_free_vgpr 16
		.amdhsa_next_free_sgpr 36
		.amdhsa_accum_offset 16
		.amdhsa_reserve_vcc 1
		.amdhsa_reserve_flat_scratch 0
		.amdhsa_float_round_mode_32 0
		.amdhsa_float_round_mode_16_64 0
		.amdhsa_float_denorm_mode_32 3
		.amdhsa_float_denorm_mode_16_64 3
		.amdhsa_dx10_clamp 1
		.amdhsa_ieee_mode 1
		.amdhsa_fp16_overflow 0
		.amdhsa_tg_split 0
		.amdhsa_exception_fp_ieee_invalid_op 0
		.amdhsa_exception_fp_denorm_src 0
		.amdhsa_exception_fp_ieee_div_zero 0
		.amdhsa_exception_fp_ieee_overflow 0
		.amdhsa_exception_fp_ieee_underflow 0
		.amdhsa_exception_fp_ieee_inexact 0
		.amdhsa_exception_int_div_zero 0
	.end_amdhsa_kernel
	.section	.text._ZN9rocsolver6v33100L10bdsqr_initIddEEviPT0_lS3_lPiiS2_S2_S4_S3_lS4_,"axG",@progbits,_ZN9rocsolver6v33100L10bdsqr_initIddEEviPT0_lS3_lPiiS2_S2_S4_S3_lS4_,comdat
.Lfunc_end89:
	.size	_ZN9rocsolver6v33100L10bdsqr_initIddEEviPT0_lS3_lPiiS2_S2_S4_S3_lS4_, .Lfunc_end89-_ZN9rocsolver6v33100L10bdsqr_initIddEEviPT0_lS3_lPiiS2_S2_S4_S3_lS4_
                                        ; -- End function
	.section	.AMDGPU.csdata,"",@progbits
; Kernel info:
; codeLenInByte = 1584
; NumSgprs: 40
; NumVgprs: 16
; NumAgprs: 0
; TotalNumVgprs: 16
; ScratchSize: 0
; MemoryBound: 0
; FloatMode: 240
; IeeeMode: 1
; LDSByteSize: 0 bytes/workgroup (compile time only)
; SGPRBlocks: 4
; VGPRBlocks: 1
; NumSGPRsForWavesPerEU: 40
; NumVGPRsForWavesPerEU: 16
; AccumOffset: 16
; Occupancy: 8
; WaveLimiterHint : 0
; COMPUTE_PGM_RSRC2:SCRATCH_EN: 0
; COMPUTE_PGM_RSRC2:USER_SGPR: 6
; COMPUTE_PGM_RSRC2:TRAP_HANDLER: 0
; COMPUTE_PGM_RSRC2:TGID_X_EN: 1
; COMPUTE_PGM_RSRC2:TGID_Y_EN: 1
; COMPUTE_PGM_RSRC2:TGID_Z_EN: 0
; COMPUTE_PGM_RSRC2:TIDIG_COMP_CNT: 0
; COMPUTE_PGM_RSRC3_GFX90A:ACCUM_OFFSET: 3
; COMPUTE_PGM_RSRC3_GFX90A:TG_SPLIT: 0
	.section	.text._ZN9rocsolver6v33100L11swap_kernelIdiEEvT0_PT_S2_S4_S2_,"axG",@progbits,_ZN9rocsolver6v33100L11swap_kernelIdiEEvT0_PT_S2_S4_S2_,comdat
	.globl	_ZN9rocsolver6v33100L11swap_kernelIdiEEvT0_PT_S2_S4_S2_ ; -- Begin function _ZN9rocsolver6v33100L11swap_kernelIdiEEvT0_PT_S2_S4_S2_
	.p2align	8
	.type	_ZN9rocsolver6v33100L11swap_kernelIdiEEvT0_PT_S2_S4_S2_,@function
_ZN9rocsolver6v33100L11swap_kernelIdiEEvT0_PT_S2_S4_S2_: ; @_ZN9rocsolver6v33100L11swap_kernelIdiEEvT0_PT_S2_S4_S2_
; %bb.0:
	s_load_dword s16, s[4:5], 0x0
	s_waitcnt lgkmcnt(0)
	s_cmp_lt_i32 s16, 1
	s_cbranch_scc1 .LBB90_10
; %bb.1:
	s_load_dword s0, s[4:5], 0x28
	s_load_dword s1, s[4:5], 0x34
	s_load_dwordx2 s[2:3], s[4:5], 0x8
	s_load_dword s12, s[4:5], 0x10
	s_load_dwordx2 s[8:9], s[4:5], 0x18
	s_load_dword s10, s[4:5], 0x20
	s_waitcnt lgkmcnt(0)
	s_and_b32 s1, s1, 0xffff
	s_mul_i32 s6, s6, s1
	s_cmp_eq_u32 s12, 1
	s_mul_i32 s4, s0, s1
	s_cselect_b64 s[0:1], -1, 0
	s_cmp_eq_u32 s10, 1
	v_add_u32_e32 v0, s6, v0
	s_cselect_b64 s[6:7], -1, 0
	s_and_b64 s[14:15], s[0:1], s[6:7]
	v_cmp_gt_i32_e64 s[0:1], s16, v0
	s_mov_b64 s[6:7], -1
	s_and_b64 vcc, exec, s[14:15]
	s_cbranch_vccnz .LBB90_6
; %bb.2:
	s_and_saveexec_b64 s[6:7], s[0:1]
	s_cbranch_execz .LBB90_5
; %bb.3:
	v_mad_i64_i32 v[2:3], s[14:15], s10, v0, 0
	v_lshlrev_b64 v[2:3], 3, v[2:3]
	v_mov_b32_e32 v1, s9
	v_add_co_u32_e32 v2, vcc, s8, v2
	v_mad_i64_i32 v[4:5], s[14:15], s12, v0, 0
	v_addc_co_u32_e32 v3, vcc, v1, v3, vcc
	s_mul_hi_i32 s11, s10, s4
	s_mul_i32 s10, s10, s4
	v_lshlrev_b64 v[4:5], 3, v[4:5]
	s_mul_hi_i32 s13, s12, s4
	s_mul_i32 s12, s12, s4
	s_lshl_b64 s[10:11], s[10:11], 3
	v_mov_b32_e32 v1, s3
	v_add_co_u32_e32 v4, vcc, s2, v4
	s_lshl_b64 s[12:13], s[12:13], 3
	v_addc_co_u32_e32 v5, vcc, v1, v5, vcc
	s_mov_b64 s[14:15], 0
	v_mov_b32_e32 v1, s11
	v_mov_b32_e32 v6, s13
	;; [unrolled: 1-line block ×3, first 2 shown]
.LBB90_4:                               ; =>This Inner Loop Header: Depth=1
	global_load_dwordx2 v[8:9], v[4:5], off
	global_load_dwordx2 v[10:11], v[2:3], off
	v_add_u32_e32 v7, s4, v7
	v_cmp_le_i32_e32 vcc, s16, v7
	s_or_b64 s[14:15], vcc, s[14:15]
	s_waitcnt vmcnt(1)
	global_store_dwordx2 v[2:3], v[8:9], off
	s_waitcnt vmcnt(1)
	global_store_dwordx2 v[4:5], v[10:11], off
	v_add_co_u32_e32 v2, vcc, s10, v2
	v_addc_co_u32_e32 v3, vcc, v3, v1, vcc
	v_add_co_u32_e32 v4, vcc, s12, v4
	v_addc_co_u32_e32 v5, vcc, v5, v6, vcc
	s_andn2_b64 exec, exec, s[14:15]
	s_cbranch_execnz .LBB90_4
.LBB90_5:
	s_or_b64 exec, exec, s[6:7]
	s_mov_b64 s[6:7], 0
.LBB90_6:
	s_andn2_b64 vcc, exec, s[6:7]
	s_cbranch_vccnz .LBB90_10
; %bb.7:
	s_and_saveexec_b64 s[6:7], s[0:1]
	s_cbranch_execz .LBB90_10
; %bb.8:
	s_ashr_i32 s5, s4, 31
	v_ashrrev_i32_e32 v1, 31, v0
	s_lshl_b64 s[0:1], s[4:5], 3
	v_lshlrev_b64 v[2:3], 3, v[0:1]
	s_mov_b64 s[6:7], 0
	v_mov_b32_e32 v1, s9
	v_mov_b32_e32 v4, s3
	;; [unrolled: 1-line block ×3, first 2 shown]
.LBB90_9:                               ; =>This Inner Loop Header: Depth=1
	v_add_co_u32_e32 v6, vcc, s8, v2
	v_addc_co_u32_e32 v7, vcc, v1, v3, vcc
	v_add_co_u32_e32 v8, vcc, s2, v2
	v_addc_co_u32_e32 v9, vcc, v4, v3, vcc
	global_load_dwordx2 v[10:11], v[8:9], off
	global_load_dwordx2 v[12:13], v[6:7], off
	v_add_co_u32_e32 v2, vcc, s0, v2
	v_add_u32_e32 v0, s4, v0
	v_addc_co_u32_e32 v3, vcc, v3, v5, vcc
	v_cmp_le_i32_e32 vcc, s16, v0
	s_or_b64 s[6:7], vcc, s[6:7]
	s_waitcnt vmcnt(1)
	global_store_dwordx2 v[6:7], v[10:11], off
	s_waitcnt vmcnt(1)
	global_store_dwordx2 v[8:9], v[12:13], off
	s_andn2_b64 exec, exec, s[6:7]
	s_cbranch_execnz .LBB90_9
.LBB90_10:
	s_endpgm
	.section	.rodata,"a",@progbits
	.p2align	6, 0x0
	.amdhsa_kernel _ZN9rocsolver6v33100L11swap_kernelIdiEEvT0_PT_S2_S4_S2_
		.amdhsa_group_segment_fixed_size 0
		.amdhsa_private_segment_fixed_size 0
		.amdhsa_kernarg_size 296
		.amdhsa_user_sgpr_count 6
		.amdhsa_user_sgpr_private_segment_buffer 1
		.amdhsa_user_sgpr_dispatch_ptr 0
		.amdhsa_user_sgpr_queue_ptr 0
		.amdhsa_user_sgpr_kernarg_segment_ptr 1
		.amdhsa_user_sgpr_dispatch_id 0
		.amdhsa_user_sgpr_flat_scratch_init 0
		.amdhsa_user_sgpr_kernarg_preload_length 0
		.amdhsa_user_sgpr_kernarg_preload_offset 0
		.amdhsa_user_sgpr_private_segment_size 0
		.amdhsa_uses_dynamic_stack 0
		.amdhsa_system_sgpr_private_segment_wavefront_offset 0
		.amdhsa_system_sgpr_workgroup_id_x 1
		.amdhsa_system_sgpr_workgroup_id_y 0
		.amdhsa_system_sgpr_workgroup_id_z 0
		.amdhsa_system_sgpr_workgroup_info 0
		.amdhsa_system_vgpr_workitem_id 0
		.amdhsa_next_free_vgpr 14
		.amdhsa_next_free_sgpr 17
		.amdhsa_accum_offset 16
		.amdhsa_reserve_vcc 1
		.amdhsa_reserve_flat_scratch 0
		.amdhsa_float_round_mode_32 0
		.amdhsa_float_round_mode_16_64 0
		.amdhsa_float_denorm_mode_32 3
		.amdhsa_float_denorm_mode_16_64 3
		.amdhsa_dx10_clamp 1
		.amdhsa_ieee_mode 1
		.amdhsa_fp16_overflow 0
		.amdhsa_tg_split 0
		.amdhsa_exception_fp_ieee_invalid_op 0
		.amdhsa_exception_fp_denorm_src 0
		.amdhsa_exception_fp_ieee_div_zero 0
		.amdhsa_exception_fp_ieee_overflow 0
		.amdhsa_exception_fp_ieee_underflow 0
		.amdhsa_exception_fp_ieee_inexact 0
		.amdhsa_exception_int_div_zero 0
	.end_amdhsa_kernel
	.section	.text._ZN9rocsolver6v33100L11swap_kernelIdiEEvT0_PT_S2_S4_S2_,"axG",@progbits,_ZN9rocsolver6v33100L11swap_kernelIdiEEvT0_PT_S2_S4_S2_,comdat
.Lfunc_end90:
	.size	_ZN9rocsolver6v33100L11swap_kernelIdiEEvT0_PT_S2_S4_S2_, .Lfunc_end90-_ZN9rocsolver6v33100L11swap_kernelIdiEEvT0_PT_S2_S4_S2_
                                        ; -- End function
	.section	.AMDGPU.csdata,"",@progbits
; Kernel info:
; codeLenInByte = 460
; NumSgprs: 21
; NumVgprs: 14
; NumAgprs: 0
; TotalNumVgprs: 14
; ScratchSize: 0
; MemoryBound: 0
; FloatMode: 240
; IeeeMode: 1
; LDSByteSize: 0 bytes/workgroup (compile time only)
; SGPRBlocks: 2
; VGPRBlocks: 1
; NumSGPRsForWavesPerEU: 21
; NumVGPRsForWavesPerEU: 14
; AccumOffset: 16
; Occupancy: 8
; WaveLimiterHint : 0
; COMPUTE_PGM_RSRC2:SCRATCH_EN: 0
; COMPUTE_PGM_RSRC2:USER_SGPR: 6
; COMPUTE_PGM_RSRC2:TRAP_HANDLER: 0
; COMPUTE_PGM_RSRC2:TGID_X_EN: 1
; COMPUTE_PGM_RSRC2:TGID_Y_EN: 0
; COMPUTE_PGM_RSRC2:TGID_Z_EN: 0
; COMPUTE_PGM_RSRC2:TIDIG_COMP_CNT: 0
; COMPUTE_PGM_RSRC3_GFX90A:ACCUM_OFFSET: 3
; COMPUTE_PGM_RSRC3_GFX90A:TG_SPLIT: 0
	.section	.text._ZN9rocsolver6v33100L10rot_kernelIddiEEvT1_PT0_S2_S4_S2_T_S5_,"axG",@progbits,_ZN9rocsolver6v33100L10rot_kernelIddiEEvT1_PT0_S2_S4_S2_T_S5_,comdat
	.globl	_ZN9rocsolver6v33100L10rot_kernelIddiEEvT1_PT0_S2_S4_S2_T_S5_ ; -- Begin function _ZN9rocsolver6v33100L10rot_kernelIddiEEvT1_PT0_S2_S4_S2_T_S5_
	.p2align	8
	.type	_ZN9rocsolver6v33100L10rot_kernelIddiEEvT1_PT0_S2_S4_S2_T_S5_,@function
_ZN9rocsolver6v33100L10rot_kernelIddiEEvT1_PT0_S2_S4_S2_T_S5_: ; @_ZN9rocsolver6v33100L10rot_kernelIddiEEvT1_PT0_S2_S4_S2_T_S5_
; %bb.0:
	s_load_dword s20, s[4:5], 0x0
	s_waitcnt lgkmcnt(0)
	s_cmp_lt_i32 s20, 1
	s_cbranch_scc1 .LBB91_10
; %bb.1:
	s_load_dwordx4 s[8:11], s[4:5], 0x28
	s_load_dword s0, s[4:5], 0x38
	s_load_dword s1, s[4:5], 0x44
	s_load_dwordx2 s[2:3], s[4:5], 0x8
	s_load_dword s16, s[4:5], 0x10
	s_load_dwordx2 s[12:13], s[4:5], 0x18
	s_load_dword s14, s[4:5], 0x20
	s_waitcnt lgkmcnt(0)
	s_and_b32 s1, s1, 0xffff
	s_mul_i32 s6, s6, s1
	s_cmp_eq_u32 s16, 1
	s_mul_i32 s4, s0, s1
	s_cselect_b64 s[0:1], -1, 0
	s_cmp_eq_u32 s14, 1
	v_add_u32_e32 v0, s6, v0
	s_cselect_b64 s[6:7], -1, 0
	s_and_b64 s[18:19], s[0:1], s[6:7]
	v_cmp_gt_i32_e64 s[0:1], s20, v0
	s_mov_b64 s[6:7], -1
	s_and_b64 vcc, exec, s[18:19]
	s_cbranch_vccnz .LBB91_6
; %bb.2:
	s_and_saveexec_b64 s[6:7], s[0:1]
	s_cbranch_execz .LBB91_5
; %bb.3:
	v_mad_i64_i32 v[2:3], s[18:19], s14, v0, 0
	v_lshlrev_b64 v[2:3], 3, v[2:3]
	v_mov_b32_e32 v1, s13
	v_add_co_u32_e32 v2, vcc, s12, v2
	v_mad_i64_i32 v[4:5], s[18:19], s16, v0, 0
	v_addc_co_u32_e32 v3, vcc, v1, v3, vcc
	s_mul_hi_i32 s15, s14, s4
	s_mul_i32 s14, s14, s4
	v_lshlrev_b64 v[4:5], 3, v[4:5]
	s_mul_hi_i32 s17, s16, s4
	s_mul_i32 s16, s16, s4
	s_lshl_b64 s[14:15], s[14:15], 3
	v_mov_b32_e32 v1, s3
	v_add_co_u32_e32 v4, vcc, s2, v4
	s_lshl_b64 s[16:17], s[16:17], 3
	v_addc_co_u32_e32 v5, vcc, v1, v5, vcc
	s_mov_b64 s[18:19], 0
	v_mov_b32_e32 v1, s15
	v_mov_b32_e32 v6, s17
	;; [unrolled: 1-line block ×3, first 2 shown]
.LBB91_4:                               ; =>This Inner Loop Header: Depth=1
	global_load_dwordx2 v[8:9], v[2:3], off
	global_load_dwordx2 v[10:11], v[4:5], off
	v_add_u32_e32 v7, s4, v7
	v_cmp_le_i32_e32 vcc, s20, v7
	s_or_b64 s[18:19], vcc, s[18:19]
	s_waitcnt vmcnt(1)
	v_mul_f64 v[12:13], v[8:9], s[10:11]
	s_waitcnt vmcnt(0)
	v_mul_f64 v[14:15], v[10:11], s[10:11]
	v_fma_f64 v[8:9], v[8:9], s[8:9], -v[14:15]
	v_fmac_f64_e32 v[12:13], s[8:9], v[10:11]
	global_store_dwordx2 v[2:3], v[8:9], off
	global_store_dwordx2 v[4:5], v[12:13], off
	v_add_co_u32_e32 v2, vcc, s14, v2
	v_addc_co_u32_e32 v3, vcc, v3, v1, vcc
	v_add_co_u32_e32 v4, vcc, s16, v4
	v_addc_co_u32_e32 v5, vcc, v5, v6, vcc
	s_andn2_b64 exec, exec, s[18:19]
	s_cbranch_execnz .LBB91_4
.LBB91_5:
	s_or_b64 exec, exec, s[6:7]
	s_mov_b64 s[6:7], 0
.LBB91_6:
	s_andn2_b64 vcc, exec, s[6:7]
	s_cbranch_vccnz .LBB91_10
; %bb.7:
	s_and_saveexec_b64 s[6:7], s[0:1]
	s_cbranch_execz .LBB91_10
; %bb.8:
	s_ashr_i32 s5, s4, 31
	v_ashrrev_i32_e32 v1, 31, v0
	s_lshl_b64 s[0:1], s[4:5], 3
	v_lshlrev_b64 v[2:3], 3, v[0:1]
	s_mov_b64 s[6:7], 0
	v_mov_b32_e32 v1, s3
	v_mov_b32_e32 v4, s13
	;; [unrolled: 1-line block ×3, first 2 shown]
.LBB91_9:                               ; =>This Inner Loop Header: Depth=1
	v_add_co_u32_e32 v6, vcc, s2, v2
	v_addc_co_u32_e32 v7, vcc, v1, v3, vcc
	v_add_co_u32_e32 v8, vcc, s12, v2
	v_addc_co_u32_e32 v9, vcc, v4, v3, vcc
	global_load_dwordx2 v[10:11], v[8:9], off
	global_load_dwordx2 v[12:13], v[6:7], off
	v_add_co_u32_e32 v2, vcc, s0, v2
	v_add_u32_e32 v0, s4, v0
	v_addc_co_u32_e32 v3, vcc, v3, v5, vcc
	v_cmp_le_i32_e32 vcc, s20, v0
	s_or_b64 s[6:7], vcc, s[6:7]
	s_waitcnt vmcnt(1)
	v_mul_f64 v[14:15], v[10:11], s[10:11]
	s_waitcnt vmcnt(0)
	v_mul_f64 v[16:17], v[12:13], s[10:11]
	v_fma_f64 v[10:11], v[10:11], s[8:9], -v[16:17]
	v_fmac_f64_e32 v[14:15], s[8:9], v[12:13]
	global_store_dwordx2 v[8:9], v[10:11], off
	global_store_dwordx2 v[6:7], v[14:15], off
	s_andn2_b64 exec, exec, s[6:7]
	s_cbranch_execnz .LBB91_9
.LBB91_10:
	s_endpgm
	.section	.rodata,"a",@progbits
	.p2align	6, 0x0
	.amdhsa_kernel _ZN9rocsolver6v33100L10rot_kernelIddiEEvT1_PT0_S2_S4_S2_T_S5_
		.amdhsa_group_segment_fixed_size 0
		.amdhsa_private_segment_fixed_size 0
		.amdhsa_kernarg_size 312
		.amdhsa_user_sgpr_count 6
		.amdhsa_user_sgpr_private_segment_buffer 1
		.amdhsa_user_sgpr_dispatch_ptr 0
		.amdhsa_user_sgpr_queue_ptr 0
		.amdhsa_user_sgpr_kernarg_segment_ptr 1
		.amdhsa_user_sgpr_dispatch_id 0
		.amdhsa_user_sgpr_flat_scratch_init 0
		.amdhsa_user_sgpr_kernarg_preload_length 0
		.amdhsa_user_sgpr_kernarg_preload_offset 0
		.amdhsa_user_sgpr_private_segment_size 0
		.amdhsa_uses_dynamic_stack 0
		.amdhsa_system_sgpr_private_segment_wavefront_offset 0
		.amdhsa_system_sgpr_workgroup_id_x 1
		.amdhsa_system_sgpr_workgroup_id_y 0
		.amdhsa_system_sgpr_workgroup_id_z 0
		.amdhsa_system_sgpr_workgroup_info 0
		.amdhsa_system_vgpr_workitem_id 0
		.amdhsa_next_free_vgpr 18
		.amdhsa_next_free_sgpr 21
		.amdhsa_accum_offset 20
		.amdhsa_reserve_vcc 1
		.amdhsa_reserve_flat_scratch 0
		.amdhsa_float_round_mode_32 0
		.amdhsa_float_round_mode_16_64 0
		.amdhsa_float_denorm_mode_32 3
		.amdhsa_float_denorm_mode_16_64 3
		.amdhsa_dx10_clamp 1
		.amdhsa_ieee_mode 1
		.amdhsa_fp16_overflow 0
		.amdhsa_tg_split 0
		.amdhsa_exception_fp_ieee_invalid_op 0
		.amdhsa_exception_fp_denorm_src 0
		.amdhsa_exception_fp_ieee_div_zero 0
		.amdhsa_exception_fp_ieee_overflow 0
		.amdhsa_exception_fp_ieee_underflow 0
		.amdhsa_exception_fp_ieee_inexact 0
		.amdhsa_exception_int_div_zero 0
	.end_amdhsa_kernel
	.section	.text._ZN9rocsolver6v33100L10rot_kernelIddiEEvT1_PT0_S2_S4_S2_T_S5_,"axG",@progbits,_ZN9rocsolver6v33100L10rot_kernelIddiEEvT1_PT0_S2_S4_S2_T_S5_,comdat
.Lfunc_end91:
	.size	_ZN9rocsolver6v33100L10rot_kernelIddiEEvT1_PT0_S2_S4_S2_T_S5_, .Lfunc_end91-_ZN9rocsolver6v33100L10rot_kernelIddiEEvT1_PT0_S2_S4_S2_T_S5_
                                        ; -- End function
	.section	.AMDGPU.csdata,"",@progbits
; Kernel info:
; codeLenInByte = 524
; NumSgprs: 25
; NumVgprs: 18
; NumAgprs: 0
; TotalNumVgprs: 18
; ScratchSize: 0
; MemoryBound: 0
; FloatMode: 240
; IeeeMode: 1
; LDSByteSize: 0 bytes/workgroup (compile time only)
; SGPRBlocks: 3
; VGPRBlocks: 2
; NumSGPRsForWavesPerEU: 25
; NumVGPRsForWavesPerEU: 18
; AccumOffset: 20
; Occupancy: 8
; WaveLimiterHint : 0
; COMPUTE_PGM_RSRC2:SCRATCH_EN: 0
; COMPUTE_PGM_RSRC2:USER_SGPR: 6
; COMPUTE_PGM_RSRC2:TRAP_HANDLER: 0
; COMPUTE_PGM_RSRC2:TGID_X_EN: 1
; COMPUTE_PGM_RSRC2:TGID_Y_EN: 0
; COMPUTE_PGM_RSRC2:TGID_Z_EN: 0
; COMPUTE_PGM_RSRC2:TIDIG_COMP_CNT: 0
; COMPUTE_PGM_RSRC3_GFX90A:ACCUM_OFFSET: 4
; COMPUTE_PGM_RSRC3_GFX90A:TG_SPLIT: 0
	.section	.text._ZN9rocsolver6v33100L11lasr_kernelIddPdiEEv13rocblas_side_14rocblas_pivot_15rocblas_direct_T2_S6_PT0_lS8_lT1_lS6_lS6_,"axG",@progbits,_ZN9rocsolver6v33100L11lasr_kernelIddPdiEEv13rocblas_side_14rocblas_pivot_15rocblas_direct_T2_S6_PT0_lS8_lT1_lS6_lS6_,comdat
	.globl	_ZN9rocsolver6v33100L11lasr_kernelIddPdiEEv13rocblas_side_14rocblas_pivot_15rocblas_direct_T2_S6_PT0_lS8_lT1_lS6_lS6_ ; -- Begin function _ZN9rocsolver6v33100L11lasr_kernelIddPdiEEv13rocblas_side_14rocblas_pivot_15rocblas_direct_T2_S6_PT0_lS8_lT1_lS6_lS6_
	.p2align	8
	.type	_ZN9rocsolver6v33100L11lasr_kernelIddPdiEEv13rocblas_side_14rocblas_pivot_15rocblas_direct_T2_S6_PT0_lS8_lT1_lS6_lS6_,@function
_ZN9rocsolver6v33100L11lasr_kernelIddPdiEEv13rocblas_side_14rocblas_pivot_15rocblas_direct_T2_S6_PT0_lS8_lT1_lS6_lS6_: ; @_ZN9rocsolver6v33100L11lasr_kernelIddPdiEEv13rocblas_side_14rocblas_pivot_15rocblas_direct_T2_S6_PT0_lS8_lT1_lS6_lS6_
; %bb.0:
	s_load_dword s33, s[4:5], 0x58
	s_waitcnt lgkmcnt(0)
	s_cmp_ge_u32 s7, s33
	s_cbranch_scc1 .LBB92_98
; %bb.1:
	s_load_dwordx4 s[0:3], s[4:5], 0x38
	s_load_dword s20, s[4:5], 0x48
	s_load_dwordx2 s[22:23], s[4:5], 0x50
	s_load_dword s26, s[4:5], 0x60
	s_load_dwordx2 s[24:25], s[4:5], 0x68
	s_load_dwordx4 s[16:19], s[4:5], 0x0
	s_load_dword s86, s[4:5], 0x10
	s_load_dwordx8 s[8:15], s[4:5], 0x18
	s_waitcnt lgkmcnt(0)
	s_ashr_i32 s21, s20, 31
	s_and_b32 s5, s25, 0xffff
	s_mul_i32 s6, s6, s5
	s_lshl_b64 s[2:3], s[2:3], 3
	v_add_u32_e32 v0, s6, v0
	s_add_u32 s6, s0, s2
	s_addc_u32 s25, s1, s3
	s_cmpk_lg_i32 s16, 0x8d
	s_cselect_b64 s[38:39], -1, 0
	s_cmpk_lg_i32 s16, 0x8e
	s_cselect_b64 s[44:45], -1, 0
	;; [unrolled: 2-line block ×6, first 2 shown]
	s_or_b64 s[28:29], s[38:39], s[42:43]
	s_or_b64 s[16:17], s[28:29], s[52:53]
	s_xor_b64 s[16:17], s[16:17], -1
	s_ashr_i32 s27, s19, 31
	s_add_i32 s62, s19, -2
	s_cmpk_lg_i32 s18, 0xac
	s_cselect_b64 s[54:55], -1, 0
	s_or_b64 s[28:29], s[28:29], s[54:55]
	s_xor_b64 s[28:29], s[28:29], -1
	s_cmp_gt_i32 s19, 1
	s_cselect_b64 s[30:31], -1, 0
	s_or_b64 s[36:37], s[38:39], s[50:51]
	s_or_b64 s[40:41], s[38:39], s[48:49]
	;; [unrolled: 1-line block ×9, first 2 shown]
	s_xor_b64 s[34:35], s[34:35], -1
	s_xor_b64 s[36:37], s[36:37], -1
	;; [unrolled: 1-line block ×5, first 2 shown]
	s_add_i32 s18, s86, -1
	s_xor_b64 s[46:47], s[46:47], -1
                                        ; implicit-def: $vgpr37 : SGPR spill to VGPR lane
	s_add_i32 s68, s86, -2
	v_writelane_b32 v37, s46, 0
	s_cmp_gt_i32 s86, 1
	v_writelane_b32 v37, s47, 1
	s_cselect_b64 s[46:47], -1, 0
	s_or_b64 s[50:51], s[44:45], s[50:51]
	s_or_b64 s[56:57], s[50:51], s[52:53]
	s_xor_b64 s[56:57], s[56:57], -1
	v_writelane_b32 v37, s56, 2
	s_or_b64 s[50:51], s[50:51], s[54:55]
	v_writelane_b32 v37, s57, 3
	s_xor_b64 s[50:51], s[50:51], -1
	s_or_b64 s[44:45], s[44:45], s[48:49]
	v_writelane_b32 v37, s50, 4
	s_or_b64 s[48:49], s[44:45], s[52:53]
	v_writelane_b32 v37, s51, 5
	s_xor_b64 s[48:49], s[48:49], -1
	v_writelane_b32 v37, s48, 6
	v_cmp_le_i32_e32 vcc, s19, v0
	v_writelane_b32 v37, s49, 7
	s_or_b64 s[48:49], s[54:55], vcc
	s_or_b64 s[44:45], s[44:45], s[48:49]
	s_xor_b64 s[44:45], s[44:45], -1
	v_writelane_b32 v37, s44, 8
	s_mul_i32 s4, s26, s5
	v_writelane_b32 v37, s45, 9
	v_mad_i64_i32 v[2:3], s[44:45], s20, v0, 0
	s_mul_hi_i32 s45, s20, s4
	s_mul_i32 s44, s20, s4
	s_mov_b32 s63, 0
	s_add_i32 s56, s19, -1
	s_lshl_b64 s[58:59], s[22:23], 3
	s_ashr_i32 s5, s4, 31
	s_lshl_b64 s[60:61], s[44:45], 3
	s_lshl_b64 s[10:11], s[10:11], 3
	;; [unrolled: 1-line block ×4, first 2 shown]
	s_add_u32 s87, s8, s44
	s_addc_u32 s88, s9, s45
	s_add_u32 s89, s12, s44
	s_addc_u32 s90, s13, s45
	s_mov_b32 s57, s63
	s_add_u32 s26, s0, s44
	s_addc_u32 s48, s1, s45
	s_add_i32 s91, s19, 1
	s_lshl_b64 s[44:45], s[56:57], 3
	s_add_u32 s49, s0, s44
	v_lshlrev_b64 v[2:3], 3, v[2:3]
	s_addc_u32 s50, s1, s45
	s_mul_i32 s44, s21, s18
	s_mul_hi_u32 s45, s20, s18
	s_mul_i32 s62, s20, s18
	v_mov_b32_e32 v1, s3
	v_add_co_u32_e32 v4, vcc, s2, v2
	s_add_i32 s45, s45, s44
	s_mov_b32 s44, s62
	v_addc_co_u32_e32 v1, vcc, v3, v1, vcc
	s_lshl_b64 s[44:45], s[44:45], 3
	s_lshl_b64 s[64:65], s[20:21], 3
	;; [unrolled: 1-line block ×3, first 2 shown]
	s_add_u32 s5, s44, s2
	v_mov_b32_e32 v2, s1
	v_add_co_u32_e32 v20, vcc, s0, v4
	s_addc_u32 s44, s45, s3
	v_addc_co_u32_e32 v21, vcc, v2, v1, vcc
	s_mov_b32 s69, s63
	s_add_u32 s51, s0, s5
	v_add_co_u32_e32 v2, vcc, 8, v20
	s_addc_u32 s52, s1, s44
	s_lshl_b64 s[44:45], s[68:69], 3
	v_addc_co_u32_e32 v3, vcc, 0, v21, vcc
	s_add_u32 s5, s8, s44
	v_mov_b32_e32 v5, s48
	v_add_co_u32_e32 v22, vcc, s26, v4
	s_addc_u32 s57, s9, s45
	v_addc_co_u32_e32 v23, vcc, v5, v1, vcc
	s_add_u32 s92, s12, s44
	s_mul_i32 s21, s21, s68
	s_mul_hi_u32 s44, s20, s68
	v_add_co_u32_e32 v24, vcc, 8, v22
	s_addc_u32 s93, s13, s45
	s_add_i32 s45, s44, s21
	s_mul_i32 s44, s20, s68
	v_addc_co_u32_e32 v25, vcc, 0, v23, vcc
	s_lshl_b64 s[44:45], s[44:45], 3
	v_mov_b32_e32 v5, s50
	v_add_co_u32_e32 v26, vcc, s49, v4
	s_add_u32 s21, s44, s2
	v_addc_co_u32_e32 v27, vcc, v5, v1, vcc
	v_ashrrev_i32_e32 v1, 31, v0
	s_addc_u32 s44, s45, s3
	v_lshlrev_b64 v[4:5], 3, v[0:1]
	s_add_u32 s21, s0, s21
	v_mov_b32_e32 v6, s25
	v_add_co_u32_e32 v1, vcc, s6, v4
	s_addc_u32 s44, s1, s44
	v_addc_co_u32_e32 v28, vcc, v6, v5, vcc
	s_add_u32 s2, s2, s64
	v_mov_b32_e32 v6, s52
	v_add_co_u32_e32 v29, vcc, s51, v4
	s_addc_u32 s3, s3, s65
	v_addc_co_u32_e32 v30, vcc, v6, v5, vcc
	;; [unrolled: 5-line block ×3, first 2 shown]
	s_add_i32 s21, s86, 1
	v_mov_b32_e32 v6, s1
	v_add_co_u32_e32 v33, vcc, s2, v4
	s_sub_u32 s94, 0, s64
	v_addc_co_u32_e32 v34, vcc, v6, v5, vcc
	s_mov_b32 s26, s19
	s_mul_hi_i32 s63, s20, s18
	v_mov_b32_e32 v35, 0
	v_mov_b32_e32 v36, s61
	s_subb_u32 s95, 0, s65
	v_cmp_gt_i32_e64 s[0:1], s86, v0
	v_cmp_gt_i32_e64 s[2:3], s19, v0
	s_branch .LBB92_4
.LBB92_2:                               ;   in Loop: Header=BB92_4 Depth=1
	s_or_b64 exec, exec, s[68:69]
.LBB92_3:                               ;   in Loop: Header=BB92_4 Depth=1
	s_add_i32 s7, s7, s24
	s_cmp_ge_u32 s7, s33
	s_cbranch_scc1 .LBB92_98
.LBB92_4:                               ; =>This Loop Header: Depth=1
                                        ;     Child Loop BB92_8 Depth 2
                                        ;       Child Loop BB92_9 Depth 3
                                        ;     Child Loop BB92_16 Depth 2
                                        ;       Child Loop BB92_17 Depth 3
	;; [unrolled: 2-line block ×12, first 2 shown]
	s_mul_i32 s44, s11, s7
	s_mul_hi_u32 s45, s10, s7
	s_add_i32 s84, s45, s44
	s_mul_i32 s44, s15, s7
	s_mul_hi_u32 s45, s14, s7
	s_mul_i32 s85, s10, s7
	s_add_i32 s50, s45, s44
	s_add_u32 s68, s8, s85
	v_mov_b32_e32 v4, s7
	s_mul_i32 s51, s14, s7
	s_addc_u32 s69, s9, s84
	v_mad_u64_u32 v[4:5], s[44:45], s58, v4, v[2:3]
	s_add_u32 s70, s12, s51
	s_mul_i32 s44, s7, s23
	s_mul_hi_u32 s45, s7, s22
	s_addc_u32 s71, s13, s50
	s_add_i32 s45, s45, s44
	s_mul_i32 s44, s7, s22
	s_lshl_b64 s[44:45], s[44:45], 3
	s_mul_i32 s52, s59, s7
	s_add_u32 s54, s6, s44
	v_add_u32_e32 v5, s52, v5
	s_addc_u32 s55, s25, s45
	s_andn2_b64 vcc, exec, s[16:17]
	s_mov_b64 s[72:73], -1
	s_cbranch_vccnz .LBB92_11
; %bb.5:                                ;   in Loop: Header=BB92_4 Depth=1
	s_and_saveexec_b64 s[72:73], s[0:1]
	s_cbranch_execz .LBB92_10
; %bb.6:                                ;   in Loop: Header=BB92_4 Depth=1
	s_lshl_b64 s[44:45], s[26:27], 3
	s_add_u32 s44, s54, s44
	s_addc_u32 s45, s55, s45
	s_add_u32 s48, s44, -8
	s_addc_u32 s44, s45, -1
	s_mov_b64 s[74:75], 0
	v_mov_b32_e32 v14, s55
	v_mov_b32_e32 v15, s44
	v_pk_mov_b32 v[6:7], v[4:5], v[4:5] op_sel:[0,1]
	v_mov_b32_e32 v16, v0
	s_branch .LBB92_8
.LBB92_7:                               ;   in Loop: Header=BB92_8 Depth=2
	v_add_co_u32_e32 v8, vcc, s48, v8
	v_addc_co_u32_e32 v9, vcc, v15, v9, vcc
	v_add_u32_e32 v16, s4, v16
	v_cmp_le_i32_e32 vcc, s86, v16
	s_or_b64 s[74:75], vcc, s[74:75]
	v_add_co_u32_e32 v6, vcc, s60, v6
	v_addc_co_u32_e32 v7, vcc, v7, v36, vcc
	s_waitcnt vmcnt(0)
	global_store_dwordx2 v[8:9], v[10:11], off
	s_andn2_b64 exec, exec, s[74:75]
	s_cbranch_execz .LBB92_10
.LBB92_8:                               ;   Parent Loop BB92_4 Depth=1
                                        ; =>  This Loop Header: Depth=2
                                        ;       Child Loop BB92_9 Depth 3
	v_mad_i64_i32 v[8:9], s[44:45], v16, s20, 0
	v_lshlrev_b64 v[8:9], 3, v[8:9]
	v_add_co_u32_e32 v10, vcc, s54, v8
	v_addc_co_u32_e32 v11, vcc, v14, v9, vcc
	global_load_dwordx2 v[10:11], v[10:11], off
	s_andn2_b64 vcc, exec, s[30:31]
	s_mov_b64 s[76:77], s[70:71]
	s_mov_b64 s[78:79], s[68:69]
	v_pk_mov_b32 v[12:13], v[6:7], v[6:7] op_sel:[0,1]
	s_mov_b32 s44, s56
	s_cbranch_vccnz .LBB92_7
.LBB92_9:                               ;   Parent Loop BB92_4 Depth=1
                                        ;     Parent Loop BB92_8 Depth=2
                                        ; =>    This Inner Loop Header: Depth=3
	global_load_dwordx2 v[18:19], v35, s[76:77]
	global_load_dwordx2 v[38:39], v[12:13], off
	global_load_dwordx2 v[40:41], v35, s[78:79]
	s_add_i32 s44, s44, -1
	s_add_u32 s78, s78, 8
	s_addc_u32 s79, s79, 0
	s_add_u32 s76, s76, 8
	s_addc_u32 s77, s77, 0
	s_cmp_eq_u32 s44, 0
	s_waitcnt vmcnt(1)
	v_mul_f64 v[42:43], v[18:19], v[38:39]
	s_waitcnt vmcnt(0)
	v_fmac_f64_e32 v[42:43], v[10:11], v[40:41]
	v_mul_f64 v[18:19], v[10:11], v[18:19]
	global_store_dwordx2 v[12:13], v[42:43], off offset:-8
	v_add_co_u32_e32 v12, vcc, 8, v12
	v_fma_f64 v[10:11], v[40:41], v[38:39], -v[18:19]
	v_addc_co_u32_e32 v13, vcc, 0, v13, vcc
	s_cbranch_scc0 .LBB92_9
	s_branch .LBB92_7
.LBB92_10:                              ;   in Loop: Header=BB92_4 Depth=1
	s_or_b64 exec, exec, s[72:73]
	s_mov_b64 s[72:73], 0
.LBB92_11:                              ;   in Loop: Header=BB92_4 Depth=1
	s_andn2_b64 vcc, exec, s[72:73]
	s_cbranch_vccnz .LBB92_3
; %bb.12:                               ;   in Loop: Header=BB92_4 Depth=1
	s_mul_hi_u32 s44, s58, s7
	s_add_i32 s52, s44, s52
	s_add_u32 s72, s87, s85
	s_addc_u32 s73, s88, s84
	s_add_u32 s74, s89, s51
	s_mul_i32 s53, s58, s7
	s_addc_u32 s75, s90, s50
	s_andn2_b64 vcc, exec, s[28:29]
	s_mov_b64 s[76:77], -1
	s_cbranch_vccnz .LBB92_19
; %bb.13:                               ;   in Loop: Header=BB92_4 Depth=1
	s_and_saveexec_b64 s[76:77], s[0:1]
	s_cbranch_execz .LBB92_18
; %bb.14:                               ;   in Loop: Header=BB92_4 Depth=1
	s_lshl_b64 s[44:45], s[26:27], 3
	s_add_u32 s44, s54, s44
	s_addc_u32 s45, s55, s45
	v_mov_b32_e32 v7, s52
	v_add_co_u32_e32 v6, vcc, s53, v24
	s_add_u32 s48, s44, -8
	v_addc_co_u32_e32 v7, vcc, v25, v7, vcc
	s_addc_u32 s49, s45, -1
	s_mov_b64 s[78:79], 0
	v_mov_b32_e32 v14, v0
	s_branch .LBB92_16
.LBB92_15:                              ;   in Loop: Header=BB92_16 Depth=2
	v_mov_b32_e32 v10, s55
	v_add_co_u32_e32 v8, vcc, s54, v8
	v_addc_co_u32_e32 v9, vcc, v10, v9, vcc
	v_add_u32_e32 v14, s4, v14
	v_cmp_le_i32_e32 vcc, s86, v14
	s_waitcnt vmcnt(0)
	global_store_dwordx2 v[8:9], v[12:13], off
	v_mov_b32_e32 v8, s61
	s_or_b64 s[78:79], vcc, s[78:79]
	v_add_co_u32_e32 v6, vcc, s60, v6
	v_addc_co_u32_e32 v7, vcc, v7, v8, vcc
	s_andn2_b64 exec, exec, s[78:79]
	s_cbranch_execz .LBB92_18
.LBB92_16:                              ;   Parent Loop BB92_4 Depth=1
                                        ; =>  This Loop Header: Depth=2
                                        ;       Child Loop BB92_17 Depth 3
	v_mad_i64_i32 v[8:9], s[44:45], v14, s20, 0
	v_lshlrev_b64 v[8:9], 3, v[8:9]
	v_mov_b32_e32 v11, s49
	v_add_co_u32_e32 v10, vcc, s48, v8
	v_addc_co_u32_e32 v11, vcc, v11, v9, vcc
	global_load_dwordx2 v[12:13], v[10:11], off
	s_andn2_b64 vcc, exec, s[30:31]
	v_pk_mov_b32 v[10:11], v[6:7], v[6:7] op_sel:[0,1]
	s_mov_b64 s[80:81], s[74:75]
	s_mov_b64 s[82:83], s[72:73]
	s_mov_b32 s44, s56
	s_cbranch_vccnz .LBB92_15
.LBB92_17:                              ;   Parent Loop BB92_4 Depth=1
                                        ;     Parent Loop BB92_16 Depth=2
                                        ; =>    This Inner Loop Header: Depth=3
	global_load_dwordx2 v[16:17], v[10:11], off offset:-8
	global_load_dwordx2 v[18:19], v35, s[80:81]
	global_load_dwordx2 v[38:39], v35, s[82:83]
	s_add_i32 s44, s44, -1
	s_add_u32 s82, s82, -8
	s_addc_u32 s83, s83, -1
	s_waitcnt vmcnt(3)
	v_pk_mov_b32 v[40:41], v[12:13], v[12:13] op_sel:[0,1]
	v_add_co_u32_e32 v42, vcc, -8, v10
	s_add_u32 s80, s80, -8
	v_addc_co_u32_e32 v43, vcc, -1, v11, vcc
	s_addc_u32 s81, s81, -1
	s_cmp_eq_u32 s44, 0
	s_waitcnt vmcnt(1)
	v_mul_f64 v[44:45], v[18:19], v[16:17]
	s_waitcnt vmcnt(0)
	v_mul_f64 v[12:13], v[38:39], v[16:17]
	v_fma_f64 v[16:17], v[40:41], v[38:39], -v[44:45]
	v_fmac_f64_e32 v[12:13], v[40:41], v[18:19]
	global_store_dwordx2 v[10:11], v[16:17], off
	v_pk_mov_b32 v[10:11], v[42:43], v[42:43] op_sel:[0,1]
	s_cbranch_scc0 .LBB92_17
	s_branch .LBB92_15
.LBB92_18:                              ;   in Loop: Header=BB92_4 Depth=1
	s_or_b64 exec, exec, s[76:77]
	s_mov_b64 s[76:77], 0
.LBB92_19:                              ;   in Loop: Header=BB92_4 Depth=1
	s_andn2_b64 vcc, exec, s[76:77]
	s_cbranch_vccnz .LBB92_3
; %bb.20:                               ;   in Loop: Header=BB92_4 Depth=1
	s_andn2_b64 vcc, exec, s[34:35]
	s_mov_b64 s[76:77], -1
	s_cbranch_vccnz .LBB92_27
; %bb.21:                               ;   in Loop: Header=BB92_4 Depth=1
	s_and_saveexec_b64 s[76:77], s[0:1]
	s_cbranch_execz .LBB92_26
; %bb.22:                               ;   in Loop: Header=BB92_4 Depth=1
	s_mov_b64 s[78:79], 0
	v_mov_b32_e32 v12, v0
	s_branch .LBB92_24
.LBB92_23:                              ;   in Loop: Header=BB92_24 Depth=2
	v_add_u32_e32 v12, s4, v12
	v_cmp_le_i32_e32 vcc, s86, v12
	s_waitcnt vmcnt(0)
	global_store_dwordx2 v[6:7], v[10:11], off
	v_mov_b32_e32 v6, s61
	s_or_b64 s[78:79], vcc, s[78:79]
	v_add_co_u32_e32 v4, vcc, s60, v4
	v_addc_co_u32_e32 v5, vcc, v5, v6, vcc
	s_andn2_b64 exec, exec, s[78:79]
	s_cbranch_execz .LBB92_26
.LBB92_24:                              ;   Parent Loop BB92_4 Depth=1
                                        ; =>  This Loop Header: Depth=2
                                        ;       Child Loop BB92_25 Depth 3
	v_mad_i64_i32 v[6:7], s[44:45], v12, s20, 0
	v_lshlrev_b64 v[6:7], 3, v[6:7]
	v_mov_b32_e32 v8, s55
	v_add_co_u32_e32 v6, vcc, s54, v6
	v_addc_co_u32_e32 v7, vcc, v8, v7, vcc
	global_load_dwordx2 v[10:11], v[6:7], off
	s_andn2_b64 vcc, exec, s[30:31]
	v_pk_mov_b32 v[8:9], v[4:5], v[4:5] op_sel:[0,1]
	s_mov_b32 s44, s56
	s_mov_b64 s[80:81], s[68:69]
	s_mov_b64 s[82:83], s[70:71]
	s_cbranch_vccnz .LBB92_23
.LBB92_25:                              ;   Parent Loop BB92_4 Depth=1
                                        ;     Parent Loop BB92_24 Depth=2
                                        ; =>    This Inner Loop Header: Depth=3
	global_load_dwordx2 v[14:15], v35, s[82:83]
	global_load_dwordx2 v[16:17], v[8:9], off
	global_load_dwordx2 v[18:19], v35, s[80:81]
	s_waitcnt vmcnt(3)
	v_pk_mov_b32 v[38:39], v[10:11], v[10:11] op_sel:[0,1]
	s_add_u32 s82, s82, 8
	s_addc_u32 s83, s83, 0
	s_add_u32 s80, s80, 8
	s_addc_u32 s81, s81, 0
	s_add_i32 s44, s44, -1
	s_cmp_eq_u32 s44, 0
	s_waitcnt vmcnt(2)
	v_mul_f64 v[40:41], v[38:39], v[14:15]
	s_waitcnt vmcnt(1)
	v_mul_f64 v[10:11], v[14:15], v[16:17]
	s_waitcnt vmcnt(0)
	v_fma_f64 v[14:15], v[18:19], v[16:17], -v[40:41]
	global_store_dwordx2 v[8:9], v[14:15], off
	v_add_co_u32_e32 v8, vcc, 8, v8
	v_fmac_f64_e32 v[10:11], v[38:39], v[18:19]
	v_addc_co_u32_e32 v9, vcc, 0, v9, vcc
	s_cbranch_scc0 .LBB92_25
	s_branch .LBB92_23
.LBB92_26:                              ;   in Loop: Header=BB92_4 Depth=1
	s_or_b64 exec, exec, s[76:77]
	s_mov_b64 s[76:77], 0
.LBB92_27:                              ;   in Loop: Header=BB92_4 Depth=1
	s_andn2_b64 vcc, exec, s[76:77]
	s_cbranch_vccnz .LBB92_3
; %bb.28:                               ;   in Loop: Header=BB92_4 Depth=1
	s_andn2_b64 vcc, exec, s[36:37]
	s_mov_b64 s[76:77], -1
	s_cbranch_vccnz .LBB92_35
; %bb.29:                               ;   in Loop: Header=BB92_4 Depth=1
	s_and_saveexec_b64 s[76:77], s[0:1]
	s_cbranch_execz .LBB92_34
; %bb.30:                               ;   in Loop: Header=BB92_4 Depth=1
	v_mov_b32_e32 v5, s52
	v_add_co_u32_e32 v4, vcc, s53, v26
	v_addc_co_u32_e32 v5, vcc, v27, v5, vcc
	s_mov_b64 s[78:79], 0
	v_mov_b32_e32 v12, v0
	s_branch .LBB92_32
.LBB92_31:                              ;   in Loop: Header=BB92_32 Depth=2
	v_add_u32_e32 v12, s4, v12
	v_cmp_le_i32_e32 vcc, s86, v12
	s_waitcnt vmcnt(0)
	global_store_dwordx2 v[6:7], v[10:11], off
	v_mov_b32_e32 v6, s61
	s_or_b64 s[78:79], vcc, s[78:79]
	v_add_co_u32_e32 v4, vcc, s60, v4
	v_addc_co_u32_e32 v5, vcc, v5, v6, vcc
	s_andn2_b64 exec, exec, s[78:79]
	s_cbranch_execz .LBB92_34
.LBB92_32:                              ;   Parent Loop BB92_4 Depth=1
                                        ; =>  This Loop Header: Depth=2
                                        ;       Child Loop BB92_33 Depth 3
	v_mad_i64_i32 v[6:7], s[44:45], v12, s20, 0
	v_lshlrev_b64 v[6:7], 3, v[6:7]
	v_mov_b32_e32 v8, s55
	v_add_co_u32_e32 v6, vcc, s54, v6
	v_addc_co_u32_e32 v7, vcc, v8, v7, vcc
	global_load_dwordx2 v[10:11], v[6:7], off
	s_andn2_b64 vcc, exec, s[30:31]
	v_pk_mov_b32 v[8:9], v[4:5], v[4:5] op_sel:[0,1]
	s_mov_b64 s[80:81], s[74:75]
	s_mov_b64 s[82:83], s[72:73]
	s_mov_b32 s44, s91
	s_cbranch_vccnz .LBB92_31
.LBB92_33:                              ;   Parent Loop BB92_4 Depth=1
                                        ;     Parent Loop BB92_32 Depth=2
                                        ; =>    This Inner Loop Header: Depth=3
	global_load_dwordx2 v[14:15], v35, s[80:81]
	global_load_dwordx2 v[16:17], v[8:9], off
	global_load_dwordx2 v[18:19], v35, s[82:83]
	s_add_i32 s44, s44, -1
	s_waitcnt vmcnt(3)
	v_pk_mov_b32 v[38:39], v[10:11], v[10:11] op_sel:[0,1]
	s_add_u32 s82, s82, -8
	s_addc_u32 s83, s83, -1
	s_add_u32 s80, s80, -8
	s_addc_u32 s81, s81, -1
	s_cmp_lt_u32 s44, 3
	s_waitcnt vmcnt(2)
	v_mul_f64 v[40:41], v[38:39], v[14:15]
	s_waitcnt vmcnt(1)
	v_mul_f64 v[10:11], v[14:15], v[16:17]
	s_waitcnt vmcnt(0)
	v_fma_f64 v[14:15], v[18:19], v[16:17], -v[40:41]
	global_store_dwordx2 v[8:9], v[14:15], off
	v_add_co_u32_e32 v8, vcc, -8, v8
	v_fmac_f64_e32 v[10:11], v[38:39], v[18:19]
	v_addc_co_u32_e32 v9, vcc, -1, v9, vcc
	s_cbranch_scc0 .LBB92_33
	s_branch .LBB92_31
.LBB92_34:                              ;   in Loop: Header=BB92_4 Depth=1
	s_or_b64 exec, exec, s[76:77]
	s_mov_b64 s[76:77], 0
.LBB92_35:                              ;   in Loop: Header=BB92_4 Depth=1
	s_andn2_b64 vcc, exec, s[76:77]
	s_cbranch_vccnz .LBB92_3
; %bb.36:                               ;   in Loop: Header=BB92_4 Depth=1
	s_andn2_b64 vcc, exec, s[38:39]
	s_mov_b64 s[76:77], -1
	s_cbranch_vccnz .LBB92_43
; %bb.37:                               ;   in Loop: Header=BB92_4 Depth=1
	s_and_saveexec_b64 s[76:77], s[0:1]
	s_cbranch_execz .LBB92_42
; %bb.38:                               ;   in Loop: Header=BB92_4 Depth=1
	s_lshl_b64 s[44:45], s[26:27], 3
	s_add_u32 s44, s54, s44
	s_addc_u32 s45, s55, s45
	v_mov_b32_e32 v5, s52
	v_add_co_u32_e32 v4, vcc, s53, v20
	s_add_u32 s48, s44, -8
	v_addc_co_u32_e32 v5, vcc, v21, v5, vcc
	s_addc_u32 s49, s45, -1
	s_mov_b64 s[78:79], 0
	v_mov_b32_e32 v12, v0
	s_branch .LBB92_40
.LBB92_39:                              ;   in Loop: Header=BB92_40 Depth=2
	v_add_u32_e32 v12, s4, v12
	v_cmp_le_i32_e32 vcc, s86, v12
	s_waitcnt vmcnt(0)
	global_store_dwordx2 v[6:7], v[8:9], off
	v_mov_b32_e32 v6, s61
	s_or_b64 s[78:79], vcc, s[78:79]
	v_add_co_u32_e32 v4, vcc, s60, v4
	v_addc_co_u32_e32 v5, vcc, v5, v6, vcc
	s_andn2_b64 exec, exec, s[78:79]
	s_cbranch_execz .LBB92_42
.LBB92_40:                              ;   Parent Loop BB92_4 Depth=1
                                        ; =>  This Loop Header: Depth=2
                                        ;       Child Loop BB92_41 Depth 3
	v_mad_i64_i32 v[6:7], s[44:45], v12, s20, 0
	v_lshlrev_b64 v[6:7], 3, v[6:7]
	v_mov_b32_e32 v8, s49
	v_add_co_u32_e32 v6, vcc, s48, v6
	v_addc_co_u32_e32 v7, vcc, v8, v7, vcc
	global_load_dwordx2 v[8:9], v[6:7], off
	s_andn2_b64 vcc, exec, s[30:31]
	v_pk_mov_b32 v[10:11], v[4:5], v[4:5] op_sel:[0,1]
	s_mov_b64 s[80:81], s[70:71]
	s_mov_b64 s[82:83], s[68:69]
	s_mov_b32 s44, s56
	s_cbranch_vccnz .LBB92_39
.LBB92_41:                              ;   Parent Loop BB92_4 Depth=1
                                        ;     Parent Loop BB92_40 Depth=2
                                        ; =>    This Inner Loop Header: Depth=3
	global_load_dwordx2 v[14:15], v[10:11], off
	global_load_dwordx2 v[16:17], v35, s[82:83]
	global_load_dwordx2 v[18:19], v35, s[80:81]
	s_add_i32 s44, s44, -1
	s_add_u32 s82, s82, 8
	s_addc_u32 s83, s83, 0
	s_add_u32 s80, s80, 8
	s_addc_u32 s81, s81, 0
	s_cmp_eq_u32 s44, 0
	s_waitcnt vmcnt(1)
	v_mul_f64 v[38:39], v[16:17], v[14:15]
	s_waitcnt vmcnt(0)
	v_fmac_f64_e32 v[38:39], v[8:9], v[18:19]
	v_mul_f64 v[14:15], v[18:19], v[14:15]
	global_store_dwordx2 v[10:11], v[38:39], off
	v_add_co_u32_e32 v10, vcc, 8, v10
	v_fma_f64 v[8:9], v[8:9], v[16:17], -v[14:15]
	v_addc_co_u32_e32 v11, vcc, 0, v11, vcc
	s_cbranch_scc0 .LBB92_41
	s_branch .LBB92_39
.LBB92_42:                              ;   in Loop: Header=BB92_4 Depth=1
	s_or_b64 exec, exec, s[76:77]
	s_mov_b64 s[76:77], 0
.LBB92_43:                              ;   in Loop: Header=BB92_4 Depth=1
	s_andn2_b64 vcc, exec, s[76:77]
	s_cbranch_vccnz .LBB92_3
; %bb.44:                               ;   in Loop: Header=BB92_4 Depth=1
	s_andn2_b64 vcc, exec, s[40:41]
	s_mov_b64 s[76:77], -1
	s_cbranch_vccnz .LBB92_51
; %bb.45:                               ;   in Loop: Header=BB92_4 Depth=1
	s_and_saveexec_b64 s[76:77], s[0:1]
	s_cbranch_execz .LBB92_50
; %bb.46:                               ;   in Loop: Header=BB92_4 Depth=1
	s_lshl_b64 s[44:45], s[26:27], 3
	s_add_u32 s44, s54, s44
	s_addc_u32 s45, s55, s45
	v_mov_b32_e32 v5, s52
	v_add_co_u32_e32 v4, vcc, s53, v22
	s_add_u32 s48, s44, -8
	v_addc_co_u32_e32 v5, vcc, v23, v5, vcc
	s_addc_u32 s49, s45, -1
	s_mov_b64 s[78:79], 0
	v_mov_b32_e32 v12, v0
	s_branch .LBB92_48
.LBB92_47:                              ;   in Loop: Header=BB92_48 Depth=2
	v_add_u32_e32 v12, s4, v12
	v_cmp_le_i32_e32 vcc, s86, v12
	s_waitcnt vmcnt(0)
	global_store_dwordx2 v[6:7], v[8:9], off
	v_mov_b32_e32 v6, s61
	s_or_b64 s[78:79], vcc, s[78:79]
	v_add_co_u32_e32 v4, vcc, s60, v4
	v_addc_co_u32_e32 v5, vcc, v5, v6, vcc
	s_andn2_b64 exec, exec, s[78:79]
	s_cbranch_execz .LBB92_50
.LBB92_48:                              ;   Parent Loop BB92_4 Depth=1
                                        ; =>  This Loop Header: Depth=2
                                        ;       Child Loop BB92_49 Depth 3
	v_mad_i64_i32 v[6:7], s[44:45], v12, s20, 0
	v_lshlrev_b64 v[6:7], 3, v[6:7]
	v_mov_b32_e32 v8, s49
	v_add_co_u32_e32 v6, vcc, s48, v6
	v_addc_co_u32_e32 v7, vcc, v8, v7, vcc
	global_load_dwordx2 v[8:9], v[6:7], off
	s_andn2_b64 vcc, exec, s[30:31]
	v_pk_mov_b32 v[10:11], v[4:5], v[4:5] op_sel:[0,1]
	s_mov_b64 s[80:81], s[74:75]
	s_mov_b64 s[82:83], s[72:73]
	s_mov_b32 s44, s56
	s_cbranch_vccnz .LBB92_47
.LBB92_49:                              ;   Parent Loop BB92_4 Depth=1
                                        ;     Parent Loop BB92_48 Depth=2
                                        ; =>    This Inner Loop Header: Depth=3
	global_load_dwordx2 v[14:15], v[10:11], off
	global_load_dwordx2 v[16:17], v35, s[82:83]
	global_load_dwordx2 v[18:19], v35, s[80:81]
	s_add_i32 s44, s44, -1
	s_add_u32 s82, s82, -8
	s_addc_u32 s83, s83, -1
	s_add_u32 s80, s80, -8
	s_addc_u32 s81, s81, -1
	s_cmp_eq_u32 s44, 0
	s_waitcnt vmcnt(1)
	v_mul_f64 v[38:39], v[16:17], v[14:15]
	s_waitcnt vmcnt(0)
	v_fmac_f64_e32 v[38:39], v[8:9], v[18:19]
	v_mul_f64 v[14:15], v[18:19], v[14:15]
	global_store_dwordx2 v[10:11], v[38:39], off
	v_add_co_u32_e32 v10, vcc, -8, v10
	v_fma_f64 v[8:9], v[8:9], v[16:17], -v[14:15]
	v_addc_co_u32_e32 v11, vcc, -1, v11, vcc
	s_cbranch_scc0 .LBB92_49
	s_branch .LBB92_47
.LBB92_50:                              ;   in Loop: Header=BB92_4 Depth=1
	s_or_b64 exec, exec, s[76:77]
	s_mov_b64 s[76:77], 0
.LBB92_51:                              ;   in Loop: Header=BB92_4 Depth=1
	s_andn2_b64 vcc, exec, s[76:77]
	s_cbranch_vccnz .LBB92_3
; %bb.52:                               ;   in Loop: Header=BB92_4 Depth=1
	v_mov_b32_e32 v5, s52
	v_add_co_u32_e32 v4, vcc, s53, v1
	v_addc_co_u32_e32 v5, vcc, v28, v5, vcc
	s_andn2_b64 vcc, exec, s[42:43]
	s_mov_b64 s[72:73], -1
	s_cbranch_vccnz .LBB92_59
; %bb.53:                               ;   in Loop: Header=BB92_4 Depth=1
	s_and_saveexec_b64 s[72:73], s[2:3]
	s_cbranch_execz .LBB92_58
; %bb.54:                               ;   in Loop: Header=BB92_4 Depth=1
	s_lshl_b64 s[44:45], s[62:63], 3
	s_add_u32 s48, s54, s44
	s_addc_u32 s49, s55, s45
	s_mov_b64 s[74:75], 0
	v_pk_mov_b32 v[6:7], v[4:5], v[4:5] op_sel:[0,1]
	v_mov_b32_e32 v8, v0
	s_branch .LBB92_56
.LBB92_55:                              ;   in Loop: Header=BB92_56 Depth=2
	v_mov_b32_e32 v9, s49
	v_add_co_u32_e32 v10, vcc, s48, v10
	v_addc_co_u32_e32 v11, vcc, v9, v11, vcc
	v_add_u32_e32 v8, s4, v8
	v_cmp_le_i32_e32 vcc, s19, v8
	v_mov_b32_e32 v9, s67
	s_or_b64 s[74:75], vcc, s[74:75]
	v_add_co_u32_e32 v6, vcc, s66, v6
	v_addc_co_u32_e32 v7, vcc, v7, v9, vcc
	s_waitcnt vmcnt(0)
	global_store_dwordx2 v[10:11], v[12:13], off
	s_andn2_b64 exec, exec, s[74:75]
	s_cbranch_execz .LBB92_58
.LBB92_56:                              ;   Parent Loop BB92_4 Depth=1
                                        ; =>  This Loop Header: Depth=2
                                        ;       Child Loop BB92_57 Depth 3
	v_ashrrev_i32_e32 v9, 31, v8
	v_lshlrev_b64 v[10:11], 3, v[8:9]
	v_mov_b32_e32 v9, s55
	v_add_co_u32_e32 v12, vcc, s54, v10
	v_addc_co_u32_e32 v13, vcc, v9, v11, vcc
	global_load_dwordx2 v[12:13], v[12:13], off
	s_andn2_b64 vcc, exec, s[46:47]
	s_mov_b64 s[76:77], s[70:71]
	s_mov_b64 s[78:79], s[68:69]
	v_pk_mov_b32 v[14:15], v[6:7], v[6:7] op_sel:[0,1]
	s_mov_b32 s44, s18
	s_cbranch_vccnz .LBB92_55
.LBB92_57:                              ;   Parent Loop BB92_4 Depth=1
                                        ;     Parent Loop BB92_56 Depth=2
                                        ; =>    This Inner Loop Header: Depth=3
	v_mov_b32_e32 v9, s65
	v_add_co_u32_e32 v18, vcc, s64, v14
	global_load_dwordx2 v[16:17], v35, s[76:77]
	v_addc_co_u32_e32 v19, vcc, v15, v9, vcc
	global_load_dwordx2 v[38:39], v[18:19], off
	global_load_dwordx2 v[40:41], v35, s[78:79]
	s_add_i32 s44, s44, -1
	s_add_u32 s78, s78, 8
	s_addc_u32 s79, s79, 0
	s_add_u32 s76, s76, 8
	s_addc_u32 s77, s77, 0
	s_cmp_eq_u32 s44, 0
	s_waitcnt vmcnt(2)
	v_mul_f64 v[42:43], v[12:13], v[16:17]
	s_waitcnt vmcnt(1)
	v_mul_f64 v[16:17], v[16:17], v[38:39]
	s_waitcnt vmcnt(0)
	v_fmac_f64_e32 v[16:17], v[12:13], v[40:41]
	v_fma_f64 v[12:13], v[40:41], v[38:39], -v[42:43]
	global_store_dwordx2 v[14:15], v[16:17], off
	v_pk_mov_b32 v[14:15], v[18:19], v[18:19] op_sel:[0,1]
	s_cbranch_scc0 .LBB92_57
	s_branch .LBB92_55
.LBB92_58:                              ;   in Loop: Header=BB92_4 Depth=1
	s_or_b64 exec, exec, s[72:73]
	s_mov_b64 s[72:73], 0
.LBB92_59:                              ;   in Loop: Header=BB92_4 Depth=1
	s_andn2_b64 vcc, exec, s[72:73]
	s_cbranch_vccnz .LBB92_3
; %bb.60:                               ;   in Loop: Header=BB92_4 Depth=1
	v_mov_b32_e32 v7, s52
	v_add_co_u32_e32 v6, vcc, s53, v31
	s_add_u32 s72, s5, s85
	v_addc_co_u32_e32 v7, vcc, v32, v7, vcc
	s_addc_u32 s73, s57, s84
	v_mov_b32_e32 v9, s52
	v_add_co_u32_e32 v8, vcc, s53, v29
	v_readlane_b32 s44, v37, 0
	s_add_u32 s74, s92, s51
	v_addc_co_u32_e32 v9, vcc, v30, v9, vcc
	v_readlane_b32 s45, v37, 1
	s_addc_u32 s75, s93, s50
	s_andn2_b64 vcc, exec, s[44:45]
	s_mov_b64 s[76:77], -1
	s_cbranch_vccnz .LBB92_68
; %bb.61:                               ;   in Loop: Header=BB92_4 Depth=1
	s_and_saveexec_b64 s[76:77], s[2:3]
	s_cbranch_execz .LBB92_67
; %bb.62:                               ;   in Loop: Header=BB92_4 Depth=1
	s_lshl_b64 s[44:45], s[62:63], 3
	s_add_u32 s50, s54, s44
	s_addc_u32 s51, s55, s45
	s_mov_b64 s[78:79], 0
	v_pk_mov_b32 v[10:11], v[6:7], v[6:7] op_sel:[0,1]
	v_pk_mov_b32 v[12:13], v[8:9], v[8:9] op_sel:[0,1]
	v_mov_b32_e32 v14, v0
	s_branch .LBB92_64
.LBB92_63:                              ;   in Loop: Header=BB92_64 Depth=2
	v_mov_b32_e32 v15, s55
	v_add_co_u32_e32 v16, vcc, s54, v16
	v_addc_co_u32_e32 v17, vcc, v15, v17, vcc
	v_mov_b32_e32 v15, s67
	v_add_co_u32_e32 v12, vcc, s66, v12
	v_add_u32_e32 v14, s4, v14
	v_addc_co_u32_e32 v13, vcc, v13, v15, vcc
	v_cmp_le_i32_e32 vcc, s19, v14
	s_or_b64 s[78:79], vcc, s[78:79]
	v_add_co_u32_e32 v10, vcc, s66, v10
	v_addc_co_u32_e32 v11, vcc, v11, v15, vcc
	s_waitcnt vmcnt(0)
	global_store_dwordx2 v[16:17], v[18:19], off
	s_andn2_b64 exec, exec, s[78:79]
	s_cbranch_execz .LBB92_67
.LBB92_64:                              ;   Parent Loop BB92_4 Depth=1
                                        ; =>  This Loop Header: Depth=2
                                        ;       Child Loop BB92_66 Depth 3
	v_ashrrev_i32_e32 v15, 31, v14
	v_lshlrev_b64 v[16:17], 3, v[14:15]
	v_mov_b32_e32 v15, s51
	v_add_co_u32_e32 v18, vcc, s50, v16
	v_addc_co_u32_e32 v19, vcc, v15, v17, vcc
	global_load_dwordx2 v[18:19], v[18:19], off
	s_andn2_b64 vcc, exec, s[46:47]
	s_cbranch_vccnz .LBB92_63
; %bb.65:                               ;   in Loop: Header=BB92_64 Depth=2
	s_mov_b64 s[80:81], 0
	s_mov_b64 s[82:83], s[74:75]
	;; [unrolled: 1-line block ×3, first 2 shown]
	s_mov_b32 s48, s18
.LBB92_66:                              ;   Parent Loop BB92_4 Depth=1
                                        ;     Parent Loop BB92_64 Depth=2
                                        ; =>    This Inner Loop Header: Depth=3
	v_mov_b32_e32 v15, s81
	v_add_co_u32_e32 v42, vcc, s80, v10
	v_addc_co_u32_e32 v43, vcc, v11, v15, vcc
	global_load_dwordx2 v[38:39], v35, s[84:85]
	global_load_dwordx2 v[40:41], v35, s[82:83]
	s_add_i32 s48, s48, -1
	global_load_dwordx2 v[42:43], v[42:43], off
	v_add_co_u32_e32 v46, vcc, s80, v12
	s_sub_u32 s80, s80, s64
	s_subb_u32 s81, s81, s65
	s_add_u32 s84, s84, -8
	s_addc_u32 s85, s85, -1
	s_add_u32 s82, s82, -8
	s_waitcnt vmcnt(3)
	v_pk_mov_b32 v[44:45], v[18:19], v[18:19] op_sel:[0,1]
	s_addc_u32 s83, s83, -1
	v_addc_co_u32_e32 v47, vcc, v13, v15, vcc
	s_cmp_eq_u32 s48, 0
	s_waitcnt vmcnt(0)
	v_mul_f64 v[48:49], v[40:41], v[42:43]
	v_mul_f64 v[18:19], v[38:39], v[42:43]
	v_fma_f64 v[38:39], v[44:45], v[38:39], -v[48:49]
	v_fmac_f64_e32 v[18:19], v[44:45], v[40:41]
	global_store_dwordx2 v[46:47], v[38:39], off
	s_cbranch_scc0 .LBB92_66
	s_branch .LBB92_63
.LBB92_67:                              ;   in Loop: Header=BB92_4 Depth=1
	s_or_b64 exec, exec, s[76:77]
	s_mov_b64 s[76:77], 0
.LBB92_68:                              ;   in Loop: Header=BB92_4 Depth=1
	s_andn2_b64 vcc, exec, s[76:77]
	s_cbranch_vccnz .LBB92_3
; %bb.69:                               ;   in Loop: Header=BB92_4 Depth=1
	v_readlane_b32 s44, v37, 2
	v_readlane_b32 s45, v37, 3
	s_andn2_b64 vcc, exec, s[44:45]
	s_mov_b64 s[76:77], -1
	s_cbranch_vccnz .LBB92_76
; %bb.70:                               ;   in Loop: Header=BB92_4 Depth=1
	s_and_saveexec_b64 s[76:77], s[2:3]
	s_cbranch_execz .LBB92_75
; %bb.71:                               ;   in Loop: Header=BB92_4 Depth=1
	v_mov_b32_e32 v11, s52
	v_add_co_u32_e32 v10, vcc, s53, v33
	v_addc_co_u32_e32 v11, vcc, v34, v11, vcc
	s_mov_b64 s[78:79], 0
	v_mov_b32_e32 v12, v0
	s_branch .LBB92_73
.LBB92_72:                              ;   in Loop: Header=BB92_73 Depth=2
	v_add_u32_e32 v12, s4, v12
	v_cmp_le_i32_e32 vcc, s19, v12
	v_mov_b32_e32 v13, s67
	s_or_b64 s[78:79], vcc, s[78:79]
	v_add_co_u32_e32 v10, vcc, s66, v10
	v_addc_co_u32_e32 v11, vcc, v11, v13, vcc
	s_waitcnt vmcnt(0)
	global_store_dwordx2 v[14:15], v[18:19], off
	s_andn2_b64 exec, exec, s[78:79]
	s_cbranch_execz .LBB92_75
.LBB92_73:                              ;   Parent Loop BB92_4 Depth=1
                                        ; =>  This Loop Header: Depth=2
                                        ;       Child Loop BB92_74 Depth 3
	v_ashrrev_i32_e32 v13, 31, v12
	v_lshlrev_b64 v[14:15], 3, v[12:13]
	v_mov_b32_e32 v13, s55
	v_add_co_u32_e32 v14, vcc, s54, v14
	v_addc_co_u32_e32 v15, vcc, v13, v15, vcc
	global_load_dwordx2 v[18:19], v[14:15], off
	s_andn2_b64 vcc, exec, s[46:47]
	v_pk_mov_b32 v[16:17], v[10:11], v[10:11] op_sel:[0,1]
	s_mov_b32 s48, s18
	s_mov_b64 s[80:81], s[68:69]
	s_mov_b64 s[82:83], s[70:71]
	s_cbranch_vccnz .LBB92_72
.LBB92_74:                              ;   Parent Loop BB92_4 Depth=1
                                        ;     Parent Loop BB92_73 Depth=2
                                        ; =>    This Inner Loop Header: Depth=3
	global_load_dwordx2 v[38:39], v35, s[82:83]
	global_load_dwordx2 v[40:41], v[16:17], off
	global_load_dwordx2 v[42:43], v35, s[80:81]
	s_waitcnt vmcnt(3)
	v_pk_mov_b32 v[44:45], v[18:19], v[18:19] op_sel:[0,1]
	s_add_u32 s82, s82, 8
	s_addc_u32 s83, s83, 0
	s_add_u32 s80, s80, 8
	v_mov_b32_e32 v13, s65
	s_addc_u32 s81, s81, 0
	s_add_i32 s48, s48, -1
	s_cmp_eq_u32 s48, 0
	s_waitcnt vmcnt(2)
	v_mul_f64 v[46:47], v[44:45], v[38:39]
	s_waitcnt vmcnt(1)
	v_mul_f64 v[18:19], v[38:39], v[40:41]
	s_waitcnt vmcnt(0)
	v_fma_f64 v[38:39], v[42:43], v[40:41], -v[46:47]
	global_store_dwordx2 v[16:17], v[38:39], off
	v_add_co_u32_e32 v16, vcc, s64, v16
	v_fmac_f64_e32 v[18:19], v[44:45], v[42:43]
	v_addc_co_u32_e32 v17, vcc, v17, v13, vcc
	s_cbranch_scc0 .LBB92_74
	s_branch .LBB92_72
.LBB92_75:                              ;   in Loop: Header=BB92_4 Depth=1
	s_or_b64 exec, exec, s[76:77]
	s_mov_b64 s[76:77], 0
.LBB92_76:                              ;   in Loop: Header=BB92_4 Depth=1
	s_andn2_b64 vcc, exec, s[76:77]
	s_cbranch_vccnz .LBB92_3
; %bb.77:                               ;   in Loop: Header=BB92_4 Depth=1
	v_readlane_b32 s44, v37, 4
	v_readlane_b32 s45, v37, 5
	s_andn2_b64 vcc, exec, s[44:45]
	s_mov_b64 s[76:77], -1
	s_cbranch_vccnz .LBB92_84
; %bb.78:                               ;   in Loop: Header=BB92_4 Depth=1
	s_and_saveexec_b64 s[76:77], s[2:3]
	s_cbranch_execz .LBB92_83
; %bb.79:                               ;   in Loop: Header=BB92_4 Depth=1
	s_mov_b64 s[78:79], 0
	v_mov_b32_e32 v10, v0
	s_branch .LBB92_81
.LBB92_80:                              ;   in Loop: Header=BB92_81 Depth=2
	v_add_u32_e32 v10, s4, v10
	v_cmp_le_i32_e32 vcc, s19, v10
	v_mov_b32_e32 v11, s67
	s_or_b64 s[78:79], vcc, s[78:79]
	v_add_co_u32_e32 v8, vcc, s66, v8
	v_addc_co_u32_e32 v9, vcc, v9, v11, vcc
	s_waitcnt vmcnt(0)
	global_store_dwordx2 v[12:13], v[16:17], off
	s_andn2_b64 exec, exec, s[78:79]
	s_cbranch_execz .LBB92_83
.LBB92_81:                              ;   Parent Loop BB92_4 Depth=1
                                        ; =>  This Loop Header: Depth=2
                                        ;       Child Loop BB92_82 Depth 3
	v_ashrrev_i32_e32 v11, 31, v10
	v_lshlrev_b64 v[12:13], 3, v[10:11]
	v_mov_b32_e32 v11, s55
	v_add_co_u32_e32 v12, vcc, s54, v12
	v_addc_co_u32_e32 v13, vcc, v11, v13, vcc
	global_load_dwordx2 v[16:17], v[12:13], off
	s_andn2_b64 vcc, exec, s[46:47]
	v_pk_mov_b32 v[14:15], v[8:9], v[8:9] op_sel:[0,1]
	s_mov_b64 s[80:81], s[74:75]
	s_mov_b64 s[82:83], s[72:73]
	s_mov_b32 s48, s21
	s_cbranch_vccnz .LBB92_80
.LBB92_82:                              ;   Parent Loop BB92_4 Depth=1
                                        ;     Parent Loop BB92_81 Depth=2
                                        ; =>    This Inner Loop Header: Depth=3
	global_load_dwordx2 v[18:19], v35, s[80:81]
	global_load_dwordx2 v[38:39], v[14:15], off
	global_load_dwordx2 v[40:41], v35, s[82:83]
	s_add_i32 s48, s48, -1
	s_waitcnt vmcnt(3)
	v_pk_mov_b32 v[42:43], v[16:17], v[16:17] op_sel:[0,1]
	s_add_u32 s82, s82, -8
	s_addc_u32 s83, s83, -1
	s_add_u32 s80, s80, -8
	v_mov_b32_e32 v11, s95
	s_addc_u32 s81, s81, -1
	s_cmp_lt_u32 s48, 3
	s_waitcnt vmcnt(2)
	v_mul_f64 v[44:45], v[42:43], v[18:19]
	s_waitcnt vmcnt(1)
	v_mul_f64 v[16:17], v[18:19], v[38:39]
	s_waitcnt vmcnt(0)
	v_fma_f64 v[18:19], v[40:41], v[38:39], -v[44:45]
	global_store_dwordx2 v[14:15], v[18:19], off
	v_add_co_u32_e32 v14, vcc, s94, v14
	v_fmac_f64_e32 v[16:17], v[42:43], v[40:41]
	v_addc_co_u32_e32 v15, vcc, v15, v11, vcc
	s_cbranch_scc0 .LBB92_82
	s_branch .LBB92_80
.LBB92_83:                              ;   in Loop: Header=BB92_4 Depth=1
	s_or_b64 exec, exec, s[76:77]
	s_mov_b64 s[76:77], 0
.LBB92_84:                              ;   in Loop: Header=BB92_4 Depth=1
	s_andn2_b64 vcc, exec, s[76:77]
	s_cbranch_vccnz .LBB92_3
; %bb.85:                               ;   in Loop: Header=BB92_4 Depth=1
	v_readlane_b32 s44, v37, 6
	v_readlane_b32 s45, v37, 7
	s_andn2_b64 vcc, exec, s[44:45]
	s_mov_b64 s[76:77], -1
	s_cbranch_vccnz .LBB92_92
; %bb.86:                               ;   in Loop: Header=BB92_4 Depth=1
	s_and_saveexec_b64 s[76:77], s[2:3]
	s_cbranch_execz .LBB92_91
; %bb.87:                               ;   in Loop: Header=BB92_4 Depth=1
	s_lshl_b64 s[44:45], s[62:63], 3
	s_add_u32 s48, s54, s44
	s_addc_u32 s49, s55, s45
	s_mov_b64 s[78:79], 0
	v_mov_b32_e32 v8, v0
	s_branch .LBB92_89
.LBB92_88:                              ;   in Loop: Header=BB92_89 Depth=2
	v_add_u32_e32 v8, s4, v8
	v_cmp_le_i32_e32 vcc, s19, v8
	v_mov_b32_e32 v9, s67
	s_or_b64 s[78:79], vcc, s[78:79]
	v_add_co_u32_e32 v4, vcc, s66, v4
	v_addc_co_u32_e32 v5, vcc, v5, v9, vcc
	s_waitcnt vmcnt(0)
	global_store_dwordx2 v[10:11], v[12:13], off
	s_andn2_b64 exec, exec, s[78:79]
	s_cbranch_execz .LBB92_91
.LBB92_89:                              ;   Parent Loop BB92_4 Depth=1
                                        ; =>  This Loop Header: Depth=2
                                        ;       Child Loop BB92_90 Depth 3
	v_ashrrev_i32_e32 v9, 31, v8
	v_lshlrev_b64 v[10:11], 3, v[8:9]
	v_mov_b32_e32 v9, s49
	v_add_co_u32_e32 v10, vcc, s48, v10
	v_addc_co_u32_e32 v11, vcc, v9, v11, vcc
	global_load_dwordx2 v[12:13], v[10:11], off
	s_andn2_b64 vcc, exec, s[46:47]
	v_pk_mov_b32 v[14:15], v[4:5], v[4:5] op_sel:[0,1]
	s_mov_b64 s[80:81], s[70:71]
	s_mov_b64 s[82:83], s[68:69]
	s_mov_b32 s50, s18
	s_cbranch_vccnz .LBB92_88
.LBB92_90:                              ;   Parent Loop BB92_4 Depth=1
                                        ;     Parent Loop BB92_89 Depth=2
                                        ; =>    This Inner Loop Header: Depth=3
	global_load_dwordx2 v[16:17], v[14:15], off
	global_load_dwordx2 v[18:19], v35, s[82:83]
	global_load_dwordx2 v[38:39], v35, s[80:81]
	s_add_i32 s50, s50, -1
	s_add_u32 s82, s82, 8
	s_addc_u32 s83, s83, 0
	s_add_u32 s80, s80, 8
	v_mov_b32_e32 v9, s65
	s_addc_u32 s81, s81, 0
	s_cmp_eq_u32 s50, 0
	s_waitcnt vmcnt(1)
	v_mul_f64 v[40:41], v[18:19], v[16:17]
	s_waitcnt vmcnt(0)
	v_fmac_f64_e32 v[40:41], v[12:13], v[38:39]
	v_mul_f64 v[16:17], v[38:39], v[16:17]
	global_store_dwordx2 v[14:15], v[40:41], off
	v_add_co_u32_e32 v14, vcc, s64, v14
	v_fma_f64 v[12:13], v[12:13], v[18:19], -v[16:17]
	v_addc_co_u32_e32 v15, vcc, v15, v9, vcc
	s_cbranch_scc0 .LBB92_90
	s_branch .LBB92_88
.LBB92_91:                              ;   in Loop: Header=BB92_4 Depth=1
	s_or_b64 exec, exec, s[76:77]
	s_mov_b64 s[76:77], 0
.LBB92_92:                              ;   in Loop: Header=BB92_4 Depth=1
	s_andn2_b64 vcc, exec, s[76:77]
	s_cbranch_vccnz .LBB92_3
; %bb.93:                               ;   in Loop: Header=BB92_4 Depth=1
	s_mov_b64 s[68:69], exec
	v_readlane_b32 s44, v37, 8
	v_readlane_b32 s45, v37, 9
	s_and_b64 s[44:45], s[68:69], s[44:45]
	s_mov_b64 exec, s[44:45]
	s_cbranch_execz .LBB92_2
; %bb.94:                               ;   in Loop: Header=BB92_4 Depth=1
	s_lshl_b64 s[44:45], s[62:63], 3
	s_add_u32 s48, s54, s44
	s_addc_u32 s49, s55, s45
	s_mov_b64 s[70:71], 0
	v_mov_b32_e32 v4, v0
	s_branch .LBB92_96
.LBB92_95:                              ;   in Loop: Header=BB92_96 Depth=2
	v_add_u32_e32 v4, s4, v4
	v_cmp_le_i32_e32 vcc, s19, v4
	v_mov_b32_e32 v5, s67
	s_or_b64 s[70:71], vcc, s[70:71]
	v_add_co_u32_e32 v6, vcc, s66, v6
	v_addc_co_u32_e32 v7, vcc, v7, v5, vcc
	s_waitcnt vmcnt(0)
	global_store_dwordx2 v[8:9], v[10:11], off
	s_andn2_b64 exec, exec, s[70:71]
	s_cbranch_execz .LBB92_2
.LBB92_96:                              ;   Parent Loop BB92_4 Depth=1
                                        ; =>  This Loop Header: Depth=2
                                        ;       Child Loop BB92_97 Depth 3
	v_ashrrev_i32_e32 v5, 31, v4
	v_lshlrev_b64 v[8:9], 3, v[4:5]
	v_mov_b32_e32 v5, s49
	v_add_co_u32_e32 v8, vcc, s48, v8
	v_addc_co_u32_e32 v9, vcc, v5, v9, vcc
	global_load_dwordx2 v[10:11], v[8:9], off
	s_andn2_b64 vcc, exec, s[46:47]
	v_pk_mov_b32 v[12:13], v[6:7], v[6:7] op_sel:[0,1]
	s_mov_b64 s[76:77], s[74:75]
	s_mov_b64 s[78:79], s[72:73]
	s_mov_b32 s50, s18
	s_cbranch_vccnz .LBB92_95
.LBB92_97:                              ;   Parent Loop BB92_4 Depth=1
                                        ;     Parent Loop BB92_96 Depth=2
                                        ; =>    This Inner Loop Header: Depth=3
	global_load_dwordx2 v[14:15], v[12:13], off
	global_load_dwordx2 v[16:17], v35, s[78:79]
	global_load_dwordx2 v[18:19], v35, s[76:77]
	s_add_i32 s50, s50, -1
	s_add_u32 s78, s78, -8
	s_addc_u32 s79, s79, -1
	s_add_u32 s76, s76, -8
	v_mov_b32_e32 v5, s95
	s_addc_u32 s77, s77, -1
	s_cmp_eq_u32 s50, 0
	s_waitcnt vmcnt(1)
	v_mul_f64 v[38:39], v[16:17], v[14:15]
	s_waitcnt vmcnt(0)
	v_fmac_f64_e32 v[38:39], v[10:11], v[18:19]
	v_mul_f64 v[14:15], v[18:19], v[14:15]
	global_store_dwordx2 v[12:13], v[38:39], off
	v_add_co_u32_e32 v12, vcc, s94, v12
	v_fma_f64 v[10:11], v[10:11], v[16:17], -v[14:15]
	v_addc_co_u32_e32 v13, vcc, v13, v5, vcc
	s_cbranch_scc0 .LBB92_97
	s_branch .LBB92_95
.LBB92_98:
	s_endpgm
	.section	.rodata,"a",@progbits
	.p2align	6, 0x0
	.amdhsa_kernel _ZN9rocsolver6v33100L11lasr_kernelIddPdiEEv13rocblas_side_14rocblas_pivot_15rocblas_direct_T2_S6_PT0_lS8_lT1_lS6_lS6_
		.amdhsa_group_segment_fixed_size 0
		.amdhsa_private_segment_fixed_size 0
		.amdhsa_kernarg_size 352
		.amdhsa_user_sgpr_count 6
		.amdhsa_user_sgpr_private_segment_buffer 1
		.amdhsa_user_sgpr_dispatch_ptr 0
		.amdhsa_user_sgpr_queue_ptr 0
		.amdhsa_user_sgpr_kernarg_segment_ptr 1
		.amdhsa_user_sgpr_dispatch_id 0
		.amdhsa_user_sgpr_flat_scratch_init 0
		.amdhsa_user_sgpr_kernarg_preload_length 0
		.amdhsa_user_sgpr_kernarg_preload_offset 0
		.amdhsa_user_sgpr_private_segment_size 0
		.amdhsa_uses_dynamic_stack 0
		.amdhsa_system_sgpr_private_segment_wavefront_offset 0
		.amdhsa_system_sgpr_workgroup_id_x 1
		.amdhsa_system_sgpr_workgroup_id_y 0
		.amdhsa_system_sgpr_workgroup_id_z 1
		.amdhsa_system_sgpr_workgroup_info 0
		.amdhsa_system_vgpr_workitem_id 0
		.amdhsa_next_free_vgpr 50
		.amdhsa_next_free_sgpr 96
		.amdhsa_accum_offset 52
		.amdhsa_reserve_vcc 1
		.amdhsa_reserve_flat_scratch 0
		.amdhsa_float_round_mode_32 0
		.amdhsa_float_round_mode_16_64 0
		.amdhsa_float_denorm_mode_32 3
		.amdhsa_float_denorm_mode_16_64 3
		.amdhsa_dx10_clamp 1
		.amdhsa_ieee_mode 1
		.amdhsa_fp16_overflow 0
		.amdhsa_tg_split 0
		.amdhsa_exception_fp_ieee_invalid_op 0
		.amdhsa_exception_fp_denorm_src 0
		.amdhsa_exception_fp_ieee_div_zero 0
		.amdhsa_exception_fp_ieee_overflow 0
		.amdhsa_exception_fp_ieee_underflow 0
		.amdhsa_exception_fp_ieee_inexact 0
		.amdhsa_exception_int_div_zero 0
	.end_amdhsa_kernel
	.section	.text._ZN9rocsolver6v33100L11lasr_kernelIddPdiEEv13rocblas_side_14rocblas_pivot_15rocblas_direct_T2_S6_PT0_lS8_lT1_lS6_lS6_,"axG",@progbits,_ZN9rocsolver6v33100L11lasr_kernelIddPdiEEv13rocblas_side_14rocblas_pivot_15rocblas_direct_T2_S6_PT0_lS8_lT1_lS6_lS6_,comdat
.Lfunc_end92:
	.size	_ZN9rocsolver6v33100L11lasr_kernelIddPdiEEv13rocblas_side_14rocblas_pivot_15rocblas_direct_T2_S6_PT0_lS8_lT1_lS6_lS6_, .Lfunc_end92-_ZN9rocsolver6v33100L11lasr_kernelIddPdiEEv13rocblas_side_14rocblas_pivot_15rocblas_direct_T2_S6_PT0_lS8_lT1_lS6_lS6_
                                        ; -- End function
	.section	.AMDGPU.csdata,"",@progbits
; Kernel info:
; codeLenInByte = 4628
; NumSgprs: 100
; NumVgprs: 50
; NumAgprs: 0
; TotalNumVgprs: 50
; ScratchSize: 0
; MemoryBound: 0
; FloatMode: 240
; IeeeMode: 1
; LDSByteSize: 0 bytes/workgroup (compile time only)
; SGPRBlocks: 12
; VGPRBlocks: 6
; NumSGPRsForWavesPerEU: 100
; NumVGPRsForWavesPerEU: 50
; AccumOffset: 52
; Occupancy: 8
; WaveLimiterHint : 0
; COMPUTE_PGM_RSRC2:SCRATCH_EN: 0
; COMPUTE_PGM_RSRC2:USER_SGPR: 6
; COMPUTE_PGM_RSRC2:TRAP_HANDLER: 0
; COMPUTE_PGM_RSRC2:TGID_X_EN: 1
; COMPUTE_PGM_RSRC2:TGID_Y_EN: 0
; COMPUTE_PGM_RSRC2:TGID_Z_EN: 1
; COMPUTE_PGM_RSRC2:TIDIG_COMP_CNT: 0
; COMPUTE_PGM_RSRC3_GFX90A:ACCUM_OFFSET: 12
; COMPUTE_PGM_RSRC3_GFX90A:TG_SPLIT: 0
	.section	.text._ZN9rocsolver6v33100L11scal_kernelIddiEEvT1_T_PT0_S2_,"axG",@progbits,_ZN9rocsolver6v33100L11scal_kernelIddiEEvT1_T_PT0_S2_,comdat
	.globl	_ZN9rocsolver6v33100L11scal_kernelIddiEEvT1_T_PT0_S2_ ; -- Begin function _ZN9rocsolver6v33100L11scal_kernelIddiEEvT1_T_PT0_S2_
	.p2align	8
	.type	_ZN9rocsolver6v33100L11scal_kernelIddiEEvT1_T_PT0_S2_,@function
_ZN9rocsolver6v33100L11scal_kernelIddiEEvT1_T_PT0_S2_: ; @_ZN9rocsolver6v33100L11scal_kernelIddiEEvT1_T_PT0_S2_
; %bb.0:
	s_load_dword s14, s[4:5], 0x0
	s_waitcnt lgkmcnt(0)
	s_cmp_lt_i32 s14, 1
	s_cbranch_scc1 .LBB93_10
; %bb.1:
	s_load_dword s0, s[4:5], 0x2c
	s_load_dword s1, s[4:5], 0x20
	s_load_dwordx4 s[8:11], s[4:5], 0x8
	s_load_dword s3, s[4:5], 0x18
	s_mov_b64 s[4:5], -1
	s_waitcnt lgkmcnt(0)
	s_and_b32 s0, s0, 0xffff
	s_mul_i32 s6, s6, s0
	v_add_u32_e32 v0, s6, v0
	s_mul_i32 s2, s1, s0
	s_cmp_eq_u32 s3, 1
	v_cmp_gt_i32_e64 s[0:1], s14, v0
	s_cbranch_scc1 .LBB93_6
; %bb.2:
	s_and_saveexec_b64 s[4:5], s[0:1]
	s_cbranch_execz .LBB93_5
; %bb.3:
	v_mad_i64_i32 v[2:3], s[6:7], s3, v0, 0
	v_lshlrev_b64 v[2:3], 3, v[2:3]
	s_mul_hi_i32 s7, s3, s2
	s_mul_i32 s6, s3, s2
	v_mov_b32_e32 v1, s11
	v_add_co_u32_e32 v2, vcc, s10, v2
	s_lshl_b64 s[6:7], s[6:7], 3
	v_addc_co_u32_e32 v3, vcc, v1, v3, vcc
	s_mov_b64 s[12:13], 0
	v_mov_b32_e32 v1, s7
	v_mov_b32_e32 v4, v0
.LBB93_4:                               ; =>This Inner Loop Header: Depth=1
	global_load_dwordx2 v[6:7], v[2:3], off
	v_add_u32_e32 v4, s2, v4
	v_cmp_le_i32_e32 vcc, s14, v4
	s_or_b64 s[12:13], vcc, s[12:13]
	s_waitcnt vmcnt(0)
	v_mul_f64 v[6:7], v[6:7], s[8:9]
	global_store_dwordx2 v[2:3], v[6:7], off
	v_add_co_u32_e32 v2, vcc, s6, v2
	v_addc_co_u32_e32 v3, vcc, v3, v1, vcc
	s_andn2_b64 exec, exec, s[12:13]
	s_cbranch_execnz .LBB93_4
.LBB93_5:
	s_or_b64 exec, exec, s[4:5]
	s_mov_b64 s[4:5], 0
.LBB93_6:
	s_andn2_b64 vcc, exec, s[4:5]
	s_cbranch_vccnz .LBB93_10
; %bb.7:
	s_and_saveexec_b64 s[4:5], s[0:1]
	s_cbranch_execz .LBB93_10
; %bb.8:
	v_ashrrev_i32_e32 v1, 31, v0
	v_lshlrev_b64 v[2:3], 3, v[0:1]
	s_ashr_i32 s3, s2, 31
	v_mov_b32_e32 v1, s11
	v_add_co_u32_e32 v2, vcc, s10, v2
	s_lshl_b64 s[0:1], s[2:3], 3
	v_addc_co_u32_e32 v3, vcc, v1, v3, vcc
	s_mov_b64 s[4:5], 0
	v_mov_b32_e32 v1, s1
.LBB93_9:                               ; =>This Inner Loop Header: Depth=1
	global_load_dwordx2 v[4:5], v[2:3], off
	v_add_u32_e32 v0, s2, v0
	v_cmp_le_i32_e32 vcc, s14, v0
	s_or_b64 s[4:5], vcc, s[4:5]
	s_waitcnt vmcnt(0)
	v_mul_f64 v[4:5], v[4:5], s[8:9]
	global_store_dwordx2 v[2:3], v[4:5], off
	v_add_co_u32_e32 v2, vcc, s0, v2
	v_addc_co_u32_e32 v3, vcc, v3, v1, vcc
	s_andn2_b64 exec, exec, s[4:5]
	s_cbranch_execnz .LBB93_9
.LBB93_10:
	s_endpgm
	.section	.rodata,"a",@progbits
	.p2align	6, 0x0
	.amdhsa_kernel _ZN9rocsolver6v33100L11scal_kernelIddiEEvT1_T_PT0_S2_
		.amdhsa_group_segment_fixed_size 0
		.amdhsa_private_segment_fixed_size 0
		.amdhsa_kernarg_size 288
		.amdhsa_user_sgpr_count 6
		.amdhsa_user_sgpr_private_segment_buffer 1
		.amdhsa_user_sgpr_dispatch_ptr 0
		.amdhsa_user_sgpr_queue_ptr 0
		.amdhsa_user_sgpr_kernarg_segment_ptr 1
		.amdhsa_user_sgpr_dispatch_id 0
		.amdhsa_user_sgpr_flat_scratch_init 0
		.amdhsa_user_sgpr_kernarg_preload_length 0
		.amdhsa_user_sgpr_kernarg_preload_offset 0
		.amdhsa_user_sgpr_private_segment_size 0
		.amdhsa_uses_dynamic_stack 0
		.amdhsa_system_sgpr_private_segment_wavefront_offset 0
		.amdhsa_system_sgpr_workgroup_id_x 1
		.amdhsa_system_sgpr_workgroup_id_y 0
		.amdhsa_system_sgpr_workgroup_id_z 0
		.amdhsa_system_sgpr_workgroup_info 0
		.amdhsa_system_vgpr_workitem_id 0
		.amdhsa_next_free_vgpr 8
		.amdhsa_next_free_sgpr 15
		.amdhsa_accum_offset 8
		.amdhsa_reserve_vcc 1
		.amdhsa_reserve_flat_scratch 0
		.amdhsa_float_round_mode_32 0
		.amdhsa_float_round_mode_16_64 0
		.amdhsa_float_denorm_mode_32 3
		.amdhsa_float_denorm_mode_16_64 3
		.amdhsa_dx10_clamp 1
		.amdhsa_ieee_mode 1
		.amdhsa_fp16_overflow 0
		.amdhsa_tg_split 0
		.amdhsa_exception_fp_ieee_invalid_op 0
		.amdhsa_exception_fp_denorm_src 0
		.amdhsa_exception_fp_ieee_div_zero 0
		.amdhsa_exception_fp_ieee_overflow 0
		.amdhsa_exception_fp_ieee_underflow 0
		.amdhsa_exception_fp_ieee_inexact 0
		.amdhsa_exception_int_div_zero 0
	.end_amdhsa_kernel
	.section	.text._ZN9rocsolver6v33100L11scal_kernelIddiEEvT1_T_PT0_S2_,"axG",@progbits,_ZN9rocsolver6v33100L11scal_kernelIddiEEvT1_T_PT0_S2_,comdat
.Lfunc_end93:
	.size	_ZN9rocsolver6v33100L11scal_kernelIddiEEvT1_T_PT0_S2_, .Lfunc_end93-_ZN9rocsolver6v33100L11scal_kernelIddiEEvT1_T_PT0_S2_
                                        ; -- End function
	.section	.AMDGPU.csdata,"",@progbits
; Kernel info:
; codeLenInByte = 336
; NumSgprs: 19
; NumVgprs: 8
; NumAgprs: 0
; TotalNumVgprs: 8
; ScratchSize: 0
; MemoryBound: 0
; FloatMode: 240
; IeeeMode: 1
; LDSByteSize: 0 bytes/workgroup (compile time only)
; SGPRBlocks: 2
; VGPRBlocks: 0
; NumSGPRsForWavesPerEU: 19
; NumVGPRsForWavesPerEU: 8
; AccumOffset: 8
; Occupancy: 8
; WaveLimiterHint : 0
; COMPUTE_PGM_RSRC2:SCRATCH_EN: 0
; COMPUTE_PGM_RSRC2:USER_SGPR: 6
; COMPUTE_PGM_RSRC2:TRAP_HANDLER: 0
; COMPUTE_PGM_RSRC2:TGID_X_EN: 1
; COMPUTE_PGM_RSRC2:TGID_Y_EN: 0
; COMPUTE_PGM_RSRC2:TGID_Z_EN: 0
; COMPUTE_PGM_RSRC2:TIDIG_COMP_CNT: 0
; COMPUTE_PGM_RSRC3_GFX90A:ACCUM_OFFSET: 1
; COMPUTE_PGM_RSRC3_GFX90A:TG_SPLIT: 0
	.section	.text._ZN9rocsolver6v33100L17bdsqr_lower2upperIddPdPKS2_EEviiiPT0_lS6_lT1_iilT2_iilPiS6_lS9_,"axG",@progbits,_ZN9rocsolver6v33100L17bdsqr_lower2upperIddPdPKS2_EEviiiPT0_lS6_lT1_iilT2_iilPiS6_lS9_,comdat
	.globl	_ZN9rocsolver6v33100L17bdsqr_lower2upperIddPdPKS2_EEviiiPT0_lS6_lT1_iilT2_iilPiS6_lS9_ ; -- Begin function _ZN9rocsolver6v33100L17bdsqr_lower2upperIddPdPKS2_EEviiiPT0_lS6_lT1_iilT2_iilPiS6_lS9_
	.p2align	8
	.type	_ZN9rocsolver6v33100L17bdsqr_lower2upperIddPdPKS2_EEviiiPT0_lS6_lT1_iilT2_iilPiS6_lS9_,@function
_ZN9rocsolver6v33100L17bdsqr_lower2upperIddPdPKS2_EEviiiPT0_lS6_lT1_iilT2_iilPiS6_lS9_: ; @_ZN9rocsolver6v33100L17bdsqr_lower2upperIddPdPKS2_EEviiiPT0_lS6_lT1_iilT2_iilPiS6_lS9_
; %bb.0:
	s_load_dwordx2 s[0:1], s[4:5], 0x78
	s_mov_b32 s26, s7
	s_ashr_i32 s27, s7, 31
	s_lshl_b64 s[2:3], s[26:27], 2
	s_waitcnt lgkmcnt(0)
	s_add_u32 s0, s0, s2
	s_addc_u32 s1, s1, s3
	s_load_dword s0, s[0:1], 0x8
	s_waitcnt lgkmcnt(0)
	s_cmp_lg_u32 s0, 0
	s_cbranch_scc1 .LBB94_34
; %bb.1:
	s_load_dwordx8 s[8:15], s[4:5], 0x30
	s_load_dwordx4 s[0:3], s[4:5], 0x68
	s_mov_b64 s[6:7], 0
	s_mov_b64 s[24:25], 0
	s_waitcnt lgkmcnt(0)
	s_cmp_eq_u64 s[8:9], 0
	s_cbranch_scc1 .LBB94_3
; %bb.2:
	s_ashr_i32 s17, s10, 31
	s_mov_b32 s16, s10
	s_mul_i32 s10, s26, s13
	s_mul_hi_u32 s13, s26, s12
	s_add_i32 s10, s13, s10
	s_mul_i32 s13, s27, s12
	s_add_i32 s13, s10, s13
	s_mul_i32 s12, s26, s12
	s_lshl_b64 s[12:13], s[12:13], 3
	s_add_u32 s10, s8, s12
	s_addc_u32 s12, s9, s13
	s_lshl_b64 s[8:9], s[16:17], 3
	s_add_u32 s24, s10, s8
	s_addc_u32 s25, s12, s9
.LBB94_3:
	s_load_dwordx2 s[8:9], s[4:5], 0x50
	s_cmp_eq_u64 s[14:15], 0
	s_cbranch_scc1 .LBB94_5
; %bb.4:
	s_lshl_b64 s[6:7], s[26:27], 3
	s_add_u32 s6, s14, s6
	s_addc_u32 s7, s15, s7
	s_load_dwordx2 s[6:7], s[6:7], 0x0
	s_waitcnt lgkmcnt(0)
	s_ashr_i32 s13, s8, 31
	s_mov_b32 s12, s8
	s_lshl_b64 s[12:13], s[12:13], 3
	s_add_u32 s6, s6, s12
	s_addc_u32 s7, s7, s13
.LBB94_5:
	s_mul_i32 s3, s26, s3
	s_waitcnt lgkmcnt(0)
	s_mul_hi_u32 s8, s26, s2
	s_load_dwordx4 s[20:23], s[4:5], 0x0
	s_add_i32 s3, s8, s3
	s_mul_i32 s8, s27, s2
	s_add_i32 s3, s3, s8
	s_mul_i32 s2, s26, s2
	s_lshl_b64 s[2:3], s[2:3], 3
	s_add_u32 s8, s0, s2
	s_waitcnt lgkmcnt(0)
	s_addc_u32 s23, s1, s3
	v_cmp_eq_u32_e32 vcc, 0, v0
	s_and_saveexec_b64 s[0:1], vcc
	s_cbranch_execz .LBB94_22
; %bb.6:
	s_load_dwordx8 s[12:19], s[4:5], 0x10
	s_waitcnt lgkmcnt(0)
	s_mul_i32 s2, s26, s15
	s_mul_hi_u32 s3, s26, s14
	s_mul_i32 s10, s27, s14
	s_add_i32 s2, s3, s2
	s_add_i32 s3, s2, s10
	s_mul_i32 s2, s26, s14
	s_lshl_b64 s[28:29], s[2:3], 3
	s_add_u32 s2, s12, s28
	s_addc_u32 s3, s13, s29
	s_load_dwordx2 s[30:31], s[2:3], 0x0
	s_add_i32 s14, s20, -1
	s_cmp_lt_i32 s20, 2
	s_waitcnt lgkmcnt(0)
	v_pk_mov_b32 v[4:5], s[30:31], s[30:31] op_sel:[0,1]
	s_cbranch_scc1 .LBB94_21
; %bb.7:
	s_mul_i32 s10, s26, s19
	s_mul_hi_u32 s15, s26, s18
	s_add_i32 s10, s15, s10
	s_mul_i32 s15, s27, s18
	s_add_i32 s19, s10, s15
	s_mul_i32 s18, s26, s18
	s_lshl_b64 s[18:19], s[18:19], 3
	s_add_u32 s34, s18, s16
	s_addc_u32 s35, s19, s17
	s_or_b32 s10, s22, s21
	s_cmp_lg_u32 s10, 0
	s_cselect_b64 s[18:19], -1, 0
	s_add_u32 s26, s8, 32
	s_addc_u32 s27, s23, 0
	s_load_dwordx2 s[36:37], s[34:35], 0x0
	s_add_u32 s10, s28, s12
	s_addc_u32 s13, s29, s13
	s_add_u32 s12, s10, 8
	s_addc_u32 s13, s13, 0
	s_add_u32 s28, s34, 8
	v_pk_mov_b32 v[4:5], s[30:31], s[30:31] op_sel:[0,1]
	s_mov_b32 s30, 0
	s_mov_b32 s17, 0
	s_addc_u32 s29, s35, 0
	s_waitcnt lgkmcnt(0)
	v_pk_mov_b32 v[2:3], s[36:37], s[36:37] op_sel:[0,1]
	s_brev_b32 s31, 8
	v_mov_b32_e32 v1, 0x260
	v_mov_b32_e32 v10, 0
	s_mov_b64 s[34:35], s[26:27]
	s_mov_b32 s10, 0
	s_branch .LBB94_9
.LBB94_8:                               ;   in Loop: Header=BB94_9 Depth=1
	s_add_i32 s10, s10, 1
	s_add_u32 s34, s34, 8
	s_addc_u32 s35, s35, 0
	s_add_u32 s12, s12, 8
	s_addc_u32 s13, s13, 0
	;; [unrolled: 2-line block ×3, first 2 shown]
	s_cmp_lg_u32 s14, s10
	s_waitcnt vmcnt(0)
	v_mul_f64 v[4:5], v[6:7], v[4:5]
	s_cbranch_scc0 .LBB94_21
.LBB94_9:                               ; =>This Inner Loop Header: Depth=1
	v_cmp_eq_f64_e32 vcc, 0, v[2:3]
	v_pk_mov_b32 v[8:9], 0, 0
	s_cbranch_vccnz .LBB94_13
; %bb.10:                               ;   in Loop: Header=BB94_9 Depth=1
	v_cmp_neq_f64_e32 vcc, 0, v[4:5]
	s_cbranch_vccz .LBB94_14
; %bb.11:                               ;   in Loop: Header=BB94_9 Depth=1
	v_cmp_ngt_f64_e64 s[36:37], |v[2:3]|, |v[4:5]|
	s_and_b64 vcc, exec, s[36:37]
	s_cbranch_vccz .LBB94_15
; %bb.12:                               ;   in Loop: Header=BB94_9 Depth=1
	v_div_scale_f64 v[6:7], s[36:37], v[4:5], v[4:5], -v[2:3]
	v_rcp_f64_e32 v[8:9], v[6:7]
	v_div_scale_f64 v[12:13], vcc, -v[2:3], v[4:5], -v[2:3]
	v_fma_f64 v[14:15], -v[6:7], v[8:9], 1.0
	v_fmac_f64_e32 v[8:9], v[8:9], v[14:15]
	v_fma_f64 v[14:15], -v[6:7], v[8:9], 1.0
	v_fmac_f64_e32 v[8:9], v[8:9], v[14:15]
	v_mul_f64 v[14:15], v[12:13], v[8:9]
	v_fma_f64 v[6:7], -v[6:7], v[14:15], v[12:13]
	v_div_fmas_f64 v[6:7], v[6:7], v[8:9], v[14:15]
	v_div_fixup_f64 v[8:9], v[6:7], v[4:5], -v[2:3]
	v_fma_f64 v[6:7], v[8:9], v[8:9], 1.0
	v_cmp_gt_f64_e32 vcc, s[30:31], v[6:7]
	v_cndmask_b32_e64 v11, 0, 1, vcc
	v_lshlrev_b32_e32 v11, 8, v11
	v_ldexp_f64 v[6:7], v[6:7], v11
	v_rsq_f64_e32 v[12:13], v[6:7]
	s_and_b64 s[36:37], vcc, exec
	s_cselect_b32 s15, 0xffffff80, 0
	v_cmp_class_f64_e32 vcc, v[6:7], v1
	v_mul_f64 v[14:15], v[6:7], v[12:13]
	v_mul_f64 v[12:13], v[12:13], 0.5
	v_fma_f64 v[16:17], -v[12:13], v[14:15], 0.5
	v_fmac_f64_e32 v[14:15], v[14:15], v[16:17]
	v_fma_f64 v[18:19], -v[14:15], v[14:15], v[6:7]
	v_fmac_f64_e32 v[12:13], v[12:13], v[16:17]
	v_fmac_f64_e32 v[14:15], v[18:19], v[12:13]
	v_fma_f64 v[16:17], -v[14:15], v[14:15], v[6:7]
	v_fmac_f64_e32 v[14:15], v[16:17], v[12:13]
	v_ldexp_f64 v[12:13], v[14:15], s15
	v_cndmask_b32_e32 v7, v13, v7, vcc
	v_cndmask_b32_e32 v6, v12, v6, vcc
	v_div_scale_f64 v[12:13], s[36:37], v[6:7], v[6:7], 1.0
	v_rcp_f64_e32 v[14:15], v[12:13]
	v_fma_f64 v[16:17], -v[12:13], v[14:15], 1.0
	v_fmac_f64_e32 v[14:15], v[14:15], v[16:17]
	v_fma_f64 v[16:17], -v[12:13], v[14:15], 1.0
	v_fmac_f64_e32 v[14:15], v[14:15], v[16:17]
	v_div_scale_f64 v[16:17], vcc, 1.0, v[6:7], 1.0
	v_mul_f64 v[18:19], v[16:17], v[14:15]
	v_fma_f64 v[12:13], -v[12:13], v[18:19], v[16:17]
	s_nop 1
	v_div_fmas_f64 v[12:13], v[12:13], v[14:15], v[18:19]
	v_div_fixup_f64 v[6:7], v[12:13], v[6:7], 1.0
	v_mul_f64 v[8:9], v[8:9], v[6:7]
	s_cbranch_execz .LBB94_16
	s_branch .LBB94_17
.LBB94_13:                              ;   in Loop: Header=BB94_9 Depth=1
	v_mov_b32_e32 v6, 0
	v_mov_b32_e32 v7, 0x3ff00000
	s_branch .LBB94_19
.LBB94_14:                              ;   in Loop: Header=BB94_9 Depth=1
                                        ; implicit-def: $vgpr4_vgpr5
                                        ; implicit-def: $vgpr8_vgpr9
                                        ; implicit-def: $vgpr6_vgpr7
	s_cbranch_execnz .LBB94_18
	s_branch .LBB94_19
.LBB94_15:                              ;   in Loop: Header=BB94_9 Depth=1
                                        ; implicit-def: $vgpr8_vgpr9
                                        ; implicit-def: $vgpr6_vgpr7
.LBB94_16:                              ;   in Loop: Header=BB94_9 Depth=1
	v_div_scale_f64 v[6:7], s[36:37], v[2:3], v[2:3], -v[4:5]
	v_rcp_f64_e32 v[8:9], v[6:7]
	v_div_scale_f64 v[12:13], vcc, -v[4:5], v[2:3], -v[4:5]
	v_fma_f64 v[14:15], -v[6:7], v[8:9], 1.0
	v_fmac_f64_e32 v[8:9], v[8:9], v[14:15]
	v_fma_f64 v[14:15], -v[6:7], v[8:9], 1.0
	v_fmac_f64_e32 v[8:9], v[8:9], v[14:15]
	v_mul_f64 v[14:15], v[12:13], v[8:9]
	v_fma_f64 v[6:7], -v[6:7], v[14:15], v[12:13]
	v_div_fmas_f64 v[6:7], v[6:7], v[8:9], v[14:15]
	v_div_fixup_f64 v[6:7], v[6:7], v[2:3], -v[4:5]
	v_fma_f64 v[8:9], v[6:7], v[6:7], 1.0
	v_cmp_gt_f64_e32 vcc, s[30:31], v[8:9]
	v_cndmask_b32_e64 v11, 0, 1, vcc
	v_lshlrev_b32_e32 v11, 8, v11
	v_ldexp_f64 v[8:9], v[8:9], v11
	v_rsq_f64_e32 v[12:13], v[8:9]
	s_and_b64 s[36:37], vcc, exec
	s_cselect_b32 s15, 0xffffff80, 0
	v_cmp_class_f64_e32 vcc, v[8:9], v1
	v_mul_f64 v[14:15], v[8:9], v[12:13]
	v_mul_f64 v[12:13], v[12:13], 0.5
	v_fma_f64 v[16:17], -v[12:13], v[14:15], 0.5
	v_fmac_f64_e32 v[14:15], v[14:15], v[16:17]
	v_fma_f64 v[18:19], -v[14:15], v[14:15], v[8:9]
	v_fmac_f64_e32 v[12:13], v[12:13], v[16:17]
	v_fmac_f64_e32 v[14:15], v[18:19], v[12:13]
	v_fma_f64 v[16:17], -v[14:15], v[14:15], v[8:9]
	v_fmac_f64_e32 v[14:15], v[16:17], v[12:13]
	v_ldexp_f64 v[12:13], v[14:15], s15
	v_cndmask_b32_e32 v9, v13, v9, vcc
	v_cndmask_b32_e32 v8, v12, v8, vcc
	v_div_scale_f64 v[12:13], s[36:37], v[8:9], v[8:9], 1.0
	v_rcp_f64_e32 v[14:15], v[12:13]
	v_fma_f64 v[16:17], -v[12:13], v[14:15], 1.0
	v_fmac_f64_e32 v[14:15], v[14:15], v[16:17]
	v_fma_f64 v[16:17], -v[12:13], v[14:15], 1.0
	v_fmac_f64_e32 v[14:15], v[14:15], v[16:17]
	v_div_scale_f64 v[16:17], vcc, 1.0, v[8:9], 1.0
	v_mul_f64 v[18:19], v[16:17], v[14:15]
	v_fma_f64 v[12:13], -v[12:13], v[18:19], v[16:17]
	s_nop 1
	v_div_fmas_f64 v[12:13], v[12:13], v[14:15], v[18:19]
	v_div_fixup_f64 v[8:9], v[12:13], v[8:9], 1.0
	v_mul_f64 v[6:7], v[6:7], v[8:9]
.LBB94_17:                              ;   in Loop: Header=BB94_9 Depth=1
	v_mul_f64 v[12:13], v[2:3], v[8:9]
	v_fma_f64 v[4:5], v[4:5], v[6:7], -v[12:13]
	s_branch .LBB94_19
.LBB94_18:                              ;   in Loop: Header=BB94_9 Depth=1
	v_xor_b32_e32 v3, 0x80000000, v3
	v_mov_b32_e32 v8, 0
	v_pk_mov_b32 v[6:7], 0, 0
	v_mov_b32_e32 v9, 0x3ff00000
	v_pk_mov_b32 v[4:5], v[2:3], v[2:3] op_sel:[0,1]
.LBB94_19:                              ;   in Loop: Header=BB94_9 Depth=1
	global_load_dwordx2 v[12:13], v10, s[12:13]
	s_andn2_b64 vcc, exec, s[18:19]
	global_store_dwordx2 v10, v[4:5], s[12:13] offset:-8
	global_load_dwordx2 v[2:3], v10, s[28:29]
	s_waitcnt vmcnt(2)
	v_mul_f64 v[4:5], v[12:13], -v[8:9]
	global_store_dwordx2 v10, v[4:5], s[28:29] offset:-8
	global_load_dwordx2 v[4:5], v10, s[12:13]
	s_cbranch_vccnz .LBB94_8
; %bb.20:                               ;   in Loop: Header=BB94_9 Depth=1
	s_add_i32 s16, s20, s10
	s_lshl_b64 s[36:37], s[16:17], 3
	s_add_u32 s36, s26, s36
	s_addc_u32 s37, s27, s37
	global_store_dwordx2 v10, v[6:7], s[34:35]
	global_store_dwordx2 v10, v[8:9], s[36:37]
	s_branch .LBB94_8
.LBB94_21:
	s_ashr_i32 s15, s14, 31
	s_lshl_b64 s[12:13], s[14:15], 3
	s_add_u32 s2, s2, s12
	s_addc_u32 s3, s3, s13
	v_mov_b32_e32 v1, 0
	global_store_dwordx2 v1, v[4:5], s[2:3]
.LBB94_22:
	s_or_b64 exec, exec, s[0:1]
	v_cmp_gt_i32_e32 vcc, s21, v0
	s_barrier
	s_and_saveexec_b64 s[2:3], vcc
	s_cbranch_execz .LBB94_28
; %bb.23:
	s_load_dword s10, s[4:5], 0x8c
	s_add_i32 s28, s20, -1
	s_cmp_gt_i32 s20, 1
	s_cselect_b64 s[0:1], -1, 0
	s_mul_i32 s18, s28, s11
	s_waitcnt lgkmcnt(0)
	s_and_b32 s29, s10, 0xffff
	s_add_u32 s12, s8, 32
	s_addc_u32 s13, s23, 0
	s_ashr_i32 s19, s18, 31
	s_ashr_i32 s15, s11, 31
	s_mov_b32 s14, s11
	s_lshl_b64 s[10:11], s[14:15], 3
	s_mov_b32 s15, 0
	s_mov_b32 s14, s20
	v_cndmask_b32_e64 v2, 0, 1, s[0:1]
	s_lshl_b64 s[18:19], s[18:19], 3
	s_lshl_b64 s[14:15], s[14:15], 3
	s_mov_b64 s[16:17], 0
	v_mov_b32_e32 v1, s25
	v_cmp_ne_u32_e64 s[0:1], 1, v2
	v_mov_b32_e32 v10, 0
	v_mov_b32_e32 v11, s19
	;; [unrolled: 1-line block ×3, first 2 shown]
	s_branch .LBB94_25
.LBB94_24:                              ;   in Loop: Header=BB94_25 Depth=1
	v_add_co_u32_e32 v6, vcc, s18, v6
	v_addc_co_u32_e32 v7, vcc, v7, v11, vcc
	v_add_u32_e32 v2, s29, v2
	v_cmp_le_i32_e32 vcc, s21, v2
	s_or_b64 s[16:17], vcc, s[16:17]
	s_waitcnt vmcnt(0) lgkmcnt(0)
	flat_store_dwordx2 v[6:7], v[4:5]
	s_andn2_b64 exec, exec, s[16:17]
	s_cbranch_execz .LBB94_28
.LBB94_25:                              ; =>This Loop Header: Depth=1
                                        ;     Child Loop BB94_27 Depth 2
	v_ashrrev_i32_e32 v3, 31, v2
	v_lshlrev_b64 v[4:5], 3, v[2:3]
	v_add_co_u32_e32 v6, vcc, s24, v4
	v_addc_co_u32_e32 v7, vcc, v1, v5, vcc
	flat_load_dwordx2 v[4:5], v[6:7]
	s_and_b64 vcc, exec, s[0:1]
	s_cbranch_vccnz .LBB94_24
; %bb.26:                               ;   in Loop: Header=BB94_25 Depth=1
	s_mov_b32 s19, s28
	s_mov_b64 s[26:27], s[12:13]
	v_pk_mov_b32 v[8:9], v[6:7], v[6:7] op_sel:[0,1]
.LBB94_27:                              ;   Parent Loop BB94_25 Depth=1
                                        ; =>  This Inner Loop Header: Depth=2
	v_mov_b32_e32 v3, s11
	v_add_co_u32_e32 v12, vcc, s10, v8
	v_addc_co_u32_e32 v13, vcc, v9, v3, vcc
	s_add_u32 s30, s26, s14
	flat_load_dwordx2 v[14:15], v[12:13]
	s_addc_u32 s31, s27, s15
	global_load_dwordx2 v[16:17], v10, s[30:31]
	global_load_dwordx2 v[18:19], v10, s[26:27]
	s_add_u32 s26, s26, 8
	s_addc_u32 s27, s27, 0
	s_add_i32 s19, s19, -1
	s_cmp_lg_u32 s19, 0
	s_waitcnt vmcnt(0) lgkmcnt(0)
	v_mul_f64 v[20:21], v[14:15], v[16:17]
	v_fma_f64 v[20:21], v[4:5], v[18:19], -v[20:21]
	v_mul_f64 v[4:5], v[4:5], v[16:17]
	flat_store_dwordx2 v[8:9], v[20:21]
	v_fmac_f64_e32 v[4:5], v[14:15], v[18:19]
	v_pk_mov_b32 v[8:9], v[12:13], v[12:13] op_sel:[0,1]
	s_cbranch_scc1 .LBB94_27
	s_branch .LBB94_24
.LBB94_28:
	s_or_b64 exec, exec, s[2:3]
	v_cmp_gt_i32_e32 vcc, s22, v0
	s_and_saveexec_b64 s[0:1], vcc
	s_cbranch_execz .LBB94_34
; %bb.29:
	s_load_dword s3, s[4:5], 0x8c
	s_add_i32 s2, s20, -1
	s_cmp_gt_i32 s20, 1
	s_cselect_b64 s[0:1], -1, 0
	s_mov_b32 s21, 0
	s_waitcnt lgkmcnt(0)
	s_and_b32 s18, s3, 0xffff
	s_add_u32 s4, s8, 32
	s_addc_u32 s5, s23, 0
	s_ashr_i32 s3, s2, 31
	v_cndmask_b32_e64 v3, 0, 1, s[0:1]
	s_lshl_b64 s[14:15], s[2:3], 3
	v_mul_lo_u32 v2, v0, s9
	s_mul_i32 s8, s9, s18
	s_lshl_b64 s[10:11], s[20:21], 3
	s_mov_b64 s[12:13], 0
	v_mov_b32_e32 v1, s7
	v_cmp_ne_u32_e64 s[0:1], 1, v3
	v_mov_b32_e32 v10, 0
	v_mov_b32_e32 v11, s15
	s_branch .LBB94_31
.LBB94_30:                              ;   in Loop: Header=BB94_31 Depth=1
	v_add_co_u32_e32 v4, vcc, s14, v4
	v_addc_co_u32_e32 v5, vcc, v5, v11, vcc
	v_add_u32_e32 v0, s18, v0
	v_cmp_le_i32_e32 vcc, s22, v0
	s_or_b64 s[12:13], vcc, s[12:13]
	v_add_u32_e32 v2, s8, v2
	s_waitcnt vmcnt(0) lgkmcnt(0)
	flat_store_dwordx2 v[4:5], v[6:7]
	s_andn2_b64 exec, exec, s[12:13]
	s_cbranch_execz .LBB94_34
.LBB94_31:                              ; =>This Loop Header: Depth=1
                                        ;     Child Loop BB94_33 Depth 2
	v_mul_lo_u32 v4, v0, s9
	v_ashrrev_i32_e32 v5, 31, v4
	v_lshlrev_b64 v[4:5], 3, v[4:5]
	v_add_co_u32_e32 v4, vcc, s6, v4
	v_addc_co_u32_e32 v5, vcc, v1, v5, vcc
	flat_load_dwordx2 v[6:7], v[4:5]
	s_and_b64 vcc, exec, s[0:1]
	s_cbranch_vccnz .LBB94_30
; %bb.32:                               ;   in Loop: Header=BB94_31 Depth=1
	v_ashrrev_i32_e32 v3, 31, v2
	v_lshlrev_b64 v[8:9], 3, v[2:3]
	v_add_co_u32_e32 v8, vcc, s6, v8
	v_addc_co_u32_e32 v9, vcc, v1, v9, vcc
	s_mov_b32 s3, s2
	s_mov_b64 s[16:17], s[4:5]
.LBB94_33:                              ;   Parent Loop BB94_31 Depth=1
                                        ; =>  This Inner Loop Header: Depth=2
	s_add_u32 s20, s16, s10
	s_addc_u32 s21, s17, s11
	flat_load_dwordx2 v[12:13], v[8:9] offset:8
	global_load_dwordx2 v[14:15], v10, s[16:17]
	global_load_dwordx2 v[16:17], v10, s[20:21]
	v_add_co_u32_e32 v18, vcc, 8, v8
	s_add_u32 s16, s16, 8
	v_addc_co_u32_e32 v19, vcc, 0, v9, vcc
	s_addc_u32 s17, s17, 0
	s_add_i32 s3, s3, -1
	s_cmp_lg_u32 s3, 0
	s_waitcnt vmcnt(0) lgkmcnt(0)
	v_mul_f64 v[20:21], v[12:13], v[16:17]
	v_fma_f64 v[20:21], v[6:7], v[14:15], -v[20:21]
	v_mul_f64 v[6:7], v[6:7], v[16:17]
	flat_store_dwordx2 v[8:9], v[20:21]
	v_fmac_f64_e32 v[6:7], v[12:13], v[14:15]
	v_pk_mov_b32 v[8:9], v[18:19], v[18:19] op_sel:[0,1]
	s_cbranch_scc1 .LBB94_33
	s_branch .LBB94_30
.LBB94_34:
	s_endpgm
	.section	.rodata,"a",@progbits
	.p2align	6, 0x0
	.amdhsa_kernel _ZN9rocsolver6v33100L17bdsqr_lower2upperIddPdPKS2_EEviiiPT0_lS6_lT1_iilT2_iilPiS6_lS9_
		.amdhsa_group_segment_fixed_size 0
		.amdhsa_private_segment_fixed_size 0
		.amdhsa_kernarg_size 384
		.amdhsa_user_sgpr_count 6
		.amdhsa_user_sgpr_private_segment_buffer 1
		.amdhsa_user_sgpr_dispatch_ptr 0
		.amdhsa_user_sgpr_queue_ptr 0
		.amdhsa_user_sgpr_kernarg_segment_ptr 1
		.amdhsa_user_sgpr_dispatch_id 0
		.amdhsa_user_sgpr_flat_scratch_init 0
		.amdhsa_user_sgpr_kernarg_preload_length 0
		.amdhsa_user_sgpr_kernarg_preload_offset 0
		.amdhsa_user_sgpr_private_segment_size 0
		.amdhsa_uses_dynamic_stack 0
		.amdhsa_system_sgpr_private_segment_wavefront_offset 0
		.amdhsa_system_sgpr_workgroup_id_x 1
		.amdhsa_system_sgpr_workgroup_id_y 1
		.amdhsa_system_sgpr_workgroup_id_z 0
		.amdhsa_system_sgpr_workgroup_info 0
		.amdhsa_system_vgpr_workitem_id 0
		.amdhsa_next_free_vgpr 22
		.amdhsa_next_free_sgpr 38
		.amdhsa_accum_offset 24
		.amdhsa_reserve_vcc 1
		.amdhsa_reserve_flat_scratch 0
		.amdhsa_float_round_mode_32 0
		.amdhsa_float_round_mode_16_64 0
		.amdhsa_float_denorm_mode_32 3
		.amdhsa_float_denorm_mode_16_64 3
		.amdhsa_dx10_clamp 1
		.amdhsa_ieee_mode 1
		.amdhsa_fp16_overflow 0
		.amdhsa_tg_split 0
		.amdhsa_exception_fp_ieee_invalid_op 0
		.amdhsa_exception_fp_denorm_src 0
		.amdhsa_exception_fp_ieee_div_zero 0
		.amdhsa_exception_fp_ieee_overflow 0
		.amdhsa_exception_fp_ieee_underflow 0
		.amdhsa_exception_fp_ieee_inexact 0
		.amdhsa_exception_int_div_zero 0
	.end_amdhsa_kernel
	.section	.text._ZN9rocsolver6v33100L17bdsqr_lower2upperIddPdPKS2_EEviiiPT0_lS6_lT1_iilT2_iilPiS6_lS9_,"axG",@progbits,_ZN9rocsolver6v33100L17bdsqr_lower2upperIddPdPKS2_EEviiiPT0_lS6_lT1_iilT2_iilPiS6_lS9_,comdat
.Lfunc_end94:
	.size	_ZN9rocsolver6v33100L17bdsqr_lower2upperIddPdPKS2_EEviiiPT0_lS6_lT1_iilT2_iilPiS6_lS9_, .Lfunc_end94-_ZN9rocsolver6v33100L17bdsqr_lower2upperIddPdPKS2_EEviiiPT0_lS6_lT1_iilT2_iilPiS6_lS9_
                                        ; -- End function
	.section	.AMDGPU.csdata,"",@progbits
; Kernel info:
; codeLenInByte = 2064
; NumSgprs: 42
; NumVgprs: 22
; NumAgprs: 0
; TotalNumVgprs: 22
; ScratchSize: 0
; MemoryBound: 0
; FloatMode: 240
; IeeeMode: 1
; LDSByteSize: 0 bytes/workgroup (compile time only)
; SGPRBlocks: 5
; VGPRBlocks: 2
; NumSGPRsForWavesPerEU: 42
; NumVGPRsForWavesPerEU: 22
; AccumOffset: 24
; Occupancy: 8
; WaveLimiterHint : 0
; COMPUTE_PGM_RSRC2:SCRATCH_EN: 0
; COMPUTE_PGM_RSRC2:USER_SGPR: 6
; COMPUTE_PGM_RSRC2:TRAP_HANDLER: 0
; COMPUTE_PGM_RSRC2:TGID_X_EN: 1
; COMPUTE_PGM_RSRC2:TGID_Y_EN: 1
; COMPUTE_PGM_RSRC2:TGID_Z_EN: 0
; COMPUTE_PGM_RSRC2:TIDIG_COMP_CNT: 0
; COMPUTE_PGM_RSRC3_GFX90A:ACCUM_OFFSET: 5
; COMPUTE_PGM_RSRC3_GFX90A:TG_SPLIT: 0
	.section	.text._ZN9rocsolver6v33100L13bdsqr_computeILi256EddPKPdS2_S4_EEviiiiPT1_lS6_lT2_iilT3_iilT4_iiliS5_S5_S5_S5_PiS6_ilSA_,"axG",@progbits,_ZN9rocsolver6v33100L13bdsqr_computeILi256EddPKPdS2_S4_EEviiiiPT1_lS6_lT2_iilT3_iilT4_iiliS5_S5_S5_S5_PiS6_ilSA_,comdat
	.globl	_ZN9rocsolver6v33100L13bdsqr_computeILi256EddPKPdS2_S4_EEviiiiPT1_lS6_lT2_iilT3_iilT4_iiliS5_S5_S5_S5_PiS6_ilSA_ ; -- Begin function _ZN9rocsolver6v33100L13bdsqr_computeILi256EddPKPdS2_S4_EEviiiiPT1_lS6_lT2_iilT3_iilT4_iiliS5_S5_S5_S5_PiS6_ilSA_
	.p2align	8
	.type	_ZN9rocsolver6v33100L13bdsqr_computeILi256EddPKPdS2_S4_EEviiiiPT1_lS6_lT2_iilT3_iilT4_iiliS5_S5_S5_S5_PiS6_ilSA_,@function
_ZN9rocsolver6v33100L13bdsqr_computeILi256EddPKPdS2_S4_EEviiiiPT1_lS6_lT2_iilT3_iilT4_iiliS5_S5_S5_S5_PiS6_ilSA_: ; @_ZN9rocsolver6v33100L13bdsqr_computeILi256EddPKPdS2_S4_EEviiiiPT1_lS6_lT2_iilT3_iilT4_iiliS5_S5_S5_S5_PiS6_ilSA_
; %bb.0:
	s_load_dwordx4 s[0:3], s[4:5], 0xb8
	s_ashr_i32 s9, s8, 31
	s_lshl_b64 s[10:11], s[8:9], 2
	s_waitcnt lgkmcnt(0)
	s_add_u32 s2, s2, s10
	s_addc_u32 s3, s3, s11
	s_load_dword s2, s[2:3], 0x8
	s_waitcnt lgkmcnt(0)
	s_cmp_lg_u32 s2, 0
	s_cbranch_scc1 .LBB95_181
; %bb.1:
	s_load_dwordx4 s[44:47], s[4:5], 0x30
	s_mov_b64 s[52:53], 0
	s_mov_b64 s[34:35], 0
	s_waitcnt lgkmcnt(0)
	s_cmp_eq_u64 s[44:45], 0
	s_cbranch_scc1 .LBB95_3
; %bb.2:
	s_lshl_b64 s[2:3], s[8:9], 3
	s_add_u32 s2, s44, s2
	s_addc_u32 s3, s45, s3
	s_load_dwordx2 s[2:3], s[2:3], 0x0
	s_ashr_i32 s11, s46, 31
	s_mov_b32 s10, s46
	s_lshl_b64 s[10:11], s[10:11], 3
	s_waitcnt lgkmcnt(0)
	s_add_u32 s34, s2, s10
	s_addc_u32 s35, s3, s11
.LBB95_3:
	s_load_dwordx8 s[20:27], s[4:5], 0x48
	s_waitcnt lgkmcnt(0)
	s_cmp_eq_u64 s[20:21], 0
	s_cbranch_scc1 .LBB95_5
; %bb.4:
	s_mul_i32 s6, s8, s25
	s_mul_hi_u32 s10, s8, s24
	s_add_i32 s6, s10, s6
	s_mul_i32 s10, s9, s24
	s_add_i32 s11, s6, s10
	s_mul_i32 s10, s8, s24
	s_ashr_i32 s3, s22, 31
	s_lshl_b64 s[10:11], s[10:11], 3
	s_mov_b32 s2, s22
	s_add_u32 s6, s20, s10
	s_addc_u32 s10, s21, s11
	s_lshl_b64 s[2:3], s[2:3], 3
	s_add_u32 s52, s6, s2
	s_addc_u32 s53, s10, s3
.LBB95_5:
	s_load_dwordx2 s[20:21], s[4:5], 0x68
	s_cmp_eq_u64 s[26:27], 0
	s_mov_b64 s[44:45], 0
	s_cbranch_scc1 .LBB95_7
; %bb.6:
	s_lshl_b64 s[2:3], s[8:9], 3
	s_add_u32 s2, s26, s2
	s_addc_u32 s3, s27, s3
	s_load_dwordx2 s[2:3], s[2:3], 0x0
	s_waitcnt lgkmcnt(0)
	s_ashr_i32 s11, s20, 31
	s_mov_b32 s10, s20
	s_lshl_b64 s[10:11], s[10:11], 3
	s_add_u32 s44, s2, s10
	s_addc_u32 s45, s3, s11
.LBB95_7:
	s_load_dwordx8 s[24:31], s[4:5], 0x90
	s_mul_i32 s1, s8, s1
	s_mul_hi_u32 s2, s8, s0
	s_add_i32 s1, s2, s1
	s_mul_i32 s2, s9, s0
	s_add_i32 s1, s1, s2
	s_mul_i32 s0, s8, s0
	s_lshl_b64 s[12:13], s[0:1], 3
	s_waitcnt lgkmcnt(0)
	s_add_u32 s54, s30, s12
	s_addc_u32 s55, s31, s13
	s_load_dwordx2 s[0:1], s[54:55], 0x10
	s_waitcnt lgkmcnt(0)
	v_cvt_i32_f64_e32 v1, s[0:1]
	v_cmp_ge_i32_e32 vcc, s7, v1
	s_cbranch_vccnz .LBB95_181
; %bb.8:
	s_load_dwordx4 s[48:51], s[4:5], 0x0
	s_load_dwordx8 s[36:43], s[4:5], 0x10
                                        ; implicit-def: $vgpr36 : SGPR spill to VGPR lane
	v_lshlrev_b32_e32 v16, 3, v0
	v_mul_lo_u32 v21, v0, s47
	v_mul_lo_u32 v23, v0, s21
	s_waitcnt lgkmcnt(0)
	s_mul_i32 s0, s8, s48
	s_lshl_b32 s0, s0, 1
	s_ashr_i32 s1, s0, 31
	s_lshl_b64 s[0:1], s[0:1], 2
	s_mul_i32 s2, s8, s39
	s_mul_hi_u32 s3, s8, s38
	s_add_u32 s6, s28, s0
	s_addc_u32 s20, s29, s1
	s_add_i32 s0, s3, s2
	s_mul_i32 s1, s9, s38
	s_add_i32 s1, s0, s1
	s_mul_i32 s0, s8, s38
	s_lshl_b64 s[0:1], s[0:1], 3
	s_add_u32 s22, s36, s0
	s_addc_u32 s33, s37, s1
	s_mul_i32 s0, s8, s43
	s_mul_hi_u32 s1, s8, s42
	s_add_i32 s0, s1, s0
	s_mul_i32 s1, s9, s42
	s_add_i32 s1, s0, s1
	s_mul_i32 s0, s8, s42
	v_writelane_b32 v36, s0, 0
	s_lshl_b64 s[10:11], s[0:1], 3
	s_add_u32 s46, s40, s10
	s_addc_u32 s48, s41, s11
	s_cmp_lg_u32 s49, 0
	s_cselect_b64 s[36:37], -1, 0
	s_or_b32 s8, s51, s50
	s_cmp_eq_u32 s8, 0
	v_writelane_b32 v36, s1, 1
	s_cselect_b64 s[8:9], -1, 0
	v_writelane_b32 v36, s8, 2
	s_cmp_lg_u64 s[34:35], 0
	v_writelane_b32 v36, s9, 3
	s_cselect_b64 s[8:9], -1, 0
	s_and_b64 s[82:83], s[36:37], s[8:9]
	s_add_u32 s92, s4, 0xc8
	s_addc_u32 s93, s5, 0
	s_cmp_lg_u64 s[52:53], 0
	s_cselect_b64 s[8:9], -1, 0
	s_cmp_lg_u32 s50, 0
	s_cselect_b64 s[14:15], -1, 0
	s_and_b64 s[94:95], s[14:15], s[8:9]
	v_cmp_gt_i32_e64 s[8:9], s50, v0
	v_writelane_b32 v36, s8, 4
	s_cmp_lg_u64 s[44:45], 0
	v_writelane_b32 v36, s9, 5
	s_cselect_b64 s[8:9], -1, 0
	s_cmp_lg_u32 s51, 0
	s_cselect_b64 s[14:15], -1, 0
	s_and_b64 s[8:9], s[14:15], s[8:9]
	v_writelane_b32 v36, s8, 6
	v_writelane_b32 v36, s9, 7
	v_cmp_gt_i32_e64 s[8:9], s51, v0
	v_writelane_b32 v36, s8, 8
	v_writelane_b32 v36, s9, 9
	s_load_dword s18, s[4:5], 0x78
	s_load_dwordx2 s[8:9], s[4:5], 0x80
	s_load_dword s75, s[4:5], 0xb0
	s_load_dword s19, s[4:5], 0xcc
	v_mov_b32_e32 v3, s33
	v_add_co_u32_e32 v17, vcc, s22, v16
	s_waitcnt lgkmcnt(0)
	v_writelane_b32 v36, s8, 10
	v_writelane_b32 v36, s9, 11
	s_add_u32 s8, s30, s12
	s_addc_u32 s9, s31, s13
	s_add_u32 s4, s8, 24
	v_writelane_b32 v36, s4, 12
	s_addc_u32 s4, s9, 0
	v_writelane_b32 v36, s4, 13
	s_add_u32 s4, s40, -8
	s_addc_u32 s5, s41, -1
	v_writelane_b32 v36, s4, 14
	s_add_u32 s4, s4, s10
	v_writelane_b32 v36, s4, 15
	v_writelane_b32 v36, s5, 16
	s_addc_u32 s4, s5, s11
	v_writelane_b32 v36, s4, 17
	s_add_u32 s4, s22, -8
	v_addc_co_u32_e32 v18, vcc, 0, v3, vcc
	v_writelane_b32 v36, s4, 18
	s_addc_u32 s4, s33, -1
	s_movk_i32 s0, 0x80
	v_mov_b32_e32 v3, s48
	v_add_co_u32_e32 v19, vcc, s46, v16
	v_writelane_b32 v36, s4, 19
	s_add_u32 s4, s8, 40
	s_mov_b32 s30, 0
	v_cmp_gt_u32_e64 s[0:1], s0, v0
	v_cmp_gt_u32_e64 s[2:3], 64, v0
	v_cmp_eq_u32_e64 s[16:17], 0, v0
	v_cmp_gt_i32_e64 s[90:91], s49, v0
	v_mov_b32_e32 v2, 0
	v_addc_co_u32_e32 v20, vcc, 0, v3, vcc
	v_writelane_b32 v36, s4, 20
	s_addc_u32 s4, s9, 0
	v_add_u32_e32 v22, -1, v21
	v_add_u32_e32 v24, -1, v23
	s_brev_b32 s31, 8
	v_mov_b32_e32 v25, 0x260
	v_mov_b32_e32 v26, 1
	v_writelane_b32 v36, s4, 21
	s_branch .LBB95_11
.LBB95_9:                               ;   in Loop: Header=BB95_11 Depth=1
	s_or_b64 exec, exec, s[12:13]
.LBB95_10:                              ;   in Loop: Header=BB95_11 Depth=1
	s_add_i32 s7, s19, s7
	v_cmp_lt_i32_e32 vcc, s7, v1
	s_cbranch_vccz .LBB95_181
.LBB95_11:                              ; =>This Loop Header: Depth=1
                                        ;     Child Loop BB95_15 Depth 2
                                        ;     Child Loop BB95_40 Depth 2
	;; [unrolled: 1-line block ×5, first 2 shown]
                                        ;       Child Loop BB95_164 Depth 3
                                        ;     Child Loop BB95_170 Depth 2
                                        ;       Child Loop BB95_172 Depth 3
                                        ;     Child Loop BB95_178 Depth 2
                                        ;       Child Loop BB95_180 Depth 3
	s_lshl_b32 s4, s7, 2
	s_ashr_i32 s5, s4, 31
	s_lshl_b64 s[4:5], s[4:5], 2
	s_add_u32 s12, s6, s4
	s_addc_u32 s13, s20, s5
	global_load_dwordx2 v[4:5], v2, s[12:13] offset:4
	s_waitcnt vmcnt(0)
	v_readfirstlane_b32 s66, v4
	v_readfirstlane_b32 s64, v5
	s_cmp_le_i32 s64, s66
	s_cbranch_scc1 .LBB95_10
; %bb.12:                               ;   in Loop: Header=BB95_11 Depth=1
	global_load_dword v3, v2, s[12:13] offset:12
	s_waitcnt vmcnt(0)
	v_cmp_le_i32_e32 vcc, s18, v3
	s_cbranch_vccnz .LBB95_10
; %bb.13:                               ;   in Loop: Header=BB95_11 Depth=1
	s_sub_i32 s40, s64, s66
	s_ashr_i32 s67, s66, 31
	v_cmp_ge_i32_e32 vcc, s40, v0
	v_pk_mov_b32 v[4:5], 0, 0
	s_and_saveexec_b64 s[4:5], vcc
	s_cbranch_execz .LBB95_17
; %bb.14:                               ;   in Loop: Header=BB95_11 Depth=1
	s_lshl_b64 s[10:11], s[66:67], 3
	v_mov_b32_e32 v3, s11
	v_add_co_u32_e32 v6, vcc, s10, v17
	v_addc_co_u32_e32 v7, vcc, v18, v3, vcc
	s_mov_b64 s[14:15], 0
	v_pk_mov_b32 v[4:5], 0, 0
	v_mov_b32_e32 v3, v0
.LBB95_15:                              ;   Parent Loop BB95_11 Depth=1
                                        ; =>  This Inner Loop Header: Depth=2
	global_load_dwordx2 v[8:9], v[6:7], off
	v_add_co_u32_e32 v6, vcc, 0x800, v6
	v_add_u32_e32 v3, 0x100, v3
	v_addc_co_u32_e32 v7, vcc, 0, v7, vcc
	v_cmp_lt_i32_e32 vcc, s40, v3
	s_or_b64 s[14:15], vcc, s[14:15]
	s_waitcnt vmcnt(0)
	v_and_b32_e32 v10, 0x7fffffff, v9
	v_cmp_lt_f64_e64 vcc, v[4:5], |v[8:9]|
	v_cndmask_b32_e32 v5, v5, v10, vcc
	v_cndmask_b32_e32 v4, v4, v8, vcc
	s_andn2_b64 exec, exec, s[14:15]
	s_cbranch_execnz .LBB95_15
; %bb.16:                               ;   in Loop: Header=BB95_11 Depth=1
	s_or_b64 exec, exec, s[14:15]
.LBB95_17:                              ;   in Loop: Header=BB95_11 Depth=1
	s_or_b64 exec, exec, s[4:5]
	s_cmp_lt_i32 s40, 1
	ds_write_b64 v16, v[4:5]
	s_waitcnt lgkmcnt(0)
	s_barrier
	s_cbranch_scc1 .LBB95_38
; %bb.18:                               ;   in Loop: Header=BB95_11 Depth=1
	s_and_saveexec_b64 s[4:5], s[0:1]
	s_cbranch_execz .LBB95_22
; %bb.19:                               ;   in Loop: Header=BB95_11 Depth=1
	ds_read_b64 v[6:7], v16 offset:1024
	s_waitcnt lgkmcnt(0)
	v_cmp_lt_f64_e32 vcc, v[4:5], v[6:7]
	s_and_saveexec_b64 s[14:15], vcc
	s_cbranch_execz .LBB95_21
; %bb.20:                               ;   in Loop: Header=BB95_11 Depth=1
	v_pk_mov_b32 v[4:5], v[6:7], v[6:7] op_sel:[0,1]
	ds_write_b64 v16, v[6:7]
.LBB95_21:                              ;   in Loop: Header=BB95_11 Depth=1
	s_or_b64 exec, exec, s[14:15]
.LBB95_22:                              ;   in Loop: Header=BB95_11 Depth=1
	s_or_b64 exec, exec, s[4:5]
	s_waitcnt lgkmcnt(0)
	s_barrier
	s_and_saveexec_b64 s[4:5], s[2:3]
	s_cbranch_execz .LBB95_37
; %bb.23:                               ;   in Loop: Header=BB95_11 Depth=1
	ds_read_b64 v[6:7], v16 offset:512
	s_waitcnt lgkmcnt(0)
	v_cmp_lt_f64_e32 vcc, v[4:5], v[6:7]
	s_and_saveexec_b64 s[14:15], vcc
	s_cbranch_execz .LBB95_25
; %bb.24:                               ;   in Loop: Header=BB95_11 Depth=1
	v_pk_mov_b32 v[4:5], v[6:7], v[6:7] op_sel:[0,1]
	ds_write_b64 v16, v[6:7]
.LBB95_25:                              ;   in Loop: Header=BB95_11 Depth=1
	s_or_b64 exec, exec, s[14:15]
	ds_read_b64 v[6:7], v16 offset:256
	s_waitcnt lgkmcnt(0)
	v_cmp_lt_f64_e32 vcc, v[4:5], v[6:7]
	s_and_saveexec_b64 s[14:15], vcc
	s_cbranch_execz .LBB95_27
; %bb.26:                               ;   in Loop: Header=BB95_11 Depth=1
	v_pk_mov_b32 v[4:5], v[6:7], v[6:7] op_sel:[0,1]
	ds_write_b64 v16, v[6:7]
.LBB95_27:                              ;   in Loop: Header=BB95_11 Depth=1
	s_or_b64 exec, exec, s[14:15]
	;; [unrolled: 10-line block ×6, first 2 shown]
	ds_read_b64 v[6:7], v16 offset:8
	s_waitcnt lgkmcnt(0)
	v_cmp_lt_f64_e32 vcc, v[4:5], v[6:7]
	s_and_b64 exec, exec, vcc
	s_cbranch_execz .LBB95_37
; %bb.36:                               ;   in Loop: Header=BB95_11 Depth=1
	ds_write_b64 v16, v[6:7]
.LBB95_37:                              ;   in Loop: Header=BB95_11 Depth=1
	s_or_b64 exec, exec, s[4:5]
.LBB95_38:                              ;   in Loop: Header=BB95_11 Depth=1
	v_cmp_gt_i32_e32 vcc, s40, v0
	v_pk_mov_b32 v[4:5], 0, 0
	s_waitcnt lgkmcnt(0)
	s_barrier
	s_and_saveexec_b64 s[4:5], vcc
	s_cbranch_execz .LBB95_42
; %bb.39:                               ;   in Loop: Header=BB95_11 Depth=1
	s_lshl_b64 s[10:11], s[66:67], 3
	v_mov_b32_e32 v3, s11
	v_add_co_u32_e32 v6, vcc, s10, v19
	v_addc_co_u32_e32 v7, vcc, v20, v3, vcc
	s_mov_b64 s[14:15], 0
	v_pk_mov_b32 v[4:5], 0, 0
	v_mov_b32_e32 v3, v0
.LBB95_40:                              ;   Parent Loop BB95_11 Depth=1
                                        ; =>  This Inner Loop Header: Depth=2
	global_load_dwordx2 v[8:9], v[6:7], off
	v_add_co_u32_e32 v6, vcc, 0x800, v6
	v_add_u32_e32 v3, 0x100, v3
	v_addc_co_u32_e32 v7, vcc, 0, v7, vcc
	v_cmp_le_i32_e32 vcc, s40, v3
	s_or_b64 s[14:15], vcc, s[14:15]
	s_waitcnt vmcnt(0)
	v_and_b32_e32 v10, 0x7fffffff, v9
	v_cmp_lt_f64_e64 vcc, v[4:5], |v[8:9]|
	v_cndmask_b32_e32 v5, v5, v10, vcc
	v_cndmask_b32_e32 v4, v4, v8, vcc
	s_andn2_b64 exec, exec, s[14:15]
	s_cbranch_execnz .LBB95_40
; %bb.41:                               ;   in Loop: Header=BB95_11 Depth=1
	s_or_b64 exec, exec, s[14:15]
.LBB95_42:                              ;   in Loop: Header=BB95_11 Depth=1
	s_or_b64 exec, exec, s[4:5]
	s_cmp_lt_i32 s40, 2
	ds_write_b64 v16, v[4:5] offset:8
	s_waitcnt lgkmcnt(0)
	s_barrier
	s_cbranch_scc1 .LBB95_63
; %bb.43:                               ;   in Loop: Header=BB95_11 Depth=1
	s_and_saveexec_b64 s[4:5], s[0:1]
	s_cbranch_execz .LBB95_47
; %bb.44:                               ;   in Loop: Header=BB95_11 Depth=1
	ds_read_b64 v[6:7], v16 offset:1032
	s_waitcnt lgkmcnt(0)
	v_cmp_lt_f64_e32 vcc, v[4:5], v[6:7]
	s_and_saveexec_b64 s[14:15], vcc
	s_cbranch_execz .LBB95_46
; %bb.45:                               ;   in Loop: Header=BB95_11 Depth=1
	v_pk_mov_b32 v[4:5], v[6:7], v[6:7] op_sel:[0,1]
	ds_write_b64 v16, v[6:7] offset:8
.LBB95_46:                              ;   in Loop: Header=BB95_11 Depth=1
	s_or_b64 exec, exec, s[14:15]
.LBB95_47:                              ;   in Loop: Header=BB95_11 Depth=1
	s_or_b64 exec, exec, s[4:5]
	s_waitcnt lgkmcnt(0)
	s_barrier
	s_and_saveexec_b64 s[4:5], s[2:3]
	s_cbranch_execz .LBB95_62
; %bb.48:                               ;   in Loop: Header=BB95_11 Depth=1
	ds_read_b64 v[6:7], v16 offset:520
	s_waitcnt lgkmcnt(0)
	v_cmp_lt_f64_e32 vcc, v[4:5], v[6:7]
	s_and_saveexec_b64 s[14:15], vcc
	s_cbranch_execz .LBB95_50
; %bb.49:                               ;   in Loop: Header=BB95_11 Depth=1
	v_pk_mov_b32 v[4:5], v[6:7], v[6:7] op_sel:[0,1]
	ds_write_b64 v16, v[6:7] offset:8
.LBB95_50:                              ;   in Loop: Header=BB95_11 Depth=1
	s_or_b64 exec, exec, s[14:15]
	ds_read_b64 v[6:7], v16 offset:264
	s_waitcnt lgkmcnt(0)
	v_cmp_lt_f64_e32 vcc, v[4:5], v[6:7]
	s_and_saveexec_b64 s[14:15], vcc
	s_cbranch_execz .LBB95_52
; %bb.51:                               ;   in Loop: Header=BB95_11 Depth=1
	v_pk_mov_b32 v[4:5], v[6:7], v[6:7] op_sel:[0,1]
	ds_write_b64 v16, v[6:7] offset:8
.LBB95_52:                              ;   in Loop: Header=BB95_11 Depth=1
	s_or_b64 exec, exec, s[14:15]
	;; [unrolled: 10-line block ×6, first 2 shown]
	ds_read_b64 v[6:7], v16 offset:16
	s_waitcnt lgkmcnt(0)
	v_cmp_lt_f64_e32 vcc, v[4:5], v[6:7]
	s_and_b64 exec, exec, vcc
	s_cbranch_execz .LBB95_62
; %bb.61:                               ;   in Loop: Header=BB95_11 Depth=1
	ds_write_b64 v16, v[6:7] offset:8
.LBB95_62:                              ;   in Loop: Header=BB95_11 Depth=1
	s_or_b64 exec, exec, s[4:5]
.LBB95_63:                              ;   in Loop: Header=BB95_11 Depth=1
	s_lshl_b64 s[68:69], s[66:67], 3
	s_add_u32 s10, s46, s68
	s_addc_u32 s11, s48, s69
	s_add_u32 s14, s22, s68
	s_addc_u32 s15, s33, s69
	s_waitcnt lgkmcnt(0)
	s_barrier
	s_and_saveexec_b64 s[70:71], s[16:17]
	s_cbranch_execz .LBB95_78
; %bb.64:                               ;   in Loop: Header=BB95_11 Depth=1
	s_ashr_i32 s65, s64, 31
	s_lshl_b64 s[4:5], s[64:65], 3
	s_add_u32 s4, s22, s4
	s_addc_u32 s5, s33, s5
	global_load_dwordx2 v[4:5], v2, s[14:15]
	global_load_dwordx2 v[6:7], v2, s[4:5]
	s_ashr_i32 s41, s40, 31
	s_lshl_b64 s[4:5], s[40:41], 3
	s_add_u32 s38, s14, s4
	s_addc_u32 s39, s15, s5
	s_waitcnt vmcnt(0)
	v_cmp_ge_f64_e64 s[4:5], |v[4:5]|, |v[6:7]|
	s_and_b64 s[28:29], s[4:5], exec
	s_cselect_b32 s29, s15, s39
	s_cselect_b32 s28, s14, s38
	global_load_dwordx2 v[8:9], v2, s[28:29]
	v_cndmask_b32_e64 v3, 0, 1, s[4:5]
	s_cmp_lt_i32 s40, 1
	ds_write_b32 v2, v3 offset:2064
	s_waitcnt vmcnt(0)
	v_and_b32_e32 v9, 0x7fffffff, v9
	s_cbranch_scc1 .LBB95_71
; %bb.65:                               ;   in Loop: Header=BB95_11 Depth=1
	s_not_b32 s28, s66
	s_add_i32 s28, s28, s64
	s_mov_b32 s29, 0
	v_pk_mov_b32 v[10:11], v[8:9], v[8:9] op_sel:[0,1]
	s_branch .LBB95_67
.LBB95_66:                              ;   in Loop: Header=BB95_67 Depth=2
	s_add_i32 s29, s29, 1
	s_and_b64 s[42:43], s[4:5], exec
	s_cselect_b32 s42, s29, s28
	s_ashr_i32 s43, s42, 31
	s_lshl_b64 s[42:43], s[42:43], 3
	s_add_u32 s42, s14, s42
	s_addc_u32 s43, s15, s43
	global_load_dwordx2 v[14:15], v2, s[42:43]
	v_add_f64 v[12:13], v[10:11], |v[12:13]|
	v_div_scale_f64 v[28:29], s[42:43], v[12:13], v[12:13], v[10:11]
	v_rcp_f64_e32 v[30:31], v[28:29]
	v_div_scale_f64 v[32:33], vcc, v[10:11], v[12:13], v[10:11]
	s_add_i32 s28, s28, -1
	v_fma_f64 v[34:35], -v[28:29], v[30:31], 1.0
	v_fmac_f64_e32 v[30:31], v[30:31], v[34:35]
	v_fma_f64 v[34:35], -v[28:29], v[30:31], 1.0
	v_fmac_f64_e32 v[30:31], v[30:31], v[34:35]
	v_mul_f64 v[34:35], v[32:33], v[30:31]
	v_fma_f64 v[28:29], -v[28:29], v[34:35], v[32:33]
	v_div_fmas_f64 v[28:29], v[28:29], v[30:31], v[34:35]
	v_div_fixup_f64 v[10:11], v[28:29], v[12:13], v[10:11]
	s_cmp_eq_u32 s28, -1
	s_mov_b64 s[62:63], 0
	s_cselect_b64 s[72:73], -1, 0
	s_waitcnt vmcnt(0)
	v_mul_f64 v[10:11], v[10:11], |v[14:15]|
	v_cmp_lt_f64_e32 vcc, v[10:11], v[8:9]
	v_cndmask_b32_e32 v9, v9, v11, vcc
	v_cndmask_b32_e32 v8, v8, v10, vcc
	s_andn2_b64 vcc, exec, s[72:73]
	s_cbranch_vccz .LBB95_69
.LBB95_67:                              ;   Parent Loop BB95_11 Depth=1
                                        ; =>  This Inner Loop Header: Depth=2
	s_and_b64 s[38:39], s[4:5], exec
	s_cselect_b32 s38, s29, s28
	s_ashr_i32 s39, s38, 31
	s_lshl_b64 s[38:39], s[38:39], 3
	s_add_u32 s38, s10, s38
	s_addc_u32 s39, s11, s39
	global_load_dwordx2 v[12:13], v2, s[38:39]
	v_mul_f64 v[14:15], v[10:11], s[24:25]
	s_waitcnt vmcnt(0)
	v_cmp_nle_f64_e64 s[42:43], |v[12:13]|, v[14:15]
	s_and_b64 vcc, exec, s[42:43]
	s_cbranch_vccnz .LBB95_66
; %bb.68:                               ;   in Loop: Header=BB95_11 Depth=1
	s_mov_b64 s[62:63], -1
                                        ; implicit-def: $vgpr10_vgpr11
                                        ; implicit-def: $sgpr28
                                        ; implicit-def: $sgpr29
                                        ; implicit-def: $vgpr8_vgpr9
.LBB95_69:                              ;   in Loop: Header=BB95_11 Depth=1
	s_and_b64 vcc, exec, s[62:63]
	s_cbranch_vccz .LBB95_71
; %bb.70:                               ;   in Loop: Header=BB95_11 Depth=1
	v_mov_b32_e32 v8, 0
	v_mov_b32_e32 v3, v2
	;; [unrolled: 1-line block ×3, first 2 shown]
	global_store_dwordx2 v2, v[2:3], s[38:39]
.LBB95_71:                              ;   in Loop: Header=BB95_11 Depth=1
	v_cmp_nle_f64_e32 vcc, 0, v[8:9]
	v_and_b32_e32 v3, 0x7fffffff, v5
	v_and_b32_e32 v5, 0x7fffffff, v7
	ds_write_b64 v2, v[8:9] offset:2056
	ds_write_b8 v2, v2 offset:2068
	s_cbranch_vccnz .LBB95_78
; %bb.72:                               ;   in Loop: Header=BB95_11 Depth=1
	ds_read_b128 v[10:13], v2
	s_mov_b64 s[38:39], -1
	s_waitcnt lgkmcnt(0)
	v_cmp_lt_f64_e32 vcc, v[10:11], v[12:13]
	v_cndmask_b32_e32 v11, v11, v13, vcc
	v_cndmask_b32_e32 v10, v10, v12, vcc
	v_div_scale_f64 v[12:13], s[28:29], v[10:11], v[10:11], v[8:9]
	v_rcp_f64_e32 v[14:15], v[12:13]
	v_div_scale_f64 v[28:29], vcc, v[8:9], v[10:11], v[8:9]
	v_fma_f64 v[30:31], -v[12:13], v[14:15], 1.0
	v_fmac_f64_e32 v[14:15], v[14:15], v[30:31]
	v_fma_f64 v[30:31], -v[12:13], v[14:15], 1.0
	v_fmac_f64_e32 v[14:15], v[14:15], v[30:31]
	v_mul_f64 v[30:31], v[28:29], v[14:15]
	v_fma_f64 v[12:13], -v[12:13], v[30:31], v[28:29]
	v_div_fmas_f64 v[12:13], v[12:13], v[14:15], v[30:31]
	v_div_fixup_f64 v[10:11], v[12:13], v[10:11], v[8:9]
	v_cmp_ge_f64_e32 vcc, s[26:27], v[10:11]
	s_cbranch_vccnz .LBB95_75
; %bb.73:                               ;   in Loop: Header=BB95_11 Depth=1
	v_cndmask_b32_e64 v5, v5, v3, s[4:5]
	v_cndmask_b32_e64 v4, v6, v4, s[4:5]
	v_cmp_lt_f64_e32 vcc, 0, v[4:5]
	s_mov_b64 s[38:39], 0
	s_cbranch_vccz .LBB95_75
; %bb.74:                               ;   in Loop: Header=BB95_11 Depth=1
	v_mul_f64 v[6:7], v[8:9], v[8:9]
	v_div_scale_f64 v[8:9], s[4:5], v[4:5], v[4:5], v[6:7]
	v_rcp_f64_e32 v[10:11], v[8:9]
	v_div_scale_f64 v[12:13], vcc, v[6:7], v[4:5], v[6:7]
	v_fma_f64 v[14:15], -v[8:9], v[10:11], 1.0
	v_fmac_f64_e32 v[10:11], v[10:11], v[14:15]
	v_fma_f64 v[14:15], -v[8:9], v[10:11], 1.0
	v_fmac_f64_e32 v[10:11], v[10:11], v[14:15]
	v_mul_f64 v[14:15], v[12:13], v[10:11]
	v_fma_f64 v[8:9], -v[8:9], v[14:15], v[12:13]
	v_div_fmas_f64 v[8:9], v[8:9], v[10:11], v[14:15]
	v_div_fixup_f64 v[6:7], v[8:9], v[4:5], v[6:7]
	v_div_scale_f64 v[8:9], s[4:5], v[4:5], v[4:5], v[6:7]
	v_rcp_f64_e32 v[10:11], v[8:9]
	v_readlane_b32 s4, v36, 10
	v_readlane_b32 s5, v36, 11
	v_fma_f64 v[12:13], -v[8:9], v[10:11], 1.0
	v_fmac_f64_e32 v[10:11], v[10:11], v[12:13]
	v_fma_f64 v[12:13], -v[8:9], v[10:11], 1.0
	v_fmac_f64_e32 v[10:11], v[10:11], v[12:13]
	v_div_scale_f64 v[12:13], vcc, v[6:7], v[4:5], v[6:7]
	v_mul_f64 v[14:15], v[12:13], v[10:11]
	v_fma_f64 v[8:9], -v[8:9], v[14:15], v[12:13]
	s_nop 1
	v_div_fmas_f64 v[8:9], v[8:9], v[10:11], v[14:15]
	v_div_fixup_f64 v[4:5], v[8:9], v[4:5], v[6:7]
	v_cmp_gt_f64_e64 s[38:39], s[4:5], v[4:5]
.LBB95_75:                              ;   in Loop: Header=BB95_11 Depth=1
	s_and_b64 vcc, exec, s[38:39]
	s_cbranch_vccz .LBB95_77
; %bb.76:                               ;   in Loop: Header=BB95_11 Depth=1
	v_mov_b32_e32 v3, v2
	ds_write_b64 v2, v[2:3] offset:2056
.LBB95_77:                              ;   in Loop: Header=BB95_11 Depth=1
	ds_write_b8 v2, v26 offset:2068
.LBB95_78:                              ;   in Loop: Header=BB95_11 Depth=1
	s_or_b64 exec, exec, s[70:71]
	s_waitcnt lgkmcnt(0)
	s_barrier
	ds_read_u8 v3, v2 offset:2068
	s_mov_b64 s[4:5], -1
	s_waitcnt lgkmcnt(0)
	v_cmp_eq_u32_e32 vcc, 0, v3
	s_cbranch_vccz .LBB95_82
; %bb.79:                               ;   in Loop: Header=BB95_11 Depth=1
	s_and_saveexec_b64 s[4:5], s[16:17]
	s_cbranch_execz .LBB95_81
; %bb.80:                               ;   in Loop: Header=BB95_11 Depth=1
	global_store_dword v2, v2, s[12:13]
.LBB95_81:                              ;   in Loop: Header=BB95_11 Depth=1
	s_or_b64 exec, exec, s[4:5]
	s_mov_b64 s[4:5], 0
.LBB95_82:                              ;   in Loop: Header=BB95_11 Depth=1
	s_andn2_b64 vcc, exec, s[4:5]
	s_cbranch_vccnz .LBB95_10
; %bb.83:                               ;   in Loop: Header=BB95_11 Depth=1
	ds_read_b32 v3, v2 offset:2064
	s_waitcnt lgkmcnt(0)
	v_readfirstlane_b32 s70, v3
	s_and_saveexec_b64 s[4:5], s[16:17]
	s_cbranch_execz .LBB95_85
; %bb.84:                               ;   in Loop: Header=BB95_11 Depth=1
	s_cmp_eq_u32 s70, 0
	s_cselect_b32 s28, -1, 1
	v_mov_b32_e32 v3, s28
	global_store_dword v2, v3, s[12:13]
.LBB95_85:                              ;   in Loop: Header=BB95_11 Depth=1
	s_or_b64 exec, exec, s[4:5]
	s_add_i32 s80, s40, 1
	s_mul_i32 s72, s66, s75
	s_sub_i32 s78, 1, s70
	s_ashr_i32 s73, s72, 31
	s_sub_i32 s74, s70, s78
	s_lshl_b32 s12, s80, 1
	s_and_b64 s[4:5], s[36:37], exec
	s_cselect_b32 s41, s12, 0
	s_and_saveexec_b64 s[4:5], s[16:17]
	s_cbranch_execz .LBB95_158
; %bb.86:                               ;   in Loop: Header=BB95_11 Depth=1
	s_cmp_lg_u32 s70, 0
	s_cselect_b64 s[76:77], -1, 0
	s_and_b64 s[12:13], s[76:77], exec
	s_cselect_b32 s86, 0, s40
	s_ashr_i32 s87, s86, 31
	s_lshl_b64 s[12:13], s[86:87], 3
	s_add_u32 s14, s14, s12
	s_addc_u32 s15, s15, s13
	global_load_dwordx2 v[4:5], v2, s[14:15]
	v_pk_mov_b32 v[6:7], 0, 0
	s_waitcnt vmcnt(0)
	v_cmp_eq_f64_e32 vcc, 0, v[4:5]
	s_cbranch_vccnz .LBB95_88
; %bb.87:                               ;   in Loop: Header=BB95_11 Depth=1
	ds_read_b64 v[6:7], v2 offset:2056
	v_cmp_lt_f64_e32 vcc, 0, v[4:5]
	v_cndmask_b32_e64 v3, 0, 1, vcc
	v_cmp_gt_f64_e32 vcc, 0, v[4:5]
	v_subbrev_co_u32_e32 v3, vcc, 0, v3, vcc
	s_waitcnt lgkmcnt(0)
	v_div_scale_f64 v[8:9], s[12:13], v[4:5], v[4:5], v[6:7]
	v_rcp_f64_e32 v[10:11], v[8:9]
	v_add_f64 v[12:13], |v[4:5]|, -v[6:7]
	v_cvt_f64_i32_e32 v[14:15], v3
	v_fma_f64 v[28:29], -v[8:9], v[10:11], 1.0
	v_fmac_f64_e32 v[10:11], v[10:11], v[28:29]
	v_fma_f64 v[28:29], -v[8:9], v[10:11], 1.0
	v_fmac_f64_e32 v[10:11], v[10:11], v[28:29]
	v_div_scale_f64 v[28:29], vcc, v[6:7], v[4:5], v[6:7]
	v_mul_f64 v[30:31], v[28:29], v[10:11]
	v_fma_f64 v[8:9], -v[8:9], v[30:31], v[28:29]
	s_nop 1
	v_div_fmas_f64 v[8:9], v[8:9], v[10:11], v[30:31]
	v_div_fixup_f64 v[6:7], v[8:9], v[4:5], v[6:7]
	v_add_f64 v[6:7], v[6:7], v[14:15]
	v_mul_f64 v[6:7], v[12:13], v[6:7]
.LBB95_88:                              ;   in Loop: Header=BB95_11 Depth=1
	s_cmp_gt_i32 s40, 0
	s_cbranch_scc1 .LBB95_90
; %bb.89:                               ;   in Loop: Header=BB95_11 Depth=1
	s_add_i32 s65, s40, -1
	s_cbranch_execz .LBB95_91
	s_branch .LBB95_157
.LBB95_90:                              ;   in Loop: Header=BB95_11 Depth=1
                                        ; implicit-def: $sgpr65
.LBB95_91:                              ;   in Loop: Header=BB95_11 Depth=1
	s_ashr_i32 s71, s70, 31
	s_sub_u32 s38, 0, s70
	v_writelane_b32 v36, s82, 22
	s_subb_u32 s39, 0, s71
	v_writelane_b32 v36, s83, 23
	s_add_u32 s82, s86, s70
	s_addc_u32 s83, s87, s71
	s_lshl_b64 s[84:85], s[82:83], 3
	s_add_u32 s88, s10, s84
	s_addc_u32 s89, s11, s85
	global_load_dwordx2 v[8:9], v2, s[88:89] offset:-8
	v_writelane_b32 v36, s90, 24
	v_writelane_b32 v36, s91, 25
	v_pk_mov_b32 v[10:11], 0, 0
	v_writelane_b32 v36, s92, 26
	v_writelane_b32 v36, s93, 27
	s_waitcnt vmcnt(0)
	v_cmp_eq_f64_e32 vcc, 0, v[8:9]
	s_cbranch_vccnz .LBB95_95
; %bb.92:                               ;   in Loop: Header=BB95_11 Depth=1
	v_cmp_eq_f64_e32 vcc, 0, v[6:7]
	v_pk_mov_b32 v[12:13], 0, 0
	s_cbranch_vccnz .LBB95_96
; %bb.93:                               ;   in Loop: Header=BB95_11 Depth=1
	v_cmp_gt_f64_e64 s[12:13], |v[8:9]|, |v[6:7]|
	s_and_b64 vcc, exec, s[12:13]
	s_cbranch_vccnz .LBB95_97
; %bb.94:                               ;   in Loop: Header=BB95_11 Depth=1
	v_div_scale_f64 v[10:11], s[12:13], v[6:7], v[6:7], -v[8:9]
	v_rcp_f64_e32 v[12:13], v[10:11]
	v_div_scale_f64 v[14:15], vcc, -v[8:9], v[6:7], -v[8:9]
	v_fma_f64 v[28:29], -v[10:11], v[12:13], 1.0
	v_fmac_f64_e32 v[12:13], v[12:13], v[28:29]
	v_fma_f64 v[28:29], -v[10:11], v[12:13], 1.0
	v_fmac_f64_e32 v[12:13], v[12:13], v[28:29]
	v_mul_f64 v[28:29], v[14:15], v[12:13]
	v_fma_f64 v[10:11], -v[10:11], v[28:29], v[14:15]
	v_div_fmas_f64 v[10:11], v[10:11], v[12:13], v[28:29]
	v_div_fixup_f64 v[10:11], v[10:11], v[6:7], -v[8:9]
	v_fma_f64 v[12:13], v[10:11], v[10:11], 1.0
	v_cmp_gt_f64_e32 vcc, s[30:31], v[12:13]
	v_cndmask_b32_e64 v3, 0, 1, vcc
	v_lshlrev_b32_e32 v3, 8, v3
	v_ldexp_f64 v[12:13], v[12:13], v3
	v_rsq_f64_e32 v[14:15], v[12:13]
	s_and_b64 s[12:13], vcc, exec
	s_cselect_b32 s12, 0xffffff80, 0
	v_cmp_class_f64_e32 vcc, v[12:13], v25
	v_mul_f64 v[28:29], v[12:13], v[14:15]
	v_mul_f64 v[14:15], v[14:15], 0.5
	v_fma_f64 v[30:31], -v[14:15], v[28:29], 0.5
	v_fmac_f64_e32 v[28:29], v[28:29], v[30:31]
	v_fmac_f64_e32 v[14:15], v[14:15], v[30:31]
	v_fma_f64 v[30:31], -v[28:29], v[28:29], v[12:13]
	v_fmac_f64_e32 v[28:29], v[30:31], v[14:15]
	v_fma_f64 v[30:31], -v[28:29], v[28:29], v[12:13]
	v_fmac_f64_e32 v[28:29], v[30:31], v[14:15]
	v_ldexp_f64 v[14:15], v[28:29], s12
	v_cndmask_b32_e32 v13, v15, v13, vcc
	v_cndmask_b32_e32 v12, v14, v12, vcc
	v_div_scale_f64 v[14:15], s[12:13], v[12:13], v[12:13], 1.0
	v_rcp_f64_e32 v[28:29], v[14:15]
	s_mov_b64 s[12:13], 0
	v_fma_f64 v[30:31], -v[14:15], v[28:29], 1.0
	v_fmac_f64_e32 v[28:29], v[28:29], v[30:31]
	v_fma_f64 v[30:31], -v[14:15], v[28:29], 1.0
	v_fmac_f64_e32 v[28:29], v[28:29], v[30:31]
	v_div_scale_f64 v[30:31], vcc, 1.0, v[12:13], 1.0
	v_mul_f64 v[32:33], v[30:31], v[28:29]
	v_fma_f64 v[14:15], -v[14:15], v[32:33], v[30:31]
	s_nop 1
	v_div_fmas_f64 v[14:15], v[14:15], v[28:29], v[32:33]
	v_div_fixup_f64 v[12:13], v[14:15], v[12:13], 1.0
	v_mul_f64 v[10:11], v[10:11], v[12:13]
	s_branch .LBB95_98
.LBB95_95:                              ;   in Loop: Header=BB95_11 Depth=1
	v_mov_b32_e32 v12, 0
	v_mov_b32_e32 v13, 0x3ff00000
	s_branch .LBB95_100
.LBB95_96:                              ;   in Loop: Header=BB95_11 Depth=1
	v_mov_b32_e32 v10, 0
	v_mov_b32_e32 v11, 0x3ff00000
	s_branch .LBB95_100
.LBB95_97:                              ;   in Loop: Header=BB95_11 Depth=1
	s_mov_b64 s[12:13], -1
                                        ; implicit-def: $vgpr10_vgpr11
                                        ; implicit-def: $vgpr12_vgpr13
.LBB95_98:                              ;   in Loop: Header=BB95_11 Depth=1
	s_andn2_b64 vcc, exec, s[12:13]
	s_cbranch_vccnz .LBB95_100
; %bb.99:                               ;   in Loop: Header=BB95_11 Depth=1
	v_div_scale_f64 v[10:11], s[12:13], v[8:9], v[8:9], -v[6:7]
	v_rcp_f64_e32 v[12:13], v[10:11]
	v_div_scale_f64 v[14:15], vcc, -v[6:7], v[8:9], -v[6:7]
	v_fma_f64 v[28:29], -v[10:11], v[12:13], 1.0
	v_fmac_f64_e32 v[12:13], v[12:13], v[28:29]
	v_fma_f64 v[28:29], -v[10:11], v[12:13], 1.0
	v_fmac_f64_e32 v[12:13], v[12:13], v[28:29]
	v_mul_f64 v[28:29], v[14:15], v[12:13]
	v_fma_f64 v[10:11], -v[10:11], v[28:29], v[14:15]
	v_div_fmas_f64 v[10:11], v[10:11], v[12:13], v[28:29]
	v_div_fixup_f64 v[6:7], v[10:11], v[8:9], -v[6:7]
	v_fma_f64 v[10:11], v[6:7], v[6:7], 1.0
	v_cmp_gt_f64_e32 vcc, s[30:31], v[10:11]
	v_cndmask_b32_e64 v3, 0, 1, vcc
	v_lshlrev_b32_e32 v3, 8, v3
	v_ldexp_f64 v[10:11], v[10:11], v3
	v_rsq_f64_e32 v[12:13], v[10:11]
	s_and_b64 s[12:13], vcc, exec
	s_cselect_b32 s12, 0xffffff80, 0
	v_cmp_class_f64_e32 vcc, v[10:11], v25
	v_mul_f64 v[14:15], v[10:11], v[12:13]
	v_mul_f64 v[12:13], v[12:13], 0.5
	v_fma_f64 v[28:29], -v[12:13], v[14:15], 0.5
	v_fmac_f64_e32 v[14:15], v[14:15], v[28:29]
	v_fmac_f64_e32 v[12:13], v[12:13], v[28:29]
	v_fma_f64 v[28:29], -v[14:15], v[14:15], v[10:11]
	v_fmac_f64_e32 v[14:15], v[28:29], v[12:13]
	v_fma_f64 v[28:29], -v[14:15], v[14:15], v[10:11]
	v_fmac_f64_e32 v[14:15], v[28:29], v[12:13]
	v_ldexp_f64 v[12:13], v[14:15], s12
	v_cndmask_b32_e32 v11, v13, v11, vcc
	v_cndmask_b32_e32 v10, v12, v10, vcc
	v_div_scale_f64 v[12:13], s[12:13], v[10:11], v[10:11], 1.0
	v_rcp_f64_e32 v[14:15], v[12:13]
	v_fma_f64 v[28:29], -v[12:13], v[14:15], 1.0
	v_fmac_f64_e32 v[14:15], v[14:15], v[28:29]
	v_fma_f64 v[28:29], -v[12:13], v[14:15], 1.0
	v_fmac_f64_e32 v[14:15], v[14:15], v[28:29]
	v_div_scale_f64 v[28:29], vcc, 1.0, v[10:11], 1.0
	v_mul_f64 v[30:31], v[28:29], v[14:15]
	v_fma_f64 v[12:13], -v[12:13], v[30:31], v[28:29]
	s_nop 1
	v_div_fmas_f64 v[12:13], v[12:13], v[14:15], v[30:31]
	v_div_fixup_f64 v[10:11], v[12:13], v[10:11], 1.0
	v_mul_f64 v[12:13], v[6:7], v[10:11]
.LBB95_100:                             ;   in Loop: Header=BB95_11 Depth=1
	s_lshl_b64 s[90:91], s[72:73], 3
	s_and_b64 s[42:43], s[36:37], s[76:77]
	s_add_u32 s12, s54, s90
	s_addc_u32 s13, s55, s91
	s_add_u32 s28, s12, 32
	s_addc_u32 s29, s13, 0
	s_sub_u32 s92, s70, s38
	s_subb_u32 s93, s71, s39
	v_mul_f64 v[6:7], v[4:5], v[10:11]
	s_lshl_b64 s[12:13], s[92:93], 3
	v_fmac_f64_e32 v[6:7], v[8:9], v[12:13]
	s_add_u32 s62, s14, s12
	global_store_dwordx2 v2, v[6:7], s[88:89] offset:-8
	s_addc_u32 s63, s15, s13
	global_load_dwordx2 v[14:15], v2, s[62:63] offset:-8
	v_cndmask_b32_e64 v3, 0, 1, s[42:43]
	v_writelane_b32 v36, s94, 28
	v_cmp_ne_u32_e64 s[12:13], 1, v3
	s_andn2_b64 vcc, exec, s[42:43]
	v_writelane_b32 v36, s95, 29
	s_waitcnt vmcnt(0)
	v_mul_f64 v[6:7], v[12:13], v[14:15]
	global_store_dwordx2 v2, v[6:7], s[62:63] offset:-8
	s_cbranch_vccnz .LBB95_102
; %bb.101:                              ;   in Loop: Header=BB95_11 Depth=1
	s_add_u32 s38, s28, s84
	s_addc_u32 s39, s29, s85
	s_ashr_i32 s81, s80, 31
	s_lshl_b64 s[42:43], s[80:81], 3
	s_add_u32 s42, s38, s42
	s_addc_u32 s43, s39, s43
	global_store_dwordx2 v2, v[12:13], s[38:39] offset:-8
	global_store_dwordx2 v2, v[10:11], s[42:43] offset:-8
.LBB95_102:                             ;   in Loop: Header=BB95_11 Depth=1
	s_cmp_lg_u32 s70, 1
	s_cselect_b64 s[38:39], -1, 0
	s_cmp_eq_u32 s70, 1
	v_readlane_b32 s56, v36, 2
	s_cselect_b64 s[42:43], -1, 0
	v_readlane_b32 s57, v36, 3
	s_or_b64 s[94:95], s[56:57], s[42:43]
	s_and_b64 vcc, exec, s[94:95]
	s_cbranch_vccnz .LBB95_104
; %bb.103:                              ;   in Loop: Header=BB95_11 Depth=1
	s_ashr_i32 s43, s41, 31
	s_add_u32 s42, s82, s41
	s_addc_u32 s43, s83, s43
	s_lshl_b64 s[42:43], s[42:43], 3
	s_add_u32 s42, s28, s42
	s_addc_u32 s43, s29, s43
	s_ashr_i32 s81, s80, 31
	s_lshl_b64 s[56:57], s[80:81], 3
	s_add_u32 s56, s42, s56
	s_addc_u32 s57, s43, s57
	global_store_dwordx2 v2, v[12:13], s[42:43] offset:-8
	global_store_dwordx2 v2, v[10:11], s[56:57] offset:-8
.LBB95_104:                             ;   in Loop: Header=BB95_11 Depth=1
	v_mul_f64 v[6:7], v[8:9], v[10:11]
	v_fma_f64 v[6:7], v[4:5], v[12:13], -v[6:7]
	v_mul_f64 v[4:5], v[14:15], -v[10:11]
	v_cmp_eq_f64_e32 vcc, 0, v[4:5]
	v_pk_mov_b32 v[8:9], 0, 0
	s_cbranch_vccnz .LBB95_108
; %bb.105:                              ;   in Loop: Header=BB95_11 Depth=1
	v_cmp_eq_f64_e32 vcc, 0, v[6:7]
	s_cbranch_vccnz .LBB95_109
; %bb.106:                              ;   in Loop: Header=BB95_11 Depth=1
	v_cmp_gt_f64_e64 s[42:43], |v[4:5]|, |v[6:7]|
	s_and_b64 vcc, exec, s[42:43]
	s_cbranch_vccnz .LBB95_110
; %bb.107:                              ;   in Loop: Header=BB95_11 Depth=1
	v_div_scale_f64 v[8:9], s[42:43], v[6:7], v[6:7], -v[4:5]
	v_rcp_f64_e32 v[10:11], v[8:9]
	v_div_scale_f64 v[12:13], vcc, -v[4:5], v[6:7], -v[4:5]
	v_fma_f64 v[14:15], -v[8:9], v[10:11], 1.0
	v_fmac_f64_e32 v[10:11], v[10:11], v[14:15]
	v_fma_f64 v[14:15], -v[8:9], v[10:11], 1.0
	v_fmac_f64_e32 v[10:11], v[10:11], v[14:15]
	v_mul_f64 v[14:15], v[12:13], v[10:11]
	v_fma_f64 v[8:9], -v[8:9], v[14:15], v[12:13]
	v_div_fmas_f64 v[8:9], v[8:9], v[10:11], v[14:15]
	v_div_fixup_f64 v[8:9], v[8:9], v[6:7], -v[4:5]
	v_fma_f64 v[10:11], v[8:9], v[8:9], 1.0
	v_cmp_gt_f64_e32 vcc, s[30:31], v[10:11]
	v_cndmask_b32_e64 v3, 0, 1, vcc
	v_lshlrev_b32_e32 v3, 8, v3
	v_ldexp_f64 v[10:11], v[10:11], v3
	v_rsq_f64_e32 v[12:13], v[10:11]
	s_and_b64 s[42:43], vcc, exec
	s_cselect_b32 s42, 0xffffff80, 0
	v_cmp_class_f64_e32 vcc, v[10:11], v25
	v_mul_f64 v[14:15], v[10:11], v[12:13]
	v_mul_f64 v[12:13], v[12:13], 0.5
	v_fma_f64 v[28:29], -v[12:13], v[14:15], 0.5
	v_fmac_f64_e32 v[14:15], v[14:15], v[28:29]
	v_fmac_f64_e32 v[12:13], v[12:13], v[28:29]
	v_fma_f64 v[28:29], -v[14:15], v[14:15], v[10:11]
	v_fmac_f64_e32 v[14:15], v[28:29], v[12:13]
	v_fma_f64 v[28:29], -v[14:15], v[14:15], v[10:11]
	v_fmac_f64_e32 v[14:15], v[28:29], v[12:13]
	v_ldexp_f64 v[12:13], v[14:15], s42
	v_cndmask_b32_e32 v11, v13, v11, vcc
	v_cndmask_b32_e32 v10, v12, v10, vcc
	v_div_scale_f64 v[12:13], s[42:43], v[10:11], v[10:11], 1.0
	v_rcp_f64_e32 v[14:15], v[12:13]
	v_fma_f64 v[28:29], -v[12:13], v[14:15], 1.0
	v_fmac_f64_e32 v[14:15], v[14:15], v[28:29]
	v_fma_f64 v[28:29], -v[12:13], v[14:15], 1.0
	v_fmac_f64_e32 v[14:15], v[14:15], v[28:29]
	v_div_scale_f64 v[28:29], vcc, 1.0, v[10:11], 1.0
	v_mul_f64 v[30:31], v[28:29], v[14:15]
	v_fma_f64 v[12:13], -v[12:13], v[30:31], v[28:29]
	s_nop 1
	v_div_fmas_f64 v[12:13], v[12:13], v[14:15], v[30:31]
	v_div_fixup_f64 v[10:11], v[12:13], v[10:11], 1.0
	v_mul_f64 v[8:9], v[8:9], v[10:11]
	s_mov_b64 vcc, 0
	s_branch .LBB95_111
.LBB95_108:                             ;   in Loop: Header=BB95_11 Depth=1
	v_mov_b32_e32 v10, 0
	v_mov_b32_e32 v11, 0x3ff00000
	s_branch .LBB95_115
.LBB95_109:                             ;   in Loop: Header=BB95_11 Depth=1
                                        ; implicit-def: $vgpr6_vgpr7
                                        ; implicit-def: $vgpr8_vgpr9
                                        ; implicit-def: $vgpr10_vgpr11
	s_cbranch_execnz .LBB95_114
	s_branch .LBB95_115
.LBB95_110:                             ;   in Loop: Header=BB95_11 Depth=1
	s_mov_b64 vcc, -1
                                        ; implicit-def: $vgpr8_vgpr9
                                        ; implicit-def: $vgpr10_vgpr11
.LBB95_111:                             ;   in Loop: Header=BB95_11 Depth=1
	s_andn2_b64 vcc, exec, vcc
	s_cbranch_vccnz .LBB95_113
; %bb.112:                              ;   in Loop: Header=BB95_11 Depth=1
	v_div_scale_f64 v[8:9], s[42:43], v[4:5], v[4:5], -v[6:7]
	v_rcp_f64_e32 v[10:11], v[8:9]
	v_div_scale_f64 v[12:13], vcc, -v[6:7], v[4:5], -v[6:7]
	v_fma_f64 v[14:15], -v[8:9], v[10:11], 1.0
	v_fmac_f64_e32 v[10:11], v[10:11], v[14:15]
	v_fma_f64 v[14:15], -v[8:9], v[10:11], 1.0
	v_fmac_f64_e32 v[10:11], v[10:11], v[14:15]
	v_mul_f64 v[14:15], v[12:13], v[10:11]
	v_fma_f64 v[8:9], -v[8:9], v[14:15], v[12:13]
	v_div_fmas_f64 v[8:9], v[8:9], v[10:11], v[14:15]
	v_div_fixup_f64 v[10:11], v[8:9], v[4:5], -v[6:7]
	v_fma_f64 v[8:9], v[10:11], v[10:11], 1.0
	v_cmp_gt_f64_e32 vcc, s[30:31], v[8:9]
	v_cndmask_b32_e64 v3, 0, 1, vcc
	v_lshlrev_b32_e32 v3, 8, v3
	v_ldexp_f64 v[8:9], v[8:9], v3
	v_rsq_f64_e32 v[12:13], v[8:9]
	s_and_b64 s[42:43], vcc, exec
	s_cselect_b32 s42, 0xffffff80, 0
	v_cmp_class_f64_e32 vcc, v[8:9], v25
	v_mul_f64 v[14:15], v[8:9], v[12:13]
	v_mul_f64 v[12:13], v[12:13], 0.5
	v_fma_f64 v[28:29], -v[12:13], v[14:15], 0.5
	v_fmac_f64_e32 v[14:15], v[14:15], v[28:29]
	v_fmac_f64_e32 v[12:13], v[12:13], v[28:29]
	v_fma_f64 v[28:29], -v[14:15], v[14:15], v[8:9]
	v_fmac_f64_e32 v[14:15], v[28:29], v[12:13]
	v_fma_f64 v[28:29], -v[14:15], v[14:15], v[8:9]
	v_fmac_f64_e32 v[14:15], v[28:29], v[12:13]
	v_ldexp_f64 v[12:13], v[14:15], s42
	v_cndmask_b32_e32 v9, v13, v9, vcc
	v_cndmask_b32_e32 v8, v12, v8, vcc
	v_div_scale_f64 v[12:13], s[42:43], v[8:9], v[8:9], 1.0
	v_rcp_f64_e32 v[14:15], v[12:13]
	v_fma_f64 v[28:29], -v[12:13], v[14:15], 1.0
	v_fmac_f64_e32 v[14:15], v[14:15], v[28:29]
	v_fma_f64 v[28:29], -v[12:13], v[14:15], 1.0
	v_fmac_f64_e32 v[14:15], v[14:15], v[28:29]
	v_div_scale_f64 v[28:29], vcc, 1.0, v[8:9], 1.0
	v_mul_f64 v[30:31], v[28:29], v[14:15]
	v_fma_f64 v[12:13], -v[12:13], v[30:31], v[28:29]
	s_nop 1
	v_div_fmas_f64 v[12:13], v[12:13], v[14:15], v[30:31]
	v_div_fixup_f64 v[8:9], v[12:13], v[8:9], 1.0
	v_mul_f64 v[10:11], v[10:11], v[8:9]
.LBB95_113:                             ;   in Loop: Header=BB95_11 Depth=1
	v_mul_f64 v[12:13], v[4:5], v[8:9]
	v_fma_f64 v[6:7], v[6:7], v[10:11], -v[12:13]
	s_branch .LBB95_115
.LBB95_114:                             ;   in Loop: Header=BB95_11 Depth=1
	v_mov_b32_e32 v8, 0
	v_xor_b32_e32 v7, 0x80000000, v5
	v_mov_b32_e32 v6, v4
	v_pk_mov_b32 v[10:11], 0, 0
	v_mov_b32_e32 v9, 0x3ff00000
.LBB95_115:                             ;   in Loop: Header=BB95_11 Depth=1
	global_store_dwordx2 v2, v[6:7], s[14:15]
	global_load_dwordx2 v[12:13], v2, s[62:63] offset:-8
	s_nop 0
	global_load_dwordx2 v[6:7], v2, s[88:89] offset:-8
	s_cmp_eq_u32 s80, 2
	s_waitcnt vmcnt(1)
	v_mul_f64 v[14:15], v[10:11], v[12:13]
	s_waitcnt vmcnt(0)
	v_fmac_f64_e32 v[14:15], v[8:9], v[6:7]
	global_store_dwordx2 v2, v[14:15], s[62:63] offset:-8
	s_cbranch_scc1 .LBB95_117
; %bb.116:                              ;   in Loop: Header=BB95_11 Depth=1
	s_mov_b32 s42, s75
	s_ashr_i32 s75, s74, 31
	s_lshl_b64 s[14:15], s[74:75], 3
	s_add_u32 s14, s88, s14
	s_addc_u32 s15, s89, s15
	global_load_dwordx2 v[14:15], v2, s[14:15] offset:-8
	s_mov_b32 s75, s42
	s_waitcnt vmcnt(0)
	v_mul_f64 v[4:5], v[14:15], -v[8:9]
	v_mul_f64 v[14:15], v[10:11], v[14:15]
	global_store_dwordx2 v2, v[14:15], s[14:15] offset:-8
.LBB95_117:                             ;   in Loop: Header=BB95_11 Depth=1
	s_and_b64 s[38:39], s[36:37], s[38:39]
	v_cndmask_b32_e64 v3, 0, 1, s[38:39]
	v_cmp_ne_u32_e64 s[14:15], 1, v3
	s_andn2_b64 vcc, exec, s[38:39]
	s_cbranch_vccnz .LBB95_119
; %bb.118:                              ;   in Loop: Header=BB95_11 Depth=1
	s_add_u32 s38, s28, s84
	s_addc_u32 s39, s29, s85
	s_ashr_i32 s81, s80, 31
	s_lshl_b64 s[42:43], s[80:81], 3
	s_add_u32 s42, s38, s42
	s_addc_u32 s43, s39, s43
	global_store_dwordx2 v2, v[10:11], s[38:39] offset:-8
	global_store_dwordx2 v2, v[8:9], s[42:43] offset:-8
.LBB95_119:                             ;   in Loop: Header=BB95_11 Depth=1
	v_readlane_b32 s42, v36, 2
	s_xor_b64 s[38:39], s[76:77], -1
	v_readlane_b32 s43, v36, 3
	s_or_b64 s[38:39], s[42:43], s[38:39]
	s_and_b64 vcc, exec, s[38:39]
	s_cbranch_vccnz .LBB95_121
; %bb.120:                              ;   in Loop: Header=BB95_11 Depth=1
	s_ashr_i32 s43, s41, 31
	s_add_u32 s42, s82, s41
	s_addc_u32 s43, s83, s43
	s_lshl_b64 s[42:43], s[42:43], 3
	s_add_u32 s28, s28, s42
	s_addc_u32 s29, s29, s43
	s_ashr_i32 s81, s80, 31
	s_lshl_b64 s[42:43], s[80:81], 3
	s_add_u32 s42, s28, s42
	s_addc_u32 s43, s29, s43
	global_store_dwordx2 v2, v[10:11], s[28:29] offset:-8
	global_store_dwordx2 v2, v[8:9], s[42:43] offset:-8
.LBB95_121:                             ;   in Loop: Header=BB95_11 Depth=1
	v_mul_f64 v[8:9], v[8:9], v[12:13]
	v_fma_f64 v[6:7], v[10:11], v[6:7], -v[8:9]
	s_cmp_eq_u32 s40, 1
	s_mov_b32 s65, 0
	s_cbranch_scc1 .LBB95_154
; %bb.122:                              ;   in Loop: Header=BB95_11 Depth=1
	s_xor_b64 s[82:83], s[94:95], -1
	s_xor_b64 s[84:85], s[38:39], -1
	s_add_i32 s38, s86, s74
	s_add_i32 s65, s40, -1
	s_sub_i32 s42, s86, s78
	s_ashr_i32 s28, s41, 31
	s_ashr_i32 s81, s80, 31
	s_add_u32 s29, s92, s41
	s_addc_u32 s39, s93, s28
	s_ashr_i32 s43, s42, 31
	s_add_u32 s28, s29, s42
	s_addc_u32 s29, s39, s43
	s_lshl_b64 s[28:29], s[28:29], 3
	s_add_u32 s39, s28, s90
	s_addc_u32 s58, s29, s91
	s_lshl_b64 s[28:29], s[80:81], 3
	v_writelane_b32 v36, s75, 30
	s_add_u32 s56, s39, s28
	s_addc_u32 s57, s58, s29
	v_readlane_b32 s61, v36, 12
	s_add_u32 s75, s61, s56
	v_readlane_b32 s62, v36, 13
	s_addc_u32 s92, s62, s57
	s_lshl_b32 s56, s70, 1
	s_add_i32 s56, s56, -2
	s_ashr_i32 s57, s56, 31
	s_lshl_b64 s[80:81], s[56:57], 3
	s_or_b32 s80, s80, 8
	s_add_u32 s94, s61, s39
	s_addc_u32 s95, s62, s58
	s_lshl_b64 s[56:57], s[70:71], 4
	s_add_u32 s39, s56, s90
	s_addc_u32 s60, s57, s91
	s_lshl_b64 s[58:59], s[42:43], 3
	s_add_u32 s39, s39, s58
	s_addc_u32 s60, s60, s59
	s_add_u32 s28, s39, s28
	s_addc_u32 s29, s60, s29
	;; [unrolled: 2-line block ×4, first 2 shown]
	v_readlane_b32 s60, v36, 0
	v_readlane_b32 s61, v36, 1
	s_add_u32 s60, s60, s66
	s_addc_u32 s61, s61, s67
	s_add_u32 s42, s60, s42
	s_addc_u32 s43, s61, s43
	s_mul_i32 s39, s70, 24
	s_lshl_b64 s[42:43], s[42:43], 3
	s_mul_hi_i32 s29, s70, 24
	s_add_u32 s39, s39, s42
	s_addc_u32 s29, s29, s43
	s_ashr_i32 s79, s78, 31
	s_lshl_b64 s[42:43], s[78:79], 3
	s_sub_u32 s39, s39, s42
	s_subb_u32 s42, s29, s43
	v_readlane_b32 s29, v36, 14
	s_add_u32 s29, s29, s39
	v_readlane_b32 s39, v36, 16
	s_addc_u32 s67, s39, s42
	s_add_u32 s56, s56, s68
	s_addc_u32 s57, s57, s69
	s_add_u32 s39, s56, s58
	s_addc_u32 s43, s57, s59
	v_readlane_b32 s42, v36, 15
	s_add_u32 s42, s42, s39
	v_readlane_b32 s39, v36, 17
	s_addc_u32 s43, s39, s43
	s_add_u32 s39, s68, s58
	s_addc_u32 s59, s69, s59
	s_add_u32 s58, s46, s39
	s_addc_u32 s59, s48, s59
	s_ashr_i32 s39, s38, 31
	s_lshl_b64 s[38:39], s[38:39], 3
	s_add_u32 s56, s56, s38
	s_addc_u32 s57, s57, s39
	v_readlane_b32 s60, v36, 18
	s_add_u32 s60, s60, s56
	v_readlane_b32 s56, v36, 19
	s_addc_u32 s61, s56, s57
	s_add_u32 s38, s68, s38
	s_addc_u32 s39, s69, s39
	s_add_u32 s56, s22, s38
	s_mov_b32 s93, 1
	s_addc_u32 s57, s33, s39
	s_mov_b64 s[78:79], 0
	s_branch .LBB95_124
.LBB95_123:                             ;   in Loop: Header=BB95_124 Depth=2
	s_add_i32 s93, s93, 1
	s_add_u32 s78, s78, s80
	v_mul_f64 v[10:11], v[10:11], v[12:13]
	s_addc_u32 s79, s79, s81
	s_cmp_eq_u32 s40, s93
	v_fma_f64 v[6:7], v[8:9], v[6:7], -v[10:11]
	s_cbranch_scc1 .LBB95_155
.LBB95_124:                             ;   Parent Loop BB95_11 Depth=1
                                        ; =>  This Inner Loop Header: Depth=2
	v_cmp_eq_f64_e32 vcc, 0, v[4:5]
	v_pk_mov_b32 v[8:9], 0, 0
	s_cbranch_vccnz .LBB95_128
; %bb.125:                              ;   in Loop: Header=BB95_124 Depth=2
	v_cmp_neq_f64_e32 vcc, 0, v[6:7]
	s_cbranch_vccz .LBB95_129
; %bb.126:                              ;   in Loop: Header=BB95_124 Depth=2
	v_cmp_ngt_f64_e64 s[38:39], |v[4:5]|, |v[6:7]|
	s_and_b64 vcc, exec, s[38:39]
	s_cbranch_vccz .LBB95_130
; %bb.127:                              ;   in Loop: Header=BB95_124 Depth=2
	v_div_scale_f64 v[8:9], s[38:39], v[6:7], v[6:7], -v[4:5]
	v_rcp_f64_e32 v[10:11], v[8:9]
	v_div_scale_f64 v[12:13], vcc, -v[4:5], v[6:7], -v[4:5]
	v_fma_f64 v[14:15], -v[8:9], v[10:11], 1.0
	v_fmac_f64_e32 v[10:11], v[10:11], v[14:15]
	v_fma_f64 v[14:15], -v[8:9], v[10:11], 1.0
	v_fmac_f64_e32 v[10:11], v[10:11], v[14:15]
	v_mul_f64 v[14:15], v[12:13], v[10:11]
	v_fma_f64 v[8:9], -v[8:9], v[14:15], v[12:13]
	v_div_fmas_f64 v[8:9], v[8:9], v[10:11], v[14:15]
	v_div_fixup_f64 v[8:9], v[8:9], v[6:7], -v[4:5]
	v_fma_f64 v[10:11], v[8:9], v[8:9], 1.0
	v_cmp_gt_f64_e32 vcc, s[30:31], v[10:11]
	v_cndmask_b32_e64 v3, 0, 1, vcc
	v_lshlrev_b32_e32 v3, 8, v3
	v_ldexp_f64 v[10:11], v[10:11], v3
	v_rsq_f64_e32 v[12:13], v[10:11]
	s_and_b64 s[38:39], vcc, exec
	s_cselect_b32 s38, 0xffffff80, 0
	v_cmp_class_f64_e32 vcc, v[10:11], v25
	v_mul_f64 v[14:15], v[10:11], v[12:13]
	v_mul_f64 v[12:13], v[12:13], 0.5
	v_fma_f64 v[28:29], -v[12:13], v[14:15], 0.5
	v_fmac_f64_e32 v[14:15], v[14:15], v[28:29]
	v_fmac_f64_e32 v[12:13], v[12:13], v[28:29]
	v_fma_f64 v[28:29], -v[14:15], v[14:15], v[10:11]
	v_fmac_f64_e32 v[14:15], v[28:29], v[12:13]
	v_fma_f64 v[28:29], -v[14:15], v[14:15], v[10:11]
	v_fmac_f64_e32 v[14:15], v[28:29], v[12:13]
	v_ldexp_f64 v[12:13], v[14:15], s38
	v_cndmask_b32_e32 v11, v13, v11, vcc
	v_cndmask_b32_e32 v10, v12, v10, vcc
	v_div_scale_f64 v[12:13], s[38:39], v[10:11], v[10:11], 1.0
	v_rcp_f64_e32 v[14:15], v[12:13]
	v_fma_f64 v[28:29], -v[12:13], v[14:15], 1.0
	v_fmac_f64_e32 v[14:15], v[14:15], v[28:29]
	v_fma_f64 v[28:29], -v[12:13], v[14:15], 1.0
	v_fmac_f64_e32 v[14:15], v[14:15], v[28:29]
	v_div_scale_f64 v[28:29], vcc, 1.0, v[10:11], 1.0
	v_mul_f64 v[30:31], v[28:29], v[14:15]
	v_fma_f64 v[12:13], -v[12:13], v[30:31], v[28:29]
	s_nop 1
	v_div_fmas_f64 v[12:13], v[12:13], v[14:15], v[30:31]
	v_div_fixup_f64 v[10:11], v[12:13], v[10:11], 1.0
	v_mul_f64 v[8:9], v[8:9], v[10:11]
	s_cbranch_execz .LBB95_131
	s_branch .LBB95_132
.LBB95_128:                             ;   in Loop: Header=BB95_124 Depth=2
	v_mov_b32_e32 v10, 0
	v_mov_b32_e32 v11, 0x3ff00000
	s_branch .LBB95_134
.LBB95_129:                             ;   in Loop: Header=BB95_124 Depth=2
                                        ; implicit-def: $vgpr6_vgpr7
                                        ; implicit-def: $vgpr8_vgpr9
                                        ; implicit-def: $vgpr10_vgpr11
	s_cbranch_execnz .LBB95_133
	s_branch .LBB95_134
.LBB95_130:                             ;   in Loop: Header=BB95_124 Depth=2
                                        ; implicit-def: $vgpr8_vgpr9
                                        ; implicit-def: $vgpr10_vgpr11
.LBB95_131:                             ;   in Loop: Header=BB95_124 Depth=2
	v_div_scale_f64 v[8:9], s[38:39], v[4:5], v[4:5], -v[6:7]
	v_rcp_f64_e32 v[10:11], v[8:9]
	v_div_scale_f64 v[12:13], vcc, -v[6:7], v[4:5], -v[6:7]
	v_fma_f64 v[14:15], -v[8:9], v[10:11], 1.0
	v_fmac_f64_e32 v[10:11], v[10:11], v[14:15]
	v_fma_f64 v[14:15], -v[8:9], v[10:11], 1.0
	v_fmac_f64_e32 v[10:11], v[10:11], v[14:15]
	v_mul_f64 v[14:15], v[12:13], v[10:11]
	v_fma_f64 v[8:9], -v[8:9], v[14:15], v[12:13]
	v_div_fmas_f64 v[8:9], v[8:9], v[10:11], v[14:15]
	v_div_fixup_f64 v[10:11], v[8:9], v[4:5], -v[6:7]
	v_fma_f64 v[8:9], v[10:11], v[10:11], 1.0
	v_cmp_gt_f64_e32 vcc, s[30:31], v[8:9]
	v_cndmask_b32_e64 v3, 0, 1, vcc
	v_lshlrev_b32_e32 v3, 8, v3
	v_ldexp_f64 v[8:9], v[8:9], v3
	v_rsq_f64_e32 v[12:13], v[8:9]
	s_and_b64 s[38:39], vcc, exec
	s_cselect_b32 s38, 0xffffff80, 0
	v_cmp_class_f64_e32 vcc, v[8:9], v25
	v_mul_f64 v[14:15], v[8:9], v[12:13]
	v_mul_f64 v[12:13], v[12:13], 0.5
	v_fma_f64 v[28:29], -v[12:13], v[14:15], 0.5
	v_fmac_f64_e32 v[14:15], v[14:15], v[28:29]
	v_fmac_f64_e32 v[12:13], v[12:13], v[28:29]
	v_fma_f64 v[28:29], -v[14:15], v[14:15], v[8:9]
	v_fmac_f64_e32 v[14:15], v[28:29], v[12:13]
	v_fma_f64 v[28:29], -v[14:15], v[14:15], v[8:9]
	v_fmac_f64_e32 v[14:15], v[28:29], v[12:13]
	v_ldexp_f64 v[12:13], v[14:15], s38
	v_cndmask_b32_e32 v9, v13, v9, vcc
	v_cndmask_b32_e32 v8, v12, v8, vcc
	v_div_scale_f64 v[12:13], s[38:39], v[8:9], v[8:9], 1.0
	v_rcp_f64_e32 v[14:15], v[12:13]
	v_fma_f64 v[28:29], -v[12:13], v[14:15], 1.0
	v_fmac_f64_e32 v[14:15], v[14:15], v[28:29]
	v_fma_f64 v[28:29], -v[12:13], v[14:15], 1.0
	v_fmac_f64_e32 v[14:15], v[14:15], v[28:29]
	v_div_scale_f64 v[28:29], vcc, 1.0, v[8:9], 1.0
	v_mul_f64 v[30:31], v[28:29], v[14:15]
	v_fma_f64 v[12:13], -v[12:13], v[30:31], v[28:29]
	s_nop 1
	v_div_fmas_f64 v[12:13], v[12:13], v[14:15], v[30:31]
	v_div_fixup_f64 v[8:9], v[12:13], v[8:9], 1.0
	v_mul_f64 v[10:11], v[10:11], v[8:9]
.LBB95_132:                             ;   in Loop: Header=BB95_124 Depth=2
	v_mul_f64 v[12:13], v[4:5], v[8:9]
	v_fma_f64 v[6:7], v[6:7], v[10:11], -v[12:13]
	s_branch .LBB95_134
.LBB95_133:                             ;   in Loop: Header=BB95_124 Depth=2
	v_xor_b32_e32 v5, 0x80000000, v5
	v_mov_b32_e32 v8, 0
	v_pk_mov_b32 v[10:11], 0, 0
	v_mov_b32_e32 v9, 0x3ff00000
	v_pk_mov_b32 v[6:7], v[4:5], v[4:5] op_sel:[0,1]
.LBB95_134:                             ;   in Loop: Header=BB95_124 Depth=2
	s_add_u32 s38, s58, s78
	s_addc_u32 s39, s59, s79
	s_add_u32 s62, s56, s78
	s_addc_u32 s63, s57, s79
	global_store_dwordx2 v2, v[6:7], s[38:39]
	s_add_u32 s38, s42, s78
	s_addc_u32 s39, s43, s79
	global_load_dwordx2 v[6:7], v2, s[38:39]
	global_load_dwordx2 v[4:5], v2, s[62:63]
	s_add_u32 s86, s60, s78
	s_addc_u32 s87, s61, s79
	s_and_b64 vcc, exec, s[12:13]
	s_waitcnt vmcnt(1)
	v_mul_f64 v[12:13], v[10:11], v[6:7]
	s_waitcnt vmcnt(0)
	v_fmac_f64_e32 v[12:13], v[8:9], v[4:5]
	global_store_dwordx2 v2, v[12:13], s[38:39]
	global_load_dwordx2 v[12:13], v2, s[86:87]
	s_waitcnt vmcnt(0)
	v_mul_f64 v[14:15], v[10:11], v[12:13]
	global_store_dwordx2 v2, v[14:15], s[86:87]
	s_cbranch_vccnz .LBB95_136
; %bb.135:                              ;   in Loop: Header=BB95_124 Depth=2
	s_add_u32 s88, s91, s78
	s_addc_u32 s89, s28, s79
	s_add_u32 vcc_lo, s71, s78
	s_addc_u32 vcc_hi, s90, s79
	global_store_dwordx2 v2, v[10:11], s[88:89]
	global_store_dwordx2 v2, v[8:9], vcc
.LBB95_136:                             ;   in Loop: Header=BB95_124 Depth=2
	s_andn2_b64 vcc, exec, s[82:83]
	s_cbranch_vccnz .LBB95_138
; %bb.137:                              ;   in Loop: Header=BB95_124 Depth=2
	s_add_u32 s88, s94, s78
	s_addc_u32 s89, s95, s79
	s_add_u32 vcc_lo, s75, s78
	s_addc_u32 vcc_hi, s92, s79
	global_store_dwordx2 v2, v[10:11], s[88:89]
	global_store_dwordx2 v2, v[8:9], vcc
.LBB95_138:                             ;   in Loop: Header=BB95_124 Depth=2
	v_mul_f64 v[6:7], v[8:9], v[6:7]
	v_fma_f64 v[6:7], v[10:11], v[4:5], -v[6:7]
	v_mul_f64 v[4:5], v[12:13], -v[8:9]
	v_cmp_eq_f64_e32 vcc, 0, v[4:5]
	v_pk_mov_b32 v[10:11], 0, 0
	s_cbranch_vccnz .LBB95_142
; %bb.139:                              ;   in Loop: Header=BB95_124 Depth=2
	v_cmp_neq_f64_e32 vcc, 0, v[6:7]
	s_cbranch_vccz .LBB95_143
; %bb.140:                              ;   in Loop: Header=BB95_124 Depth=2
	v_cmp_ngt_f64_e64 s[88:89], |v[4:5]|, |v[6:7]|
	s_and_b64 vcc, exec, s[88:89]
	s_cbranch_vccz .LBB95_144
; %bb.141:                              ;   in Loop: Header=BB95_124 Depth=2
	v_div_scale_f64 v[8:9], s[88:89], v[6:7], v[6:7], -v[4:5]
	v_rcp_f64_e32 v[10:11], v[8:9]
	v_div_scale_f64 v[12:13], vcc, -v[4:5], v[6:7], -v[4:5]
	v_fma_f64 v[14:15], -v[8:9], v[10:11], 1.0
	v_fmac_f64_e32 v[10:11], v[10:11], v[14:15]
	v_fma_f64 v[14:15], -v[8:9], v[10:11], 1.0
	v_fmac_f64_e32 v[10:11], v[10:11], v[14:15]
	v_mul_f64 v[14:15], v[12:13], v[10:11]
	v_fma_f64 v[8:9], -v[8:9], v[14:15], v[12:13]
	v_div_fmas_f64 v[8:9], v[8:9], v[10:11], v[14:15]
	v_div_fixup_f64 v[10:11], v[8:9], v[6:7], -v[4:5]
	v_fma_f64 v[8:9], v[10:11], v[10:11], 1.0
	v_cmp_gt_f64_e32 vcc, s[30:31], v[8:9]
	v_cndmask_b32_e64 v3, 0, 1, vcc
	v_lshlrev_b32_e32 v3, 8, v3
	v_ldexp_f64 v[8:9], v[8:9], v3
	v_rsq_f64_e32 v[12:13], v[8:9]
	s_and_b64 s[88:89], vcc, exec
	s_cselect_b32 s88, 0xffffff80, 0
	v_cmp_class_f64_e32 vcc, v[8:9], v25
	v_mul_f64 v[14:15], v[8:9], v[12:13]
	v_mul_f64 v[12:13], v[12:13], 0.5
	v_fma_f64 v[28:29], -v[12:13], v[14:15], 0.5
	v_fmac_f64_e32 v[14:15], v[14:15], v[28:29]
	v_fmac_f64_e32 v[12:13], v[12:13], v[28:29]
	v_fma_f64 v[28:29], -v[14:15], v[14:15], v[8:9]
	v_fmac_f64_e32 v[14:15], v[28:29], v[12:13]
	v_fma_f64 v[28:29], -v[14:15], v[14:15], v[8:9]
	v_fmac_f64_e32 v[14:15], v[28:29], v[12:13]
	v_ldexp_f64 v[12:13], v[14:15], s88
	v_cndmask_b32_e32 v9, v13, v9, vcc
	v_cndmask_b32_e32 v8, v12, v8, vcc
	v_div_scale_f64 v[12:13], s[88:89], v[8:9], v[8:9], 1.0
	v_rcp_f64_e32 v[14:15], v[12:13]
	v_fma_f64 v[28:29], -v[12:13], v[14:15], 1.0
	v_fmac_f64_e32 v[14:15], v[14:15], v[28:29]
	v_fma_f64 v[28:29], -v[12:13], v[14:15], 1.0
	v_fmac_f64_e32 v[14:15], v[14:15], v[28:29]
	v_div_scale_f64 v[28:29], vcc, 1.0, v[8:9], 1.0
	v_mul_f64 v[30:31], v[28:29], v[14:15]
	v_fma_f64 v[12:13], -v[12:13], v[30:31], v[28:29]
	s_nop 1
	v_div_fmas_f64 v[12:13], v[12:13], v[14:15], v[30:31]
	v_div_fixup_f64 v[8:9], v[12:13], v[8:9], 1.0
	v_mul_f64 v[10:11], v[10:11], v[8:9]
	s_cbranch_execz .LBB95_145
	s_branch .LBB95_146
.LBB95_142:                             ;   in Loop: Header=BB95_124 Depth=2
	v_mov_b32_e32 v8, 0
	v_mov_b32_e32 v9, 0x3ff00000
	s_branch .LBB95_148
.LBB95_143:                             ;   in Loop: Header=BB95_124 Depth=2
                                        ; implicit-def: $vgpr6_vgpr7
                                        ; implicit-def: $vgpr10_vgpr11
                                        ; implicit-def: $vgpr8_vgpr9
	s_cbranch_execnz .LBB95_147
	s_branch .LBB95_148
.LBB95_144:                             ;   in Loop: Header=BB95_124 Depth=2
                                        ; implicit-def: $vgpr10_vgpr11
                                        ; implicit-def: $vgpr8_vgpr9
.LBB95_145:                             ;   in Loop: Header=BB95_124 Depth=2
	v_div_scale_f64 v[8:9], s[88:89], v[4:5], v[4:5], -v[6:7]
	v_rcp_f64_e32 v[10:11], v[8:9]
	v_div_scale_f64 v[12:13], vcc, -v[6:7], v[4:5], -v[6:7]
	v_fma_f64 v[14:15], -v[8:9], v[10:11], 1.0
	v_fmac_f64_e32 v[10:11], v[10:11], v[14:15]
	v_fma_f64 v[14:15], -v[8:9], v[10:11], 1.0
	v_fmac_f64_e32 v[10:11], v[10:11], v[14:15]
	v_mul_f64 v[14:15], v[12:13], v[10:11]
	v_fma_f64 v[8:9], -v[8:9], v[14:15], v[12:13]
	v_div_fmas_f64 v[8:9], v[8:9], v[10:11], v[14:15]
	v_div_fixup_f64 v[8:9], v[8:9], v[4:5], -v[6:7]
	v_fma_f64 v[10:11], v[8:9], v[8:9], 1.0
	v_cmp_gt_f64_e32 vcc, s[30:31], v[10:11]
	v_cndmask_b32_e64 v3, 0, 1, vcc
	v_lshlrev_b32_e32 v3, 8, v3
	v_ldexp_f64 v[10:11], v[10:11], v3
	v_rsq_f64_e32 v[12:13], v[10:11]
	s_and_b64 s[88:89], vcc, exec
	s_cselect_b32 s88, 0xffffff80, 0
	v_cmp_class_f64_e32 vcc, v[10:11], v25
	v_mul_f64 v[14:15], v[10:11], v[12:13]
	v_mul_f64 v[12:13], v[12:13], 0.5
	v_fma_f64 v[28:29], -v[12:13], v[14:15], 0.5
	v_fmac_f64_e32 v[14:15], v[14:15], v[28:29]
	v_fmac_f64_e32 v[12:13], v[12:13], v[28:29]
	v_fma_f64 v[28:29], -v[14:15], v[14:15], v[10:11]
	v_fmac_f64_e32 v[14:15], v[28:29], v[12:13]
	v_fma_f64 v[28:29], -v[14:15], v[14:15], v[10:11]
	v_fmac_f64_e32 v[14:15], v[28:29], v[12:13]
	v_ldexp_f64 v[12:13], v[14:15], s88
	v_cndmask_b32_e32 v11, v13, v11, vcc
	v_cndmask_b32_e32 v10, v12, v10, vcc
	v_div_scale_f64 v[12:13], s[88:89], v[10:11], v[10:11], 1.0
	v_rcp_f64_e32 v[14:15], v[12:13]
	v_fma_f64 v[28:29], -v[12:13], v[14:15], 1.0
	v_fmac_f64_e32 v[14:15], v[14:15], v[28:29]
	v_fma_f64 v[28:29], -v[12:13], v[14:15], 1.0
	v_fmac_f64_e32 v[14:15], v[14:15], v[28:29]
	v_div_scale_f64 v[28:29], vcc, 1.0, v[10:11], 1.0
	v_mul_f64 v[30:31], v[28:29], v[14:15]
	v_fma_f64 v[12:13], -v[12:13], v[30:31], v[28:29]
	s_nop 1
	v_div_fmas_f64 v[12:13], v[12:13], v[14:15], v[30:31]
	v_div_fixup_f64 v[10:11], v[12:13], v[10:11], 1.0
	v_mul_f64 v[8:9], v[8:9], v[10:11]
.LBB95_146:                             ;   in Loop: Header=BB95_124 Depth=2
	v_mul_f64 v[12:13], v[4:5], v[10:11]
	v_fma_f64 v[6:7], v[6:7], v[8:9], -v[12:13]
	s_branch .LBB95_148
.LBB95_147:                             ;   in Loop: Header=BB95_124 Depth=2
	v_mov_b32_e32 v10, 0
	v_xor_b32_e32 v7, 0x80000000, v5
	v_mov_b32_e32 v6, v4
	v_pk_mov_b32 v[8:9], 0, 0
	v_mov_b32_e32 v11, 0x3ff00000
.LBB95_148:                             ;   in Loop: Header=BB95_124 Depth=2
	global_store_dwordx2 v2, v[6:7], s[62:63]
	global_load_dwordx2 v[12:13], v2, s[86:87]
	s_nop 0
	global_load_dwordx2 v[6:7], v2, s[38:39]
	s_cmp_ge_i32 s93, s65
	s_waitcnt vmcnt(1)
	v_mul_f64 v[14:15], v[8:9], v[12:13]
	s_waitcnt vmcnt(0)
	v_fmac_f64_e32 v[14:15], v[10:11], v[6:7]
	global_store_dwordx2 v2, v[14:15], s[86:87]
	s_cbranch_scc0 .LBB95_151
; %bb.149:                              ;   in Loop: Header=BB95_124 Depth=2
	s_and_b64 vcc, exec, s[14:15]
	s_cbranch_vccz .LBB95_152
.LBB95_150:                             ;   in Loop: Header=BB95_124 Depth=2
	s_andn2_b64 vcc, exec, s[84:85]
	s_cbranch_vccnz .LBB95_123
	s_branch .LBB95_153
.LBB95_151:                             ;   in Loop: Header=BB95_124 Depth=2
	s_add_u32 s38, s29, s78
	s_addc_u32 s39, s67, s79
	global_load_dwordx2 v[14:15], v2, s[38:39]
	s_waitcnt vmcnt(0)
	v_mul_f64 v[4:5], v[14:15], -v[10:11]
	v_mul_f64 v[14:15], v[8:9], v[14:15]
	global_store_dwordx2 v2, v[14:15], s[38:39]
	s_and_b64 vcc, exec, s[14:15]
	s_cbranch_vccnz .LBB95_150
.LBB95_152:                             ;   in Loop: Header=BB95_124 Depth=2
	s_add_u32 s38, s91, s78
	s_addc_u32 s39, s28, s79
	s_add_u32 s62, s71, s78
	s_addc_u32 s63, s90, s79
	global_store_dwordx2 v2, v[8:9], s[38:39]
	global_store_dwordx2 v2, v[10:11], s[62:63]
	s_andn2_b64 vcc, exec, s[84:85]
	s_cbranch_vccnz .LBB95_123
.LBB95_153:                             ;   in Loop: Header=BB95_124 Depth=2
	s_add_u32 s38, s94, s78
	s_addc_u32 s39, s95, s79
	s_add_u32 s62, s75, s78
	s_addc_u32 s63, s92, s79
	global_store_dwordx2 v2, v[8:9], s[38:39]
	global_store_dwordx2 v2, v[10:11], s[62:63]
	s_branch .LBB95_123
.LBB95_154:                             ;   in Loop: Header=BB95_11 Depth=1
	v_readlane_b32 s82, v36, 22
	v_readlane_b32 s83, v36, 23
	s_branch .LBB95_156
.LBB95_155:                             ;   in Loop: Header=BB95_11 Depth=1
	v_readlane_b32 s82, v36, 22
	v_readlane_b32 s83, v36, 23
	;; [unrolled: 1-line block ×3, first 2 shown]
.LBB95_156:                             ;   in Loop: Header=BB95_11 Depth=1
	v_readlane_b32 s90, v36, 24
	v_readlane_b32 s92, v36, 26
	;; [unrolled: 1-line block ×6, first 2 shown]
.LBB95_157:                             ;   in Loop: Header=BB95_11 Depth=1
	s_and_b64 s[12:13], s[76:77], exec
	s_cselect_b32 s12, s65, 0
	s_ashr_i32 s13, s12, 31
	s_lshl_b64 s[12:13], s[12:13], 3
	s_add_u32 s10, s10, s12
	s_addc_u32 s11, s11, s13
	global_store_dwordx2 v2, v[6:7], s[10:11]
.LBB95_158:                             ;   in Loop: Header=BB95_11 Depth=1
	s_or_b64 exec, exec, s[4:5]
	s_andn2_b64 vcc, exec, s[82:83]
	s_barrier
	s_cbranch_vccnz .LBB95_166
; %bb.159:                              ;   in Loop: Header=BB95_11 Depth=1
	s_and_saveexec_b64 s[12:13], s[90:91]
	s_cbranch_execz .LBB95_165
; %bb.160:                              ;   in Loop: Header=BB95_11 Depth=1
	s_load_dword s5, s[92:93], 0xc
	s_add_u32 s10, s34, s68
	s_addc_u32 s11, s35, s69
	s_add_i32 s4, s40, -1
	s_cmp_eq_u32 s70, 0
	s_cselect_b32 s28, s40, 0
	s_cselect_b32 s4, s4, 0
	s_cmp_gt_i32 s40, 0
	s_cselect_b64 s[14:15], -1, 0
	s_waitcnt lgkmcnt(0)
	s_and_b32 s29, s5, 0xffff
	s_ashr_i32 s5, s4, 31
	s_lshl_b64 s[4:5], s[4:5], 3
	s_lshl_b64 s[38:39], s[72:73], 3
	s_add_u32 s56, s4, s38
	s_addc_u32 s57, s5, s39
	s_add_u32 s42, s8, s56
	s_addc_u32 s43, s9, s57
	s_lshl_b32 s59, s70, 1
	s_add_i32 s38, s59, -2
	s_ashr_i32 s39, s38, 31
	s_lshl_b64 s[62:63], s[38:39], 3
	s_ashr_i32 s65, s64, 31
	s_or_b32 s62, s62, 8
	s_lshl_b64 s[4:5], s[64:65], 3
	s_add_u32 s4, s56, s4
	s_addc_u32 s5, s57, s5
	s_sub_u32 s4, s4, s68
	s_subb_u32 s5, s5, s69
	v_readlane_b32 s56, v36, 20
	s_add_u32 s56, s56, s4
	v_readlane_b32 s4, v36, 21
	s_addc_u32 s57, s4, s5
	s_add_i32 s59, s59, s28
	v_add_u32_e32 v4, s28, v21
	s_mul_i32 s58, s47, s29
	s_not_b64 s[76:77], s[38:39]
	v_add_u32_e32 v6, s59, v22
	s_or_b32 s38, s38, 1
	s_mov_b64 s[78:79], 0
	v_mov_b32_e32 v3, v0
	s_branch .LBB95_162
.LBB95_161:                             ;   in Loop: Header=BB95_162 Depth=2
	v_lshlrev_b64 v[10:11], 3, v[10:11]
	v_mov_b32_e32 v5, s11
	v_add_co_u32_e32 v10, vcc, s10, v10
	v_addc_co_u32_e32 v11, vcc, v5, v11, vcc
	v_add_u32_e32 v3, s29, v3
	v_cmp_le_i32_e32 vcc, s49, v3
	v_add_u32_e32 v4, s58, v4
	s_or_b64 s[78:79], vcc, s[78:79]
	v_add_u32_e32 v6, s58, v6
	s_waitcnt vmcnt(0) lgkmcnt(0)
	flat_store_dwordx2 v[10:11], v[8:9]
	s_andn2_b64 exec, exec, s[78:79]
	s_cbranch_execz .LBB95_165
.LBB95_162:                             ;   Parent Loop BB95_11 Depth=1
                                        ; =>  This Loop Header: Depth=2
                                        ;       Child Loop BB95_164 Depth 3
	v_mul_lo_u32 v5, v3, s47
	v_add_u32_e32 v10, s28, v5
	v_ashrrev_i32_e32 v11, 31, v10
	v_lshlrev_b64 v[8:9], 3, v[10:11]
	v_mov_b32_e32 v5, s11
	v_add_co_u32_e32 v8, vcc, s10, v8
	v_addc_co_u32_e32 v9, vcc, v5, v9, vcc
	flat_load_dwordx2 v[8:9], v[8:9]
	s_andn2_b64 vcc, exec, s[14:15]
	s_cbranch_vccnz .LBB95_161
; %bb.163:                              ;   in Loop: Header=BB95_162 Depth=2
	v_ashrrev_i32_e32 v5, 31, v4
	v_lshlrev_b64 v[10:11], 3, v[4:5]
	v_mov_b32_e32 v13, s11
	v_add_co_u32_e32 v5, vcc, s10, v10
	v_addc_co_u32_e32 v12, vcc, v13, v11, vcc
	v_ashrrev_i32_e32 v7, 31, v6
	v_mov_b32_e32 v11, s77
	v_add_co_u32_e32 v10, vcc, s76, v6
	v_addc_co_u32_e32 v11, vcc, v11, v7, vcc
	v_lshlrev_b64 v[14:15], 3, v[6:7]
	v_add_co_u32_e32 v7, vcc, s10, v14
	v_addc_co_u32_e32 v13, vcc, v13, v15, vcc
	s_mov_b64 s[80:81], 0
	s_mov_b32 s59, s40
.LBB95_164:                             ;   Parent Loop BB95_11 Depth=1
                                        ;     Parent Loop BB95_162 Depth=2
                                        ; =>    This Inner Loop Header: Depth=3
	s_add_u32 s4, s42, s80
	v_mov_b32_e32 v27, s81
	v_add_co_u32_e32 v14, vcc, s80, v7
	s_addc_u32 s5, s43, s81
	v_addc_co_u32_e32 v15, vcc, v13, v27, vcc
	s_add_u32 s60, s56, s80
	flat_load_dwordx2 v[14:15], v[14:15]
	s_addc_u32 s61, s57, s81
	global_load_dwordx2 v[28:29], v2, s[60:61]
	global_load_dwordx2 v[30:31], v2, s[4:5] offset:32
	v_mov_b32_e32 v34, s39
	v_add_co_u32_e32 v10, vcc, s38, v10
	s_add_i32 s59, s59, -1
	v_add_co_u32_e64 v32, s[4:5], s80, v5
	v_addc_co_u32_e32 v11, vcc, v11, v34, vcc
	s_add_u32 s80, s80, s62
	s_addc_u32 s81, s81, s63
	v_addc_co_u32_e64 v33, s[4:5], v12, v27, s[4:5]
	s_cmp_eq_u32 s59, 0
	s_waitcnt vmcnt(0) lgkmcnt(0)
	v_mul_f64 v[34:35], v[14:15], v[28:29]
	v_fma_f64 v[34:35], v[8:9], v[30:31], -v[34:35]
	v_mul_f64 v[8:9], v[8:9], v[28:29]
	v_fmac_f64_e32 v[8:9], v[14:15], v[30:31]
	flat_store_dwordx2 v[32:33], v[34:35]
	s_cbranch_scc0 .LBB95_164
	s_branch .LBB95_161
.LBB95_165:                             ;   in Loop: Header=BB95_11 Depth=1
	s_or_b64 exec, exec, s[12:13]
.LBB95_166:                             ;   in Loop: Header=BB95_11 Depth=1
	s_andn2_b64 vcc, exec, s[94:95]
	s_cbranch_vccnz .LBB95_174
; %bb.167:                              ;   in Loop: Header=BB95_11 Depth=1
	s_mov_b64 s[4:5], exec
	v_readlane_b32 s10, v36, 4
	v_readlane_b32 s11, v36, 5
	s_and_b64 s[10:11], s[4:5], s[10:11]
	s_mov_b64 exec, s[10:11]
	s_cbranch_execz .LBB95_173
; %bb.168:                              ;   in Loop: Header=BB95_11 Depth=1
	s_mul_i32 s10, s66, s23
	s_ashr_i32 s11, s10, 31
	s_lshl_b64 s[10:11], s[10:11], 3
	s_add_u32 s10, s52, s10
	s_addc_u32 s11, s53, s11
	s_add_i32 s12, s40, -1
	s_load_dword s15, s[92:93], 0xc
	s_cmp_eq_u32 s70, 0
	s_cselect_b32 s12, s12, 0
	s_cselect_b32 s57, s40, 0
	s_add_i32 s14, s12, s41
	s_cmp_gt_i32 s40, 0
	s_cselect_b64 s[12:13], -1, 0
	s_waitcnt lgkmcnt(0)
	s_and_b32 s29, s15, 0xffff
	s_ashr_i32 s15, s14, 31
	s_lshl_b64 s[38:39], s[72:73], 3
	s_lshl_b64 s[14:15], s[14:15], 3
	s_add_u32 s14, s38, s14
	s_addc_u32 s15, s39, s15
	s_add_u32 s14, s8, s14
	s_addc_u32 s15, s9, s15
	s_lshl_b32 s58, s70, 1
	s_add_i32 s38, s58, -2
	s_ashr_i32 s39, s38, 31
	s_lshl_b64 s[38:39], s[38:39], 3
	s_ashr_i32 s65, s64, 31
	s_or_b32 s38, s38, 8
	s_lshl_b64 s[42:43], s[64:65], 3
	s_sub_u32 s42, s42, s68
	s_subb_u32 s43, s43, s69
	s_add_u32 s42, s42, 40
	s_mul_i32 s28, s57, s23
	s_addc_u32 s43, s43, 0
	s_add_i32 s57, s57, s58
	s_add_i32 s57, s57, -1
	s_mul_i32 s57, s23, s57
	v_add_u32_e32 v3, s28, v0
	s_mul_i32 s56, s23, s74
	v_add_u32_e32 v8, s57, v0
	s_mov_b64 s[62:63], 0
	v_mov_b32_e32 v9, v0
	s_branch .LBB95_170
.LBB95_169:                             ;   in Loop: Header=BB95_170 Depth=2
	v_lshlrev_b64 v[6:7], 3, v[6:7]
	v_mov_b32_e32 v10, s11
	v_add_co_u32_e32 v6, vcc, s10, v6
	v_addc_co_u32_e32 v7, vcc, v10, v7, vcc
	v_add_u32_e32 v9, s29, v9
	v_cmp_le_i32_e32 vcc, s50, v9
	v_add_u32_e32 v3, s29, v3
	s_or_b64 s[62:63], vcc, s[62:63]
	v_add_u32_e32 v8, s29, v8
	s_waitcnt vmcnt(0) lgkmcnt(0)
	flat_store_dwordx2 v[6:7], v[4:5]
	s_andn2_b64 exec, exec, s[62:63]
	s_cbranch_execz .LBB95_173
.LBB95_170:                             ;   Parent Loop BB95_11 Depth=1
                                        ; =>  This Loop Header: Depth=2
                                        ;       Child Loop BB95_172 Depth 3
	v_add_u32_e32 v6, s28, v9
	v_ashrrev_i32_e32 v7, 31, v6
	v_lshlrev_b64 v[4:5], 3, v[6:7]
	v_mov_b32_e32 v10, s11
	v_add_co_u32_e32 v4, vcc, s10, v4
	v_addc_co_u32_e32 v5, vcc, v10, v5, vcc
	flat_load_dwordx2 v[4:5], v[4:5]
	s_andn2_b64 vcc, exec, s[12:13]
	s_cbranch_vccnz .LBB95_169
; %bb.171:                              ;   in Loop: Header=BB95_170 Depth=2
	s_mov_b32 s57, 0
	s_mov_b64 s[66:67], s[14:15]
	s_mov_b32 s58, s40
.LBB95_172:                             ;   Parent Loop BB95_11 Depth=1
                                        ;     Parent Loop BB95_170 Depth=2
                                        ; =>    This Inner Loop Header: Depth=3
	v_add_u32_e32 v6, s57, v8
	v_ashrrev_i32_e32 v7, 31, v6
	s_add_u32 s60, s66, s42
	v_lshlrev_b64 v[10:11], 3, v[6:7]
	v_mov_b32_e32 v27, s11
	s_addc_u32 s61, s67, s43
	v_add_co_u32_e32 v10, vcc, s10, v10
	global_load_dwordx2 v[12:13], v2, s[60:61]
	v_addc_co_u32_e32 v11, vcc, v27, v11, vcc
	flat_load_dwordx2 v[10:11], v[10:11]
	s_nop 0
	global_load_dwordx2 v[14:15], v2, s[66:67] offset:32
	v_add_u32_e32 v28, s57, v3
	v_ashrrev_i32_e32 v29, 31, v28
	s_add_i32 s58, s58, -1
	v_lshlrev_b64 v[28:29], 3, v[28:29]
	s_add_u32 s66, s66, s38
	s_addc_u32 s67, s67, s39
	s_add_i32 s57, s57, s56
	v_add_co_u32_e32 v28, vcc, s10, v28
	v_addc_co_u32_e32 v29, vcc, v27, v29, vcc
	s_cmp_eq_u32 s58, 0
	s_waitcnt vmcnt(0) lgkmcnt(0)
	v_mul_f64 v[30:31], v[10:11], v[12:13]
	v_fma_f64 v[30:31], v[4:5], v[14:15], -v[30:31]
	v_mul_f64 v[4:5], v[4:5], v[12:13]
	v_fmac_f64_e32 v[4:5], v[10:11], v[14:15]
	flat_store_dwordx2 v[28:29], v[30:31]
	s_cbranch_scc0 .LBB95_172
	s_branch .LBB95_169
.LBB95_173:                             ;   in Loop: Header=BB95_11 Depth=1
	s_or_b64 exec, exec, s[4:5]
.LBB95_174:                             ;   in Loop: Header=BB95_11 Depth=1
	v_readlane_b32 s4, v36, 6
	v_readlane_b32 s5, v36, 7
	s_andn2_b64 vcc, exec, s[4:5]
	s_cbranch_vccnz .LBB95_10
; %bb.175:                              ;   in Loop: Header=BB95_11 Depth=1
	s_mov_b64 s[12:13], exec
	v_readlane_b32 s4, v36, 8
	v_readlane_b32 s5, v36, 9
	s_and_b64 s[4:5], s[12:13], s[4:5]
	s_mov_b64 exec, s[4:5]
	s_cbranch_execz .LBB95_9
; %bb.176:                              ;   in Loop: Header=BB95_11 Depth=1
	s_add_u32 s10, s44, s68
	s_addc_u32 s11, s45, s69
	s_add_i32 s4, s40, -1
	s_load_dword s5, s[92:93], 0xc
	s_cmp_eq_u32 s70, 0
	s_cselect_b32 s4, s4, 0
	s_cselect_b32 s28, s40, 0
	s_add_i32 s4, s4, s41
	s_cmp_gt_i32 s40, 0
	s_cselect_b64 s[14:15], -1, 0
	s_waitcnt lgkmcnt(0)
	s_and_b32 s29, s5, 0xffff
	s_ashr_i32 s5, s4, 31
	s_lshl_b64 s[38:39], s[72:73], 3
	s_lshl_b64 s[4:5], s[4:5], 3
	s_add_u32 s43, s38, s4
	s_addc_u32 s56, s39, s5
	s_add_u32 s41, s8, s43
	s_addc_u32 s42, s9, s56
	s_lshl_b32 s58, s70, 1
	s_add_i32 s38, s58, -2
	s_ashr_i32 s39, s38, 31
	s_lshl_b64 s[62:63], s[38:39], 3
	s_ashr_i32 s65, s64, 31
	s_or_b32 s62, s62, 8
	s_lshl_b64 s[4:5], s[64:65], 3
	s_add_u32 s4, s43, s4
	s_addc_u32 s5, s56, s5
	s_sub_u32 s4, s4, s68
	s_subb_u32 s5, s5, s69
	v_readlane_b32 s43, v36, 20
	s_add_u32 s43, s43, s4
	v_readlane_b32 s4, v36, 21
	s_addc_u32 s56, s4, s5
	s_add_i32 s58, s58, s28
	v_add_u32_e32 v4, s28, v23
	s_mul_i32 s57, s21, s29
	s_not_b64 s[64:65], s[38:39]
	v_add_u32_e32 v6, s58, v24
	s_or_b32 s38, s38, 1
	s_mov_b64 s[66:67], 0
	v_mov_b32_e32 v3, v0
	s_branch .LBB95_178
.LBB95_177:                             ;   in Loop: Header=BB95_178 Depth=2
	v_lshlrev_b64 v[10:11], 3, v[10:11]
	v_mov_b32_e32 v5, s11
	v_add_co_u32_e32 v10, vcc, s10, v10
	v_addc_co_u32_e32 v11, vcc, v5, v11, vcc
	v_add_u32_e32 v3, s29, v3
	v_cmp_le_i32_e32 vcc, s51, v3
	v_add_u32_e32 v4, s57, v4
	s_or_b64 s[66:67], vcc, s[66:67]
	v_add_u32_e32 v6, s57, v6
	s_waitcnt vmcnt(0) lgkmcnt(0)
	flat_store_dwordx2 v[10:11], v[8:9]
	s_andn2_b64 exec, exec, s[66:67]
	s_cbranch_execz .LBB95_9
.LBB95_178:                             ;   Parent Loop BB95_11 Depth=1
                                        ; =>  This Loop Header: Depth=2
                                        ;       Child Loop BB95_180 Depth 3
	v_mul_lo_u32 v5, v3, s21
	v_add_u32_e32 v10, s28, v5
	v_ashrrev_i32_e32 v11, 31, v10
	v_lshlrev_b64 v[8:9], 3, v[10:11]
	v_mov_b32_e32 v5, s11
	v_add_co_u32_e32 v8, vcc, s10, v8
	v_addc_co_u32_e32 v9, vcc, v5, v9, vcc
	flat_load_dwordx2 v[8:9], v[8:9]
	s_andn2_b64 vcc, exec, s[14:15]
	s_cbranch_vccnz .LBB95_177
; %bb.179:                              ;   in Loop: Header=BB95_178 Depth=2
	v_ashrrev_i32_e32 v5, 31, v4
	v_lshlrev_b64 v[10:11], 3, v[4:5]
	v_mov_b32_e32 v13, s11
	v_add_co_u32_e32 v5, vcc, s10, v10
	v_addc_co_u32_e32 v12, vcc, v13, v11, vcc
	v_ashrrev_i32_e32 v7, 31, v6
	v_mov_b32_e32 v11, s65
	v_add_co_u32_e32 v10, vcc, s64, v6
	v_addc_co_u32_e32 v11, vcc, v11, v7, vcc
	v_lshlrev_b64 v[14:15], 3, v[6:7]
	v_add_co_u32_e32 v7, vcc, s10, v14
	v_addc_co_u32_e32 v13, vcc, v13, v15, vcc
	s_mov_b64 s[68:69], 0
	s_mov_b32 s58, s40
.LBB95_180:                             ;   Parent Loop BB95_11 Depth=1
                                        ;     Parent Loop BB95_178 Depth=2
                                        ; =>    This Inner Loop Header: Depth=3
	s_add_u32 s4, s41, s68
	s_addc_u32 s5, s42, s69
	v_mov_b32_e32 v27, s69
	v_add_co_u32_e32 v14, vcc, s68, v7
	s_add_u32 s60, s43, s68
	v_addc_co_u32_e32 v15, vcc, v13, v27, vcc
	s_addc_u32 s61, s56, s69
	flat_load_dwordx2 v[14:15], v[14:15]
	v_mov_b32_e32 v34, s39
	global_load_dwordx2 v[28:29], v2, s[4:5] offset:32
	global_load_dwordx2 v[30:31], v2, s[60:61]
	v_add_co_u32_e32 v10, vcc, s38, v10
	s_add_i32 s58, s58, -1
	v_add_co_u32_e64 v32, s[4:5], s68, v5
	v_addc_co_u32_e32 v11, vcc, v11, v34, vcc
	s_add_u32 s68, s68, s62
	s_addc_u32 s69, s69, s63
	v_addc_co_u32_e64 v33, s[4:5], v12, v27, s[4:5]
	s_cmp_eq_u32 s58, 0
	s_waitcnt vmcnt(0) lgkmcnt(0)
	v_mul_f64 v[34:35], v[14:15], v[30:31]
	v_fma_f64 v[34:35], v[8:9], v[28:29], -v[34:35]
	v_mul_f64 v[8:9], v[8:9], v[30:31]
	v_fmac_f64_e32 v[8:9], v[14:15], v[28:29]
	flat_store_dwordx2 v[32:33], v[34:35]
	s_cbranch_scc0 .LBB95_180
	s_branch .LBB95_177
.LBB95_181:
	s_endpgm
	.section	.rodata,"a",@progbits
	.p2align	6, 0x0
	.amdhsa_kernel _ZN9rocsolver6v33100L13bdsqr_computeILi256EddPKPdS2_S4_EEviiiiPT1_lS6_lT2_iilT3_iilT4_iiliS5_S5_S5_S5_PiS6_ilSA_
		.amdhsa_group_segment_fixed_size 2072
		.amdhsa_private_segment_fixed_size 0
		.amdhsa_kernarg_size 456
		.amdhsa_user_sgpr_count 6
		.amdhsa_user_sgpr_private_segment_buffer 1
		.amdhsa_user_sgpr_dispatch_ptr 0
		.amdhsa_user_sgpr_queue_ptr 0
		.amdhsa_user_sgpr_kernarg_segment_ptr 1
		.amdhsa_user_sgpr_dispatch_id 0
		.amdhsa_user_sgpr_flat_scratch_init 0
		.amdhsa_user_sgpr_kernarg_preload_length 0
		.amdhsa_user_sgpr_kernarg_preload_offset 0
		.amdhsa_user_sgpr_private_segment_size 0
		.amdhsa_uses_dynamic_stack 0
		.amdhsa_system_sgpr_private_segment_wavefront_offset 0
		.amdhsa_system_sgpr_workgroup_id_x 1
		.amdhsa_system_sgpr_workgroup_id_y 1
		.amdhsa_system_sgpr_workgroup_id_z 1
		.amdhsa_system_sgpr_workgroup_info 0
		.amdhsa_system_vgpr_workitem_id 0
		.amdhsa_next_free_vgpr 37
		.amdhsa_next_free_sgpr 96
		.amdhsa_accum_offset 40
		.amdhsa_reserve_vcc 1
		.amdhsa_reserve_flat_scratch 0
		.amdhsa_float_round_mode_32 0
		.amdhsa_float_round_mode_16_64 0
		.amdhsa_float_denorm_mode_32 3
		.amdhsa_float_denorm_mode_16_64 3
		.amdhsa_dx10_clamp 1
		.amdhsa_ieee_mode 1
		.amdhsa_fp16_overflow 0
		.amdhsa_tg_split 0
		.amdhsa_exception_fp_ieee_invalid_op 0
		.amdhsa_exception_fp_denorm_src 0
		.amdhsa_exception_fp_ieee_div_zero 0
		.amdhsa_exception_fp_ieee_overflow 0
		.amdhsa_exception_fp_ieee_underflow 0
		.amdhsa_exception_fp_ieee_inexact 0
		.amdhsa_exception_int_div_zero 0
	.end_amdhsa_kernel
	.section	.text._ZN9rocsolver6v33100L13bdsqr_computeILi256EddPKPdS2_S4_EEviiiiPT1_lS6_lT2_iilT3_iilT4_iiliS5_S5_S5_S5_PiS6_ilSA_,"axG",@progbits,_ZN9rocsolver6v33100L13bdsqr_computeILi256EddPKPdS2_S4_EEviiiiPT1_lS6_lT2_iilT3_iilT4_iiliS5_S5_S5_S5_PiS6_ilSA_,comdat
.Lfunc_end95:
	.size	_ZN9rocsolver6v33100L13bdsqr_computeILi256EddPKPdS2_S4_EEviiiiPT1_lS6_lT2_iilT3_iilT4_iiliS5_S5_S5_S5_PiS6_ilSA_, .Lfunc_end95-_ZN9rocsolver6v33100L13bdsqr_computeILi256EddPKPdS2_S4_EEviiiiPT1_lS6_lT2_iilT3_iilT4_iiliS5_S5_S5_S5_PiS6_ilSA_
                                        ; -- End function
	.section	.AMDGPU.csdata,"",@progbits
; Kernel info:
; codeLenInByte = 9360
; NumSgprs: 100
; NumVgprs: 37
; NumAgprs: 0
; TotalNumVgprs: 37
; ScratchSize: 0
; MemoryBound: 0
; FloatMode: 240
; IeeeMode: 1
; LDSByteSize: 2072 bytes/workgroup (compile time only)
; SGPRBlocks: 12
; VGPRBlocks: 4
; NumSGPRsForWavesPerEU: 100
; NumVGPRsForWavesPerEU: 37
; AccumOffset: 40
; Occupancy: 8
; WaveLimiterHint : 1
; COMPUTE_PGM_RSRC2:SCRATCH_EN: 0
; COMPUTE_PGM_RSRC2:USER_SGPR: 6
; COMPUTE_PGM_RSRC2:TRAP_HANDLER: 0
; COMPUTE_PGM_RSRC2:TGID_X_EN: 1
; COMPUTE_PGM_RSRC2:TGID_Y_EN: 1
; COMPUTE_PGM_RSRC2:TGID_Z_EN: 1
; COMPUTE_PGM_RSRC2:TIDIG_COMP_CNT: 0
; COMPUTE_PGM_RSRC3_GFX90A:ACCUM_OFFSET: 9
; COMPUTE_PGM_RSRC3_GFX90A:TG_SPLIT: 0
	.section	.text._ZN9rocsolver6v33100L12bdsqr_rotateIddPKPdS2_S4_EEviiiiT1_iilT2_iilT3_iiliPiPT0_ilS8_,"axG",@progbits,_ZN9rocsolver6v33100L12bdsqr_rotateIddPKPdS2_S4_EEviiiiT1_iilT2_iilT3_iiliPiPT0_ilS8_,comdat
	.globl	_ZN9rocsolver6v33100L12bdsqr_rotateIddPKPdS2_S4_EEviiiiT1_iilT2_iilT3_iiliPiPT0_ilS8_ ; -- Begin function _ZN9rocsolver6v33100L12bdsqr_rotateIddPKPdS2_S4_EEviiiiT1_iilT2_iilT3_iiliPiPT0_ilS8_
	.p2align	8
	.type	_ZN9rocsolver6v33100L12bdsqr_rotateIddPKPdS2_S4_EEviiiiT1_iilT2_iilT3_iiliPiPT0_ilS8_,@function
_ZN9rocsolver6v33100L12bdsqr_rotateIddPKPdS2_S4_EEviiiiT1_iilT2_iilT3_iiliPiPT0_ilS8_: ; @_ZN9rocsolver6v33100L12bdsqr_rotateIddPKPdS2_S4_EEviiiiT1_iilT2_iilT3_iiliPiPT0_ilS8_
; %bb.0:
	s_load_dwordx4 s[20:23], s[4:5], 0x78
	s_ashr_i32 s9, s8, 31
	s_lshl_b64 s[0:1], s[8:9], 2
	s_waitcnt lgkmcnt(0)
	s_add_u32 s0, s22, s0
	s_addc_u32 s1, s23, s1
	s_load_dword s0, s[0:1], 0x8
	s_waitcnt lgkmcnt(0)
	s_cmp_lg_u32 s0, 0
	s_cbranch_scc1 .LBB96_25
; %bb.1:
	s_load_dwordx4 s[0:3], s[4:5], 0x10
	s_add_u32 s24, s4, 0x88
	s_addc_u32 s25, s5, 0
	s_mov_b64 s[22:23], 0
	s_mov_b64 s[10:11], 0
	s_waitcnt lgkmcnt(0)
	s_cmp_eq_u64 s[0:1], 0
	s_cbranch_scc1 .LBB96_3
; %bb.2:
	s_lshl_b64 s[10:11], s[8:9], 3
	s_add_u32 s0, s0, s10
	s_addc_u32 s1, s1, s11
	s_load_dwordx2 s[0:1], s[0:1], 0x0
	s_ashr_i32 s11, s2, 31
	s_mov_b32 s10, s2
	s_lshl_b64 s[10:11], s[10:11], 3
	s_waitcnt lgkmcnt(0)
	s_add_u32 s10, s0, s10
	s_addc_u32 s11, s1, s11
.LBB96_3:
	s_load_dwordx8 s[12:19], s[4:5], 0x28
	s_waitcnt lgkmcnt(0)
	s_cmp_eq_u64 s[12:13], 0
	s_cbranch_scc1 .LBB96_5
; %bb.4:
	s_ashr_i32 s1, s14, 31
	s_mov_b32 s0, s14
	s_mul_i32 s2, s8, s17
	s_mul_hi_u32 s14, s8, s16
	s_add_i32 s2, s14, s2
	s_mul_i32 s14, s9, s16
	s_add_i32 s17, s2, s14
	s_mul_i32 s16, s8, s16
	s_lshl_b64 s[16:17], s[16:17], 3
	s_add_u32 s2, s12, s16
	s_addc_u32 s12, s13, s17
	s_lshl_b64 s[0:1], s[0:1], 3
	s_add_u32 s22, s2, s0
	s_addc_u32 s23, s12, s1
.LBB96_5:
	s_load_dwordx2 s[26:27], s[4:5], 0x48
	s_cmp_eq_u64 s[18:19], 0
	s_mov_b64 s[0:1], 0
	s_cbranch_scc1 .LBB96_7
; %bb.6:
	s_lshl_b64 s[0:1], s[8:9], 3
	s_add_u32 s0, s18, s0
	s_addc_u32 s1, s19, s1
	s_load_dwordx2 s[0:1], s[0:1], 0x0
	s_waitcnt lgkmcnt(0)
	s_ashr_i32 s13, s26, 31
	s_mov_b32 s12, s26
	s_lshl_b64 s[12:13], s[12:13], 3
	s_add_u32 s0, s0, s12
	s_addc_u32 s1, s1, s13
.LBB96_7:
	s_load_dwordx4 s[16:19], s[4:5], 0x60
	s_mul_i32 s2, s8, s21
	s_mul_hi_u32 s12, s8, s20
	s_add_i32 s2, s12, s2
	s_mul_i32 s9, s9, s20
	s_add_i32 s13, s2, s9
	s_mul_i32 s12, s8, s20
	s_lshl_b64 s[20:21], s[12:13], 3
	s_waitcnt lgkmcnt(0)
	s_add_u32 s12, s18, s20
	s_addc_u32 s13, s19, s21
	s_load_dwordx2 s[12:13], s[12:13], 0x10
	s_waitcnt lgkmcnt(0)
	v_cvt_i32_f64_e32 v6, s[12:13]
	v_cmp_ge_i32_e32 vcc, s7, v6
	s_cbranch_vccnz .LBB96_25
; %bb.8:
	s_load_dwordx4 s[28:31], s[4:5], 0x0
	s_load_dword s14, s[4:5], 0x58
	s_load_dword s2, s[4:5], 0x94
	;; [unrolled: 1-line block ×3, first 2 shown]
	v_mov_b32_e32 v10, 0
	s_waitcnt lgkmcnt(0)
	s_mul_i32 s4, s8, s28
	s_lshl_b32 s4, s4, 1
	s_ashr_i32 s5, s4, 31
	s_lshl_b64 s[4:5], s[4:5], 2
	s_add_u32 s36, s16, s4
	s_addc_u32 s37, s17, s5
	s_and_b32 s2, 0xffff, s2
	s_mul_i32 s6, s6, s2
	s_cmp_eq_u32 s29, 0
	v_add_u32_e32 v7, s6, v0
	s_cselect_b64 s[4:5], -1, 0
	s_cmp_lg_u64 s[10:11], 0
	s_cselect_b64 s[8:9], -1, 0
	v_cmp_gt_i32_e32 vcc, s29, v7
	s_and_b64 s[8:9], vcc, s[8:9]
	s_cmp_lg_u64 s[22:23], 0
	v_mul_lo_u32 v8, v7, s3
	s_cselect_b64 s[2:3], -1, 0
	v_cmp_gt_i32_e32 vcc, s30, v7
	s_and_b64 s[2:3], vcc, s[2:3]
	s_cmp_lg_u64 s[0:1], 0
	s_cselect_b64 s[12:13], -1, 0
	v_cmp_gt_i32_e32 vcc, s31, v7
	s_and_b64 s[12:13], vcc, s[12:13]
	s_load_dword s6, s[24:25], 0x4
	s_add_u32 s38, s18, s20
	s_addc_u32 s39, s19, s21
	s_add_u32 s40, s38, 40
	v_mul_lo_u32 v9, v7, s27
	s_addc_u32 s41, s39, 0
	s_branch .LBB96_12
.LBB96_9:                               ;   in Loop: Header=BB96_12 Depth=1
	v_mov_b32_e32 v2, s21
	v_subrev_co_u32_e32 v3, vcc, s20, v4
	s_add_u32 s16, s18, s0
	v_subb_co_u32_e32 v4, vcc, v5, v2, vcc
	s_addc_u32 s17, s19, s1
	v_mov_b32_e32 v5, s17
	v_add_co_u32_e32 v2, vcc, s16, v3
	v_addc_co_u32_e32 v3, vcc, v5, v4, vcc
	flat_store_dwordx2 v[2:3], v[0:1]
.LBB96_10:                              ;   in Loop: Header=BB96_12 Depth=1
	s_or_b64 exec, exec, s[28:29]
.LBB96_11:                              ;   in Loop: Header=BB96_12 Depth=1
	s_add_i32 s7, s6, s7
	v_cmp_lt_i32_e32 vcc, s7, v6
	s_cbranch_vccz .LBB96_25
.LBB96_12:                              ; =>This Loop Header: Depth=1
                                        ;     Child Loop BB96_16 Depth 2
                                        ;     Child Loop BB96_20 Depth 2
	;; [unrolled: 1-line block ×3, first 2 shown]
	s_lshl_b32 s16, s7, 2
	s_ashr_i32 s17, s16, 31
	s_lshl_b64 s[16:17], s[16:17], 2
	s_add_u32 s16, s36, s16
	s_addc_u32 s17, s37, s17
	s_load_dwordx2 s[18:19], s[16:17], 0x0
	s_load_dword s24, s[16:17], 0x8
	s_waitcnt lgkmcnt(0)
	s_cmp_le_i32 s24, s19
	s_cbranch_scc1 .LBB96_11
; %bb.13:                               ;   in Loop: Header=BB96_12 Depth=1
	s_load_dword s16, s[16:17], 0xc
	s_waitcnt lgkmcnt(0)
	s_cmp_lt_i32 s16, s14
	s_cselect_b64 s[16:17], -1, 0
	s_cmp_lg_u32 s18, 0
	s_cselect_b64 s[20:21], -1, 0
	s_and_b64 s[16:17], s[16:17], s[20:21]
	s_andn2_b64 vcc, exec, s[16:17]
	s_cbranch_vccnz .LBB96_11
; %bb.14:                               ;   in Loop: Header=BB96_12 Depth=1
	s_mul_i32 s20, s19, s33
	s_ashr_i32 s21, s20, 31
	s_cmp_gt_i32 s18, 0
	s_cselect_b64 s[26:27], -1, 0
	s_sub_i32 s16, s24, s19
	s_and_saveexec_b64 s[28:29], s[8:9]
	s_cbranch_execz .LBB96_18
; %bb.15:                               ;   in Loop: Header=BB96_12 Depth=1
	s_and_b64 s[30:31], s[26:27], exec
	s_cselect_b32 s17, s19, s24
	v_add_u32_e32 v4, s17, v8
	v_ashrrev_i32_e32 v5, 31, v4
	v_lshlrev_b64 v[0:1], 3, v[4:5]
	v_mov_b32_e32 v12, s11
	v_add_co_u32_e32 v2, vcc, s10, v0
	v_addc_co_u32_e32 v3, vcc, v12, v1, vcc
	flat_load_dwordx2 v[0:1], v[2:3]
	s_add_i32 s17, s16, -1
	s_and_b64 s[30:31], s[26:27], exec
	s_cselect_b32 s30, 0, s17
	s_ashr_i32 s31, s30, 31
	s_lshl_b64 s[30:31], s[30:31], 3
	s_lshl_b64 s[34:35], s[20:21], 3
	s_add_u32 s43, s30, s34
	s_addc_u32 s44, s31, s35
	s_add_u32 s17, s38, s43
	s_addc_u32 s42, s39, s44
	s_ashr_i32 s31, s18, 31
	s_mov_b32 s30, s18
	s_ashr_i32 s25, s24, 31
	s_lshl_b64 s[30:31], s[30:31], 3
	s_lshl_b64 s[34:35], s[24:25], 3
	s_add_u32 s25, s43, s34
	s_addc_u32 s43, s44, s35
	s_ashr_i32 s35, s19, 31
	s_mov_b32 s34, s19
	s_lshl_b64 s[34:35], s[34:35], 3
	v_add_u32_e32 v4, s18, v4
	s_sub_u32 s25, s25, s34
	v_ashrrev_i32_e32 v5, 31, v4
	s_subb_u32 s34, s43, s35
	v_lshlrev_b64 v[4:5], 3, v[4:5]
	s_add_u32 s25, s40, s25
	v_add_co_u32_e32 v11, vcc, s10, v4
	s_addc_u32 s43, s41, s34
	v_addc_co_u32_e32 v12, vcc, v12, v5, vcc
	s_mov_b64 s[34:35], 0
	s_mov_b32 s44, s16
.LBB96_16:                              ;   Parent Loop BB96_12 Depth=1
                                        ; =>  This Inner Loop Header: Depth=2
	s_add_u32 s46, s17, s34
	s_addc_u32 s47, s42, s35
	v_mov_b32_e32 v13, s35
	v_add_co_u32_e32 v14, vcc, s34, v11
	s_add_u32 s48, s25, s34
	v_addc_co_u32_e32 v15, vcc, v12, v13, vcc
	s_addc_u32 s49, s43, s35
	flat_load_dwordx2 v[14:15], v[14:15]
	s_add_i32 s44, s44, -1
	global_load_dwordx2 v[16:17], v10, s[46:47] offset:32
	global_load_dwordx2 v[18:19], v10, s[48:49]
	v_add_co_u32_e32 v20, vcc, s34, v2
	s_add_u32 s34, s34, s30
	s_addc_u32 s35, s35, s31
	v_addc_co_u32_e32 v21, vcc, v3, v13, vcc
	s_cmp_eq_u32 s44, 0
	s_waitcnt vmcnt(0) lgkmcnt(0)
	v_mul_f64 v[22:23], v[14:15], v[18:19]
	v_fma_f64 v[22:23], v[0:1], v[16:17], -v[22:23]
	v_mul_f64 v[0:1], v[0:1], v[18:19]
	v_fmac_f64_e32 v[0:1], v[14:15], v[16:17]
	flat_store_dwordx2 v[20:21], v[22:23]
	s_cbranch_scc0 .LBB96_16
; %bb.17:                               ;   in Loop: Header=BB96_12 Depth=1
	v_mov_b32_e32 v2, s31
	v_subrev_co_u32_e32 v3, vcc, s30, v4
	s_add_u32 s17, s34, s10
	v_subb_co_u32_e32 v4, vcc, v5, v2, vcc
	s_addc_u32 s25, s35, s11
	v_mov_b32_e32 v5, s25
	v_add_co_u32_e32 v2, vcc, s17, v3
	v_addc_co_u32_e32 v3, vcc, v5, v4, vcc
	flat_store_dwordx2 v[2:3], v[0:1]
.LBB96_18:                              ;   in Loop: Header=BB96_12 Depth=1
	s_or_b64 exec, exec, s[28:29]
	s_lshl_b32 s17, s16, 1
	s_add_i32 s17, s17, 2
	s_and_b64 s[28:29], s[4:5], exec
	s_cselect_b32 s25, 0, s17
	s_and_saveexec_b64 s[28:29], s[2:3]
	s_cbranch_execz .LBB96_22
; %bb.19:                               ;   in Loop: Header=BB96_12 Depth=1
	s_and_b64 s[30:31], s[26:27], exec
	s_cselect_b32 s46, s19, s24
	s_mul_i32 s42, s46, s15
	v_add_u32_e32 v0, s42, v7
	v_ashrrev_i32_e32 v1, 31, v0
	v_lshlrev_b64 v[0:1], 3, v[0:1]
	v_mov_b32_e32 v2, s23
	v_add_co_u32_e32 v0, vcc, s22, v0
	v_addc_co_u32_e32 v1, vcc, v2, v1, vcc
	flat_load_dwordx2 v[0:1], v[0:1]
	s_add_i32 s17, s16, -1
	s_and_b64 s[30:31], s[26:27], exec
	s_cselect_b32 s17, 0, s17
	s_add_i32 s30, s25, s17
	s_ashr_i32 s31, s30, 31
	s_ashr_i32 s17, s16, 31
	s_lshl_b64 s[34:35], s[20:21], 3
	s_lshl_b64 s[30:31], s[30:31], 3
	s_add_u32 s30, s34, s30
	s_addc_u32 s31, s35, s31
	s_add_u32 s30, s38, s30
	s_addc_u32 s31, s39, s31
	s_ashr_i32 s35, s18, 31
	s_mov_b32 s34, s18
	s_lshl_b64 s[34:35], s[34:35], 3
	s_lshl_b64 s[44:45], s[16:17], 3
	s_add_u32 s17, s44, 40
	s_addc_u32 s43, s45, 0
	s_add_i32 s46, s46, s18
	s_mul_i32 s44, s15, s46
	s_mul_i32 s45, s15, s18
	v_mov_b32_e32 v4, v7
	s_mov_b32 s46, s16
.LBB96_20:                              ;   Parent Loop BB96_12 Depth=1
                                        ; =>  This Inner Loop Header: Depth=2
	v_add_u32_e32 v2, s44, v4
	v_ashrrev_i32_e32 v3, 31, v2
	v_lshlrev_b64 v[2:3], 3, v[2:3]
	v_mov_b32_e32 v5, s23
	s_add_u32 s48, s30, s17
	v_add_co_u32_e32 v2, vcc, s22, v2
	s_addc_u32 s49, s31, s43
	v_addc_co_u32_e32 v3, vcc, v5, v3, vcc
	global_load_dwordx2 v[12:13], v10, s[30:31] offset:32
	global_load_dwordx2 v[14:15], v10, s[48:49]
	flat_load_dwordx2 v[16:17], v[2:3]
	v_add_u32_e32 v18, s42, v4
	v_ashrrev_i32_e32 v19, 31, v18
	s_add_i32 s46, s46, -1
	v_lshlrev_b64 v[18:19], 3, v[18:19]
	s_add_u32 s30, s30, s34
	v_add_co_u32_e32 v18, vcc, s22, v18
	s_addc_u32 s31, s31, s35
	v_add_u32_e32 v4, s45, v4
	v_addc_co_u32_e32 v19, vcc, v5, v19, vcc
	s_cmp_eq_u32 s46, 0
	s_waitcnt vmcnt(0) lgkmcnt(0)
	v_mul_f64 v[20:21], v[16:17], v[14:15]
	v_fma_f64 v[20:21], v[0:1], v[12:13], -v[20:21]
	v_mul_f64 v[0:1], v[0:1], v[14:15]
	v_fmac_f64_e32 v[0:1], v[16:17], v[12:13]
	flat_store_dwordx2 v[18:19], v[20:21]
	s_cbranch_scc0 .LBB96_20
; %bb.21:                               ;   in Loop: Header=BB96_12 Depth=1
	flat_store_dwordx2 v[2:3], v[0:1]
.LBB96_22:                              ;   in Loop: Header=BB96_12 Depth=1
	s_or_b64 exec, exec, s[28:29]
	s_and_saveexec_b64 s[28:29], s[12:13]
	s_cbranch_execz .LBB96_10
; %bb.23:                               ;   in Loop: Header=BB96_12 Depth=1
	s_and_b64 s[30:31], s[26:27], exec
	s_cselect_b32 s17, s19, s24
	v_add_u32_e32 v4, s17, v9
	v_ashrrev_i32_e32 v5, 31, v4
	v_lshlrev_b64 v[0:1], 3, v[4:5]
	v_mov_b32_e32 v12, s1
	v_add_co_u32_e32 v2, vcc, s0, v0
	v_addc_co_u32_e32 v3, vcc, v12, v1, vcc
	flat_load_dwordx2 v[0:1], v[2:3]
	s_add_i32 s17, s16, -1
	s_and_b64 s[26:27], s[26:27], exec
	s_cselect_b32 s17, 0, s17
	s_add_i32 s24, s25, s17
	s_ashr_i32 s25, s24, 31
	s_ashr_i32 s17, s16, 31
	s_lshl_b64 s[20:21], s[20:21], 3
	s_lshl_b64 s[24:25], s[24:25], 3
	s_add_u32 s30, s20, s24
	s_addc_u32 s31, s21, s25
	s_add_u32 s24, s38, s30
	s_addc_u32 s25, s39, s31
	s_ashr_i32 s19, s18, 31
	s_lshl_b64 s[20:21], s[18:19], 3
	s_lshl_b64 s[26:27], s[16:17], 3
	v_add_u32_e32 v4, s18, v4
	s_add_u32 s17, s30, s26
	v_ashrrev_i32_e32 v5, 31, v4
	s_addc_u32 s19, s31, s27
	v_lshlrev_b64 v[4:5], 3, v[4:5]
	s_add_u32 s17, s40, s17
	v_add_co_u32_e32 v11, vcc, s0, v4
	s_addc_u32 s26, s41, s19
	v_addc_co_u32_e32 v12, vcc, v12, v5, vcc
	s_mov_b64 s[18:19], 0
.LBB96_24:                              ;   Parent Loop BB96_12 Depth=1
                                        ; =>  This Inner Loop Header: Depth=2
	s_add_u32 s30, s24, s18
	s_addc_u32 s31, s25, s19
	v_mov_b32_e32 v13, s19
	v_add_co_u32_e32 v14, vcc, s18, v11
	s_add_u32 s34, s17, s18
	v_addc_co_u32_e32 v15, vcc, v12, v13, vcc
	s_addc_u32 s35, s26, s19
	flat_load_dwordx2 v[14:15], v[14:15]
	s_add_i32 s16, s16, -1
	global_load_dwordx2 v[16:17], v10, s[30:31] offset:32
	global_load_dwordx2 v[18:19], v10, s[34:35]
	v_add_co_u32_e32 v20, vcc, s18, v2
	s_add_u32 s18, s18, s20
	s_addc_u32 s19, s19, s21
	v_addc_co_u32_e32 v21, vcc, v3, v13, vcc
	s_cmp_eq_u32 s16, 0
	s_waitcnt vmcnt(0) lgkmcnt(0)
	v_mul_f64 v[22:23], v[14:15], v[18:19]
	v_fma_f64 v[22:23], v[0:1], v[16:17], -v[22:23]
	v_mul_f64 v[0:1], v[0:1], v[18:19]
	v_fmac_f64_e32 v[0:1], v[14:15], v[16:17]
	flat_store_dwordx2 v[20:21], v[22:23]
	s_cbranch_scc0 .LBB96_24
	s_branch .LBB96_9
.LBB96_25:
	s_endpgm
	.section	.rodata,"a",@progbits
	.p2align	6, 0x0
	.amdhsa_kernel _ZN9rocsolver6v33100L12bdsqr_rotateIddPKPdS2_S4_EEviiiiT1_iilT2_iilT3_iiliPiPT0_ilS8_
		.amdhsa_group_segment_fixed_size 0
		.amdhsa_private_segment_fixed_size 0
		.amdhsa_kernarg_size 392
		.amdhsa_user_sgpr_count 6
		.amdhsa_user_sgpr_private_segment_buffer 1
		.amdhsa_user_sgpr_dispatch_ptr 0
		.amdhsa_user_sgpr_queue_ptr 0
		.amdhsa_user_sgpr_kernarg_segment_ptr 1
		.amdhsa_user_sgpr_dispatch_id 0
		.amdhsa_user_sgpr_flat_scratch_init 0
		.amdhsa_user_sgpr_kernarg_preload_length 0
		.amdhsa_user_sgpr_kernarg_preload_offset 0
		.amdhsa_user_sgpr_private_segment_size 0
		.amdhsa_uses_dynamic_stack 0
		.amdhsa_system_sgpr_private_segment_wavefront_offset 0
		.amdhsa_system_sgpr_workgroup_id_x 1
		.amdhsa_system_sgpr_workgroup_id_y 1
		.amdhsa_system_sgpr_workgroup_id_z 1
		.amdhsa_system_sgpr_workgroup_info 0
		.amdhsa_system_vgpr_workitem_id 0
		.amdhsa_next_free_vgpr 24
		.amdhsa_next_free_sgpr 50
		.amdhsa_accum_offset 24
		.amdhsa_reserve_vcc 1
		.amdhsa_reserve_flat_scratch 0
		.amdhsa_float_round_mode_32 0
		.amdhsa_float_round_mode_16_64 0
		.amdhsa_float_denorm_mode_32 3
		.amdhsa_float_denorm_mode_16_64 3
		.amdhsa_dx10_clamp 1
		.amdhsa_ieee_mode 1
		.amdhsa_fp16_overflow 0
		.amdhsa_tg_split 0
		.amdhsa_exception_fp_ieee_invalid_op 0
		.amdhsa_exception_fp_denorm_src 0
		.amdhsa_exception_fp_ieee_div_zero 0
		.amdhsa_exception_fp_ieee_overflow 0
		.amdhsa_exception_fp_ieee_underflow 0
		.amdhsa_exception_fp_ieee_inexact 0
		.amdhsa_exception_int_div_zero 0
	.end_amdhsa_kernel
	.section	.text._ZN9rocsolver6v33100L12bdsqr_rotateIddPKPdS2_S4_EEviiiiT1_iilT2_iilT3_iiliPiPT0_ilS8_,"axG",@progbits,_ZN9rocsolver6v33100L12bdsqr_rotateIddPKPdS2_S4_EEviiiiT1_iilT2_iilT3_iiliPiPT0_ilS8_,comdat
.Lfunc_end96:
	.size	_ZN9rocsolver6v33100L12bdsqr_rotateIddPKPdS2_S4_EEviiiiT1_iilT2_iilT3_iiliPiPT0_ilS8_, .Lfunc_end96-_ZN9rocsolver6v33100L12bdsqr_rotateIddPKPdS2_S4_EEviiiiT1_iilT2_iilT3_iiliPiPT0_ilS8_
                                        ; -- End function
	.section	.AMDGPU.csdata,"",@progbits
; Kernel info:
; codeLenInByte = 1640
; NumSgprs: 54
; NumVgprs: 24
; NumAgprs: 0
; TotalNumVgprs: 24
; ScratchSize: 0
; MemoryBound: 0
; FloatMode: 240
; IeeeMode: 1
; LDSByteSize: 0 bytes/workgroup (compile time only)
; SGPRBlocks: 6
; VGPRBlocks: 2
; NumSGPRsForWavesPerEU: 54
; NumVGPRsForWavesPerEU: 24
; AccumOffset: 24
; Occupancy: 8
; WaveLimiterHint : 1
; COMPUTE_PGM_RSRC2:SCRATCH_EN: 0
; COMPUTE_PGM_RSRC2:USER_SGPR: 6
; COMPUTE_PGM_RSRC2:TRAP_HANDLER: 0
; COMPUTE_PGM_RSRC2:TGID_X_EN: 1
; COMPUTE_PGM_RSRC2:TGID_Y_EN: 1
; COMPUTE_PGM_RSRC2:TGID_Z_EN: 1
; COMPUTE_PGM_RSRC2:TIDIG_COMP_CNT: 0
; COMPUTE_PGM_RSRC3_GFX90A:ACCUM_OFFSET: 5
; COMPUTE_PGM_RSRC3_GFX90A:TG_SPLIT: 0
	.section	.text._ZN9rocsolver6v33100L22bdsqr_update_endpointsIddEEviPT0_lPiS3_lS4_,"axG",@progbits,_ZN9rocsolver6v33100L22bdsqr_update_endpointsIddEEviPT0_lPiS3_lS4_,comdat
	.globl	_ZN9rocsolver6v33100L22bdsqr_update_endpointsIddEEviPT0_lPiS3_lS4_ ; -- Begin function _ZN9rocsolver6v33100L22bdsqr_update_endpointsIddEEviPT0_lPiS3_lS4_
	.p2align	8
	.type	_ZN9rocsolver6v33100L22bdsqr_update_endpointsIddEEviPT0_lPiS3_lS4_,@function
_ZN9rocsolver6v33100L22bdsqr_update_endpointsIddEEviPT0_lPiS3_lS4_: ; @_ZN9rocsolver6v33100L22bdsqr_update_endpointsIddEEviPT0_lPiS3_lS4_
; %bb.0:
	s_load_dwordx4 s[0:3], s[4:5], 0x28
	s_ashr_i32 s9, s8, 31
	s_lshl_b64 s[10:11], s[8:9], 2
	s_waitcnt lgkmcnt(0)
	s_add_u32 s2, s2, s10
	s_addc_u32 s3, s3, s11
	s_load_dword s2, s[2:3], 0x8
	s_waitcnt lgkmcnt(0)
	s_cmp_lg_u32 s2, 0
	s_cbranch_scc1 .LBB97_31
; %bb.1:
	s_load_dwordx8 s[12:19], s[4:5], 0x8
	s_mul_i32 s1, s8, s1
	s_mul_hi_u32 s2, s8, s0
	s_add_i32 s1, s2, s1
	s_mul_i32 s2, s9, s0
	s_add_i32 s1, s1, s2
	s_mul_i32 s0, s8, s0
	s_lshl_b64 s[0:1], s[0:1], 3
	s_waitcnt lgkmcnt(0)
	s_add_u32 s2, s18, s0
	s_addc_u32 s3, s19, s1
	s_load_dwordx4 s[20:23], s[2:3], 0x8
	s_waitcnt lgkmcnt(0)
	v_cvt_i32_f64_e32 v10, s[22:23]
	v_cmp_ge_i32_e32 vcc, s7, v10
	s_cbranch_vccnz .LBB97_31
; %bb.2:
	s_mul_i32 s0, s8, s15
	s_mul_hi_u32 s1, s8, s14
	s_add_i32 s0, s1, s0
	s_mul_i32 s1, s9, s14
	s_load_dword s9, s[4:5], 0x0
	s_load_dword s19, s[4:5], 0x3c
	s_add_i32 s1, s0, s1
	s_mul_i32 s0, s8, s14
	s_lshl_b64 s[0:1], s[0:1], 3
	s_add_u32 s6, s12, s0
	s_waitcnt lgkmcnt(0)
	s_mul_i32 s0, s8, s9
	s_addc_u32 s18, s13, s1
	s_lshl_b32 s0, s0, 1
	s_ashr_i32 s1, s0, 31
	s_lshl_b64 s[0:1], s[0:1], 2
	s_add_u32 s16, s16, s0
	s_addc_u32 s17, s17, s1
	s_add_u32 s22, s6, -8
	v_cvt_f64_i32_e32 v[4:5], v10
	s_addc_u32 s23, s18, -1
	v_mov_b32_e32 v6, 0
	s_branch .LBB97_4
.LBB97_3:                               ;   in Loop: Header=BB97_4 Depth=1
	s_add_i32 s7, s19, s7
	v_cmp_lt_i32_e32 vcc, s7, v10
	v_mov_b32_e32 v0, s24
	v_mov_b32_e32 v1, s14
	global_store_dwordx2 v6, v[0:1], s[4:5] offset:4
	s_cbranch_vccz .LBB97_31
.LBB97_4:                               ; =>This Loop Header: Depth=1
                                        ;     Child Loop BB97_9 Depth 2
                                        ;     Child Loop BB97_14 Depth 2
	;; [unrolled: 1-line block ×3, first 2 shown]
                                        ;       Child Loop BB97_26 Depth 3
	s_lshl_b32 s0, s7, 2
	s_ashr_i32 s1, s0, 31
	s_lshl_b64 s[0:1], s[0:1], 2
	s_add_u32 s4, s16, s0
	s_addc_u32 s5, s17, s1
	global_load_dwordx4 v[0:3], v6, s[4:5]
	s_waitcnt vmcnt(0)
	v_readfirstlane_b32 s0, v0
	s_cmp_eq_u32 s0, 0
	s_cselect_b64 s[0:1], -1, 0
	v_readfirstlane_b32 s10, v1
	v_readfirstlane_b32 s8, v2
	s_and_b64 vcc, exec, s[0:1]
	v_mov_b32_e32 v2, v3
	s_cbranch_vccnz .LBB97_6
; %bb.5:                                ;   in Loop: Header=BB97_4 Depth=1
	s_sub_i32 s9, s8, s10
	v_add_u32_e32 v2, s9, v3
	global_store_dword v6, v2, s[4:5] offset:12
.LBB97_6:                               ;   in Loop: Header=BB97_4 Depth=1
	s_cmp_le_i32 s8, s10
	s_cbranch_scc1 .LBB97_16
; %bb.7:                                ;   in Loop: Header=BB97_4 Depth=1
	s_ashr_i32 s11, s10, 31
	s_lshl_b64 s[12:13], s[10:11], 3
	s_add_u32 s12, s6, s12
	s_addc_u32 s13, s18, s13
	s_branch .LBB97_9
.LBB97_8:                               ;   in Loop: Header=BB97_9 Depth=2
	v_mov_b32_e32 v7, v6
	s_add_i32 s10, s10, 1
	global_store_dwordx2 v6, v[6:7], s[12:13]
	s_add_u32 s12, s12, 8
	s_addc_u32 s13, s13, 0
	s_cmp_ge_i32 s10, s8
	s_cselect_b64 s[14:15], -1, 0
	s_mov_b32 s24, s8
	s_andn2_b64 vcc, exec, s[14:15]
	s_cbranch_vccz .LBB97_11
.LBB97_9:                               ;   Parent Loop BB97_4 Depth=1
                                        ; =>  This Inner Loop Header: Depth=2
	global_load_dwordx2 v[0:1], v6, s[12:13]
	s_mov_b64 s[14:15], -1
	s_waitcnt vmcnt(0)
	v_cmp_nlt_f64_e64 s[24:25], |v[0:1]|, s[20:21]
	s_and_b64 vcc, exec, s[24:25]
	s_cbranch_vccz .LBB97_8
; %bb.10:                               ;   in Loop: Header=BB97_9 Depth=2
	s_mov_b32 s24, s10
                                        ; implicit-def: $sgpr10
                                        ; implicit-def: $sgpr12_sgpr13
	s_andn2_b64 vcc, exec, s[14:15]
	s_cbranch_vccnz .LBB97_9
.LBB97_11:                              ;   in Loop: Header=BB97_4 Depth=1
	s_cmp_le_i32 s8, s24
	s_cbranch_scc1 .LBB97_17
.LBB97_12:                              ;   in Loop: Header=BB97_4 Depth=1
	s_ashr_i32 s9, s8, 31
	s_lshl_b64 s[10:11], s[8:9], 3
	s_add_u32 s10, s22, s10
	s_addc_u32 s11, s23, s11
	s_branch .LBB97_14
.LBB97_13:                              ;   in Loop: Header=BB97_14 Depth=2
	v_mov_b32_e32 v7, v6
	s_add_i32 s8, s8, -1
	global_store_dwordx2 v6, v[6:7], s[10:11]
	s_add_u32 s10, s10, -8
	s_addc_u32 s11, s11, -1
	s_cmp_le_i32 s8, s24
	s_cselect_b64 s[12:13], -1, 0
	s_mov_b32 s14, s24
	s_andn2_b64 vcc, exec, s[12:13]
	s_cbranch_vccz .LBB97_18
.LBB97_14:                              ;   Parent Loop BB97_4 Depth=1
                                        ; =>  This Inner Loop Header: Depth=2
	global_load_dwordx2 v[0:1], v6, s[10:11]
	s_mov_b64 s[12:13], -1
	s_waitcnt vmcnt(0)
	v_cmp_nlt_f64_e64 s[14:15], |v[0:1]|, s[20:21]
	s_and_b64 vcc, exec, s[14:15]
	s_cbranch_vccz .LBB97_13
; %bb.15:                               ;   in Loop: Header=BB97_14 Depth=2
	s_mov_b32 s14, s8
                                        ; implicit-def: $sgpr8
                                        ; implicit-def: $sgpr10_sgpr11
	s_andn2_b64 vcc, exec, s[12:13]
	s_cbranch_vccnz .LBB97_14
	s_branch .LBB97_18
.LBB97_16:                              ;   in Loop: Header=BB97_4 Depth=1
	s_mov_b32 s24, s10
	s_cmp_le_i32 s8, s24
	s_cbranch_scc0 .LBB97_12
.LBB97_17:                              ;   in Loop: Header=BB97_4 Depth=1
	s_mov_b32 s14, s8
.LBB97_18:                              ;   in Loop: Header=BB97_4 Depth=1
	s_cmp_lt_i32 s24, s14
	s_cselect_b64 s[8:9], -1, 0
	s_and_b64 s[0:1], s[0:1], s[8:9]
	s_andn2_b64 vcc, exec, s[0:1]
	s_mov_b32 s8, s24
	s_cbranch_vccnz .LBB97_3
.LBB97_19:                              ;   Parent Loop BB97_4 Depth=1
                                        ; =>  This Loop Header: Depth=2
                                        ;       Child Loop BB97_26 Depth 3
	s_ashr_i32 s9, s8, 31
	s_lshl_b64 s[0:1], s[8:9], 3
	s_add_u32 s0, s6, s0
	s_addc_u32 s1, s18, s1
	global_load_dwordx2 v[0:1], v6, s[0:1]
	s_mov_b64 s[10:11], -1
                                        ; implicit-def: $sgpr9
	s_waitcnt vmcnt(0)
	v_cmp_lt_f64_e64 s[12:13], |v[0:1]|, s[20:21]
	s_and_b64 vcc, exec, s[12:13]
	s_cbranch_vccz .LBB97_22
; %bb.20:                               ;   in Loop: Header=BB97_19 Depth=2
	s_andn2_b64 vcc, exec, s[10:11]
	s_cbranch_vccz .LBB97_23
.LBB97_21:                              ;   in Loop: Header=BB97_19 Depth=2
	s_cmp_lt_i32 s9, s14
	s_cbranch_scc1 .LBB97_30
	s_branch .LBB97_3
.LBB97_22:                              ;   in Loop: Header=BB97_19 Depth=2
	s_add_i32 s9, s8, 1
	s_cbranch_execnz .LBB97_21
.LBB97_23:                              ;   in Loop: Header=BB97_19 Depth=2
	v_mov_b32_e32 v7, v6
	s_cmp_ge_i32 s24, s8
	global_store_dwordx2 v6, v[6:7], s[0:1]
	s_cbranch_scc1 .LBB97_29
; %bb.24:                               ;   in Loop: Header=BB97_19 Depth=2
	s_mov_b64 s[0:1], exec
	v_mbcnt_lo_u32_b32 v0, s0, 0
	v_mbcnt_hi_u32_b32 v3, s1, v0
	v_cmp_eq_u32_e32 vcc, 0, v3
                                        ; implicit-def: $vgpr0_vgpr1
	s_and_saveexec_b64 s[10:11], vcc
	s_cbranch_execz .LBB97_28
; %bb.25:                               ;   in Loop: Header=BB97_19 Depth=2
	global_load_dwordx2 v[0:1], v6, s[2:3] offset:24
	s_bcnt1_i32_b64 s0, s[0:1]
	v_cvt_f64_u32_e32 v[8:9], s0
	s_mov_b64 s[12:13], 0
.LBB97_26:                              ;   Parent Loop BB97_4 Depth=1
                                        ;     Parent Loop BB97_19 Depth=2
                                        ; =>    This Inner Loop Header: Depth=3
	s_waitcnt vmcnt(0)
	v_pk_mov_b32 v[14:15], v[0:1], v[0:1] op_sel:[0,1]
	v_add_f64 v[12:13], v[14:15], v[8:9]
	global_atomic_cmpswap_x2 v[0:1], v6, v[12:15], s[2:3] offset:24 glc
	s_waitcnt vmcnt(0)
	v_cmp_eq_u64_e64 s[0:1], v[0:1], v[14:15]
	s_or_b64 s[12:13], s[0:1], s[12:13]
	s_andn2_b64 exec, exec, s[12:13]
	s_cbranch_execnz .LBB97_26
; %bb.27:                               ;   in Loop: Header=BB97_19 Depth=2
	s_or_b64 exec, exec, s[12:13]
.LBB97_28:                              ;   in Loop: Header=BB97_19 Depth=2
	s_or_b64 exec, exec, s[10:11]
	v_readfirstlane_b32 s1, v1
	v_readfirstlane_b32 s0, v0
	v_cvt_f64_u32_e32 v[0:1], v3
	v_add_f64 v[0:1], s[0:1], v[0:1]
	v_mov_b32_e32 v3, s1
	v_cndmask_b32_e32 v1, v1, v3, vcc
	v_mov_b32_e32 v3, s0
	v_cndmask_b32_e32 v0, v0, v3, vcc
	v_add_f64 v[0:1], v[0:1], v[4:5]
	v_cvt_i32_f64_e32 v0, v[0:1]
	v_lshlrev_b32_e32 v0, 2, v0
	v_ashrrev_i32_e32 v1, 31, v0
	v_lshlrev_b64 v[0:1], 2, v[0:1]
	v_mov_b32_e32 v3, s17
	v_add_co_u32_e32 v8, vcc, s16, v0
	v_addc_co_u32_e32 v9, vcc, v3, v1, vcc
	v_mov_b32_e32 v0, s24
	v_mov_b32_e32 v1, s8
	global_store_dwordx3 v[8:9], v[0:2], off offset:4
.LBB97_29:                              ;   in Loop: Header=BB97_19 Depth=2
	s_add_i32 s9, s8, 1
	s_mov_b32 s24, s9
	s_cmp_lt_i32 s9, s14
	s_cbranch_scc0 .LBB97_3
.LBB97_30:                              ;   in Loop: Header=BB97_19 Depth=2
	s_mov_b32 s8, s9
	s_branch .LBB97_19
.LBB97_31:
	s_endpgm
	.section	.rodata,"a",@progbits
	.p2align	6, 0x0
	.amdhsa_kernel _ZN9rocsolver6v33100L22bdsqr_update_endpointsIddEEviPT0_lPiS3_lS4_
		.amdhsa_group_segment_fixed_size 0
		.amdhsa_private_segment_fixed_size 0
		.amdhsa_kernarg_size 312
		.amdhsa_user_sgpr_count 6
		.amdhsa_user_sgpr_private_segment_buffer 1
		.amdhsa_user_sgpr_dispatch_ptr 0
		.amdhsa_user_sgpr_queue_ptr 0
		.amdhsa_user_sgpr_kernarg_segment_ptr 1
		.amdhsa_user_sgpr_dispatch_id 0
		.amdhsa_user_sgpr_flat_scratch_init 0
		.amdhsa_user_sgpr_kernarg_preload_length 0
		.amdhsa_user_sgpr_kernarg_preload_offset 0
		.amdhsa_user_sgpr_private_segment_size 0
		.amdhsa_uses_dynamic_stack 0
		.amdhsa_system_sgpr_private_segment_wavefront_offset 0
		.amdhsa_system_sgpr_workgroup_id_x 1
		.amdhsa_system_sgpr_workgroup_id_y 1
		.amdhsa_system_sgpr_workgroup_id_z 1
		.amdhsa_system_sgpr_workgroup_info 0
		.amdhsa_system_vgpr_workitem_id 0
		.amdhsa_next_free_vgpr 16
		.amdhsa_next_free_sgpr 26
		.amdhsa_accum_offset 16
		.amdhsa_reserve_vcc 1
		.amdhsa_reserve_flat_scratch 0
		.amdhsa_float_round_mode_32 0
		.amdhsa_float_round_mode_16_64 0
		.amdhsa_float_denorm_mode_32 3
		.amdhsa_float_denorm_mode_16_64 3
		.amdhsa_dx10_clamp 1
		.amdhsa_ieee_mode 1
		.amdhsa_fp16_overflow 0
		.amdhsa_tg_split 0
		.amdhsa_exception_fp_ieee_invalid_op 0
		.amdhsa_exception_fp_denorm_src 0
		.amdhsa_exception_fp_ieee_div_zero 0
		.amdhsa_exception_fp_ieee_overflow 0
		.amdhsa_exception_fp_ieee_underflow 0
		.amdhsa_exception_fp_ieee_inexact 0
		.amdhsa_exception_int_div_zero 0
	.end_amdhsa_kernel
	.section	.text._ZN9rocsolver6v33100L22bdsqr_update_endpointsIddEEviPT0_lPiS3_lS4_,"axG",@progbits,_ZN9rocsolver6v33100L22bdsqr_update_endpointsIddEEviPT0_lPiS3_lS4_,comdat
.Lfunc_end97:
	.size	_ZN9rocsolver6v33100L22bdsqr_update_endpointsIddEEviPT0_lPiS3_lS4_, .Lfunc_end97-_ZN9rocsolver6v33100L22bdsqr_update_endpointsIddEEviPT0_lPiS3_lS4_
                                        ; -- End function
	.section	.AMDGPU.csdata,"",@progbits
; Kernel info:
; codeLenInByte = 932
; NumSgprs: 30
; NumVgprs: 16
; NumAgprs: 0
; TotalNumVgprs: 16
; ScratchSize: 0
; MemoryBound: 0
; FloatMode: 240
; IeeeMode: 1
; LDSByteSize: 0 bytes/workgroup (compile time only)
; SGPRBlocks: 3
; VGPRBlocks: 1
; NumSGPRsForWavesPerEU: 30
; NumVGPRsForWavesPerEU: 16
; AccumOffset: 16
; Occupancy: 8
; WaveLimiterHint : 1
; COMPUTE_PGM_RSRC2:SCRATCH_EN: 0
; COMPUTE_PGM_RSRC2:USER_SGPR: 6
; COMPUTE_PGM_RSRC2:TRAP_HANDLER: 0
; COMPUTE_PGM_RSRC2:TGID_X_EN: 1
; COMPUTE_PGM_RSRC2:TGID_Y_EN: 1
; COMPUTE_PGM_RSRC2:TGID_Z_EN: 1
; COMPUTE_PGM_RSRC2:TIDIG_COMP_CNT: 0
; COMPUTE_PGM_RSRC3_GFX90A:ACCUM_OFFSET: 3
; COMPUTE_PGM_RSRC3_GFX90A:TG_SPLIT: 0
	.section	.text._ZN9rocsolver6v33100L19bdsqr_chk_completedIddEEviiPiPT0_lS2_,"axG",@progbits,_ZN9rocsolver6v33100L19bdsqr_chk_completedIddEEviiPiPT0_lS2_,comdat
	.globl	_ZN9rocsolver6v33100L19bdsqr_chk_completedIddEEviiPiPT0_lS2_ ; -- Begin function _ZN9rocsolver6v33100L19bdsqr_chk_completedIddEEviiPiPT0_lS2_
	.p2align	8
	.type	_ZN9rocsolver6v33100L19bdsqr_chk_completedIddEEviiPiPT0_lS2_,@function
_ZN9rocsolver6v33100L19bdsqr_chk_completedIddEEviiPiPT0_lS2_: ; @_ZN9rocsolver6v33100L19bdsqr_chk_completedIddEEviiPiPT0_lS2_
; %bb.0:
	s_load_dwordx8 s[8:15], s[4:5], 0x8
	s_mov_b32 s2, s7
	s_ashr_i32 s3, s7, 31
	s_lshl_b64 s[0:1], s[2:3], 2
	s_waitcnt lgkmcnt(0)
	s_add_u32 s0, s14, s0
	s_addc_u32 s1, s15, s1
	s_load_dword s6, s[0:1], 0x8
	s_waitcnt lgkmcnt(0)
	s_cmp_lg_u32 s6, 0
	s_cbranch_scc0 .LBB98_2
.LBB98_1:
	s_endpgm
.LBB98_2:
	s_mul_i32 s6, s2, s13
	s_mul_hi_u32 s7, s2, s12
	s_add_i32 s6, s7, s6
	s_mul_i32 s3, s3, s12
	s_add_i32 s7, s6, s3
	s_mul_i32 s6, s2, s12
	s_lshl_b64 s[6:7], s[6:7], 3
	s_add_u32 s6, s10, s6
	s_addc_u32 s7, s11, s7
	s_load_dwordx4 s[16:19], s[6:7], 0x10
	s_load_dword s3, s[14:15], 0x4
	v_mov_b32_e32 v2, 0
	v_mov_b32_e32 v3, v2
	s_waitcnt lgkmcnt(0)
	v_mov_b32_e32 v0, s18
	v_mov_b32_e32 v1, s19
	v_add_f64 v[0:1], s[16:17], v[0:1]
	v_cvt_i32_f64_e32 v4, v[0:1]
	v_cmp_ge_i32_e32 vcc, s3, v4
	v_cvt_f64_i32_e32 v[0:1], v4
	global_store_dwordx4 v2, v[0:3], s[6:7] offset:16
	s_cbranch_vccnz .LBB98_6
; %bb.3:
	s_mov_b64 s[6:7], 0
	v_mov_b32_e32 v5, s3
.LBB98_4:                               ; =>This Inner Loop Header: Depth=1
	global_atomic_cmpswap v5, v2, v[4:5], s[14:15] offset:4 glc
	s_waitcnt vmcnt(0)
	v_cmp_ge_i32_e32 vcc, v5, v4
	s_or_b64 s[6:7], vcc, s[6:7]
	s_andn2_b64 exec, exec, s[6:7]
	s_cbranch_execnz .LBB98_4
; %bb.5:
	s_or_b64 exec, exec, s[6:7]
.LBB98_6:
	v_cmp_gt_i32_e32 vcc, 1, v4
	s_cbranch_vccnz .LBB98_14
; %bb.7:
	s_load_dwordx2 s[4:5], s[4:5], 0x0
	v_mov_b32_e32 v0, 0
	s_waitcnt lgkmcnt(0)
	s_mul_i32 s2, s2, s4
	s_lshl_b32 s2, s2, 1
	s_ashr_i32 s3, s2, 31
	s_lshl_b64 s[2:3], s[2:3], 2
	s_add_u32 s2, s2, s8
	s_addc_u32 s3, s3, s9
	s_add_u32 s2, s2, 12
	s_addc_u32 s3, s3, 0
	s_branch .LBB98_9
.LBB98_8:                               ;   in Loop: Header=BB98_9 Depth=1
	v_add_u32_e32 v4, -1, v4
	s_add_u32 s2, s2, 16
	s_addc_u32 s3, s3, 0
	s_mov_b64 s[6:7], 0
	v_cmp_eq_u32_e64 s[8:9], 0, v4
	s_andn2_b64 vcc, exec, s[8:9]
	s_cbranch_vccz .LBB98_13
.LBB98_9:                               ; =>This Inner Loop Header: Depth=1
	global_load_dwordx2 v[2:3], v0, s[2:3] offset:-8
	s_mov_b64 s[8:9], -1
                                        ; implicit-def: $sgpr6_sgpr7
	s_waitcnt vmcnt(0)
	v_cmp_ge_i32_e32 vcc, v2, v3
	s_cbranch_vccnz .LBB98_11
; %bb.10:                               ;   in Loop: Header=BB98_9 Depth=1
	global_load_dword v1, v0, s[2:3]
	s_mov_b64 s[6:7], -1
	s_waitcnt vmcnt(0)
	v_cmp_le_i32_e64 s[8:9], s5, v1
.LBB98_11:                              ;   in Loop: Header=BB98_9 Depth=1
	s_andn2_b64 vcc, exec, s[8:9]
	s_cbranch_vccz .LBB98_8
; %bb.12:
                                        ; implicit-def: $vgpr4
                                        ; implicit-def: $sgpr2_sgpr3
.LBB98_13:
	s_xor_b64 s[2:3], s[6:7], -1
	s_and_b64 vcc, exec, s[2:3]
	s_cbranch_vccz .LBB98_1
	s_branch .LBB98_15
.LBB98_14:
	s_cbranch_execz .LBB98_1
.LBB98_15:
	s_mov_b64 s[2:3], exec
	v_mov_b32_e32 v0, 0
	v_mov_b32_e32 v1, 1
	global_store_dword v0, v1, s[0:1] offset:8
	v_mbcnt_lo_u32_b32 v1, s2, 0
	v_mbcnt_hi_u32_b32 v1, s3, v1
	v_cmp_eq_u32_e32 vcc, 0, v1
	s_and_saveexec_b64 s[0:1], vcc
	s_cbranch_execz .LBB98_1
; %bb.16:
	s_bcnt1_i32_b64 s0, s[2:3]
	v_mov_b32_e32 v1, s0
	global_atomic_add v0, v1, s[14:15]
	s_endpgm
	.section	.rodata,"a",@progbits
	.p2align	6, 0x0
	.amdhsa_kernel _ZN9rocsolver6v33100L19bdsqr_chk_completedIddEEviiPiPT0_lS2_
		.amdhsa_group_segment_fixed_size 0
		.amdhsa_private_segment_fixed_size 0
		.amdhsa_kernarg_size 40
		.amdhsa_user_sgpr_count 6
		.amdhsa_user_sgpr_private_segment_buffer 1
		.amdhsa_user_sgpr_dispatch_ptr 0
		.amdhsa_user_sgpr_queue_ptr 0
		.amdhsa_user_sgpr_kernarg_segment_ptr 1
		.amdhsa_user_sgpr_dispatch_id 0
		.amdhsa_user_sgpr_flat_scratch_init 0
		.amdhsa_user_sgpr_kernarg_preload_length 0
		.amdhsa_user_sgpr_kernarg_preload_offset 0
		.amdhsa_user_sgpr_private_segment_size 0
		.amdhsa_uses_dynamic_stack 0
		.amdhsa_system_sgpr_private_segment_wavefront_offset 0
		.amdhsa_system_sgpr_workgroup_id_x 1
		.amdhsa_system_sgpr_workgroup_id_y 1
		.amdhsa_system_sgpr_workgroup_id_z 0
		.amdhsa_system_sgpr_workgroup_info 0
		.amdhsa_system_vgpr_workitem_id 0
		.amdhsa_next_free_vgpr 6
		.amdhsa_next_free_sgpr 20
		.amdhsa_accum_offset 8
		.amdhsa_reserve_vcc 1
		.amdhsa_reserve_flat_scratch 0
		.amdhsa_float_round_mode_32 0
		.amdhsa_float_round_mode_16_64 0
		.amdhsa_float_denorm_mode_32 3
		.amdhsa_float_denorm_mode_16_64 3
		.amdhsa_dx10_clamp 1
		.amdhsa_ieee_mode 1
		.amdhsa_fp16_overflow 0
		.amdhsa_tg_split 0
		.amdhsa_exception_fp_ieee_invalid_op 0
		.amdhsa_exception_fp_denorm_src 0
		.amdhsa_exception_fp_ieee_div_zero 0
		.amdhsa_exception_fp_ieee_overflow 0
		.amdhsa_exception_fp_ieee_underflow 0
		.amdhsa_exception_fp_ieee_inexact 0
		.amdhsa_exception_int_div_zero 0
	.end_amdhsa_kernel
	.section	.text._ZN9rocsolver6v33100L19bdsqr_chk_completedIddEEviiPiPT0_lS2_,"axG",@progbits,_ZN9rocsolver6v33100L19bdsqr_chk_completedIddEEviiPiPT0_lS2_,comdat
.Lfunc_end98:
	.size	_ZN9rocsolver6v33100L19bdsqr_chk_completedIddEEviiPiPT0_lS2_, .Lfunc_end98-_ZN9rocsolver6v33100L19bdsqr_chk_completedIddEEviiPiPT0_lS2_
                                        ; -- End function
	.section	.AMDGPU.csdata,"",@progbits
; Kernel info:
; codeLenInByte = 436
; NumSgprs: 24
; NumVgprs: 6
; NumAgprs: 0
; TotalNumVgprs: 6
; ScratchSize: 0
; MemoryBound: 0
; FloatMode: 240
; IeeeMode: 1
; LDSByteSize: 0 bytes/workgroup (compile time only)
; SGPRBlocks: 2
; VGPRBlocks: 0
; NumSGPRsForWavesPerEU: 24
; NumVGPRsForWavesPerEU: 6
; AccumOffset: 8
; Occupancy: 8
; WaveLimiterHint : 0
; COMPUTE_PGM_RSRC2:SCRATCH_EN: 0
; COMPUTE_PGM_RSRC2:USER_SGPR: 6
; COMPUTE_PGM_RSRC2:TRAP_HANDLER: 0
; COMPUTE_PGM_RSRC2:TGID_X_EN: 1
; COMPUTE_PGM_RSRC2:TGID_Y_EN: 1
; COMPUTE_PGM_RSRC2:TGID_Z_EN: 0
; COMPUTE_PGM_RSRC2:TIDIG_COMP_CNT: 0
; COMPUTE_PGM_RSRC3_GFX90A:ACCUM_OFFSET: 1
; COMPUTE_PGM_RSRC3_GFX90A:TG_SPLIT: 0
	.section	.text._ZN9rocsolver6v33100L14bdsqr_finalizeIddPKPdS2_S4_EEviiiiPT0_lS6_lT1_iilT2_iilT3_iilPiSA_SA_,"axG",@progbits,_ZN9rocsolver6v33100L14bdsqr_finalizeIddPKPdS2_S4_EEviiiiPT0_lS6_lT1_iilT2_iilT3_iilPiSA_SA_,comdat
	.globl	_ZN9rocsolver6v33100L14bdsqr_finalizeIddPKPdS2_S4_EEviiiiPT0_lS6_lT1_iilT2_iilT3_iilPiSA_SA_ ; -- Begin function _ZN9rocsolver6v33100L14bdsqr_finalizeIddPKPdS2_S4_EEviiiiPT0_lS6_lT1_iilT2_iilT3_iilPiSA_SA_
	.p2align	8
	.type	_ZN9rocsolver6v33100L14bdsqr_finalizeIddPKPdS2_S4_EEviiiiPT0_lS6_lT1_iilT2_iilT3_iilPiSA_SA_,@function
_ZN9rocsolver6v33100L14bdsqr_finalizeIddPKPdS2_S4_EEviiiiPT0_lS6_lT1_iilT2_iilT3_iilPiSA_SA_: ; @_ZN9rocsolver6v33100L14bdsqr_finalizeIddPKPdS2_S4_EEviiiiPT0_lS6_lT1_iilT2_iilT3_iilPiSA_SA_
; %bb.0:
	s_add_u32 flat_scratch_lo, s6, s10
	s_addc_u32 flat_scratch_hi, s7, 0
	s_load_dwordx2 s[6:7], s[4:5], 0x88
	s_add_u32 s0, s0, s10
	s_addc_u32 s1, s1, 0
	s_mov_b32 s12, s9
	s_ashr_i32 s13, s9, 31
	s_lshl_b64 s[26:27], s[12:13], 2
	s_waitcnt lgkmcnt(0)
	s_add_u32 s6, s6, s26
	s_addc_u32 s7, s7, s27
	s_load_dword s6, s[6:7], 0x8
	s_mov_b32 s32, 0
	s_waitcnt lgkmcnt(0)
	s_cmp_gt_i32 s6, 1
	s_cbranch_scc1 .LBB99_260
; %bb.1:
	s_load_dwordx2 s[6:7], s[4:5], 0x9c
	s_load_dwordx4 s[56:59], s[4:5], 0x30
	s_load_dwordx8 s[44:51], s[4:5], 0x10
	s_mov_b64 s[34:35], 0
	s_mov_b64 s[28:29], 0
	s_waitcnt lgkmcnt(0)
	s_and_b32 s7, s7, 0xffff
	s_cmp_eq_u64 s[56:57], 0
	s_cbranch_scc1 .LBB99_3
; %bb.2:
	s_lshl_b64 s[8:9], s[12:13], 3
	s_add_u32 s8, s56, s8
	s_addc_u32 s9, s57, s9
	s_load_dwordx2 s[8:9], s[8:9], 0x0
	s_ashr_i32 s11, s58, 31
	s_mov_b32 s10, s58
	s_lshl_b64 s[10:11], s[10:11], 3
	s_waitcnt lgkmcnt(0)
	s_add_u32 s28, s8, s10
	s_addc_u32 s29, s9, s11
.LBB99_3:
	s_load_dwordx8 s[36:43], s[4:5], 0x48
	s_waitcnt lgkmcnt(0)
	s_cmp_eq_u64 s[36:37], 0
	s_cbranch_scc1 .LBB99_5
; %bb.4:
	s_mul_i32 s10, s12, s41
	s_mul_hi_u32 s11, s12, s40
	s_add_i32 s10, s11, s10
	s_mul_i32 s11, s13, s40
	s_add_i32 s11, s10, s11
	s_mul_i32 s10, s12, s40
	s_ashr_i32 s9, s38, 31
	s_lshl_b64 s[10:11], s[10:11], 3
	s_mov_b32 s8, s38
	s_add_u32 s10, s36, s10
	s_addc_u32 s11, s37, s11
	s_lshl_b64 s[8:9], s[8:9], 3
	s_add_u32 s34, s10, s8
	s_addc_u32 s35, s11, s9
.LBB99_5:
	s_load_dwordx4 s[52:55], s[4:5], 0x78
	s_load_dwordx2 s[56:57], s[4:5], 0x68
	s_cmp_eq_u64 s[42:43], 0
	s_mov_b64 s[36:37], 0
	s_cbranch_scc1 .LBB99_7
; %bb.6:
	s_lshl_b64 s[8:9], s[12:13], 3
	s_add_u32 s8, s42, s8
	s_addc_u32 s9, s43, s9
	s_load_dwordx2 s[8:9], s[8:9], 0x0
	s_waitcnt lgkmcnt(0)
	s_ashr_i32 s11, s56, 31
	s_mov_b32 s10, s56
	s_lshl_b64 s[10:11], s[10:11], 3
	s_add_u32 s36, s8, s10
	s_addc_u32 s37, s9, s11
.LBB99_7:
	s_mul_i32 s8, s12, s47
	s_mul_hi_u32 s9, s12, s46
	s_add_i32 s8, s9, s8
	s_mul_i32 s9, s13, s46
	s_add_i32 s9, s8, s9
	s_mul_i32 s8, s12, s46
	s_lshl_b64 s[60:61], s[8:9], 3
	s_add_u32 s46, s44, s60
	s_load_dwordx4 s[40:43], s[4:5], 0x0
	s_addc_u32 s47, s45, s61
	s_lshr_b32 s8, s6, 16
	s_and_b32 s38, s6, 0xffff
	v_bfe_u32 v43, v0, 10, 10
	v_bfe_u32 v44, v0, 20, 10
	s_mul_i32 s58, s8, s38
	v_and_b32_e32 v42, 0x3ff, v0
	v_mul_u32_u24_e32 v1, s38, v43
	v_mul_lo_u32 v0, s58, v44
	v_add3_u32 v41, v1, v42, v0
	s_and_b32 s6, s7, 0xffff
	s_mul_i32 s58, s58, s6
	s_waitcnt lgkmcnt(0)
	s_cmp_lt_i32 s40, 1
	v_cmp_eq_u32_e64 s[6:7], 0, v41
	s_cbranch_scc1 .LBB99_22
; %bb.8:
	s_mul_i32 s8, s12, s51
	s_mul_hi_u32 s9, s12, s50
	s_add_i32 s8, s9, s8
	s_mul_i32 s9, s13, s50
	s_add_i32 s9, s8, s9
	s_mul_i32 s8, s12, s50
	s_lshl_b64 s[8:9], s[8:9], 3
	s_add_u32 s13, s48, s8
	s_addc_u32 s22, s49, s9
	s_add_i32 s23, s40, -1
	s_cmp_lg_u32 s41, 0
	s_cselect_b64 s[10:11], -1, 0
	s_mov_b32 s15, 0
	v_cndmask_b32_e64 v0, 0, 1, s[10:11]
	v_cmp_gt_u32_e64 s[8:9], s41, v41
	s_ashr_i32 s24, s59, 31
	s_mov_b32 s25, s59
	v_mov_b32_e32 v2, 0
	v_cmp_ne_u32_e64 s[10:11], 1, v0
	v_mov_b32_e32 v3, s29
	s_mov_b32 s14, s15
	s_mov_b32 s56, s15
	s_branch .LBB99_11
.LBB99_9:                               ;   in Loop: Header=BB99_11 Depth=1
	s_or_b64 exec, exec, s[18:19]
.LBB99_10:                              ;   in Loop: Header=BB99_11 Depth=1
	s_add_i32 s14, s14, 1
	s_cmp_eq_u32 s14, s40
	s_cbranch_scc1 .LBB99_23
.LBB99_11:                              ; =>This Loop Header: Depth=1
                                        ;     Child Loop BB99_18 Depth 2
	s_cmp_ge_i32 s14, s23
	s_cbranch_scc1 .LBB99_14
; %bb.12:                               ;   in Loop: Header=BB99_11 Depth=1
	s_lshl_b64 s[16:17], s[14:15], 3
	s_add_u32 s16, s13, s16
	s_addc_u32 s17, s22, s17
	global_load_dwordx2 v[0:1], v2, s[16:17]
	s_waitcnt vmcnt(0)
	v_cmp_eq_f64_e32 vcc, 0, v[0:1]
	s_cbranch_vccnz .LBB99_14
; %bb.13:                               ;   in Loop: Header=BB99_11 Depth=1
	s_add_i32 s56, s56, 1
.LBB99_14:                              ;   in Loop: Header=BB99_11 Depth=1
	s_lshl_b64 s[16:17], s[14:15], 3
	s_add_u32 s16, s46, s16
	s_addc_u32 s17, s47, s17
	global_load_dwordx2 v[0:1], v2, s[16:17]
	s_waitcnt vmcnt(0)
	v_cmp_ngt_f64_e32 vcc, 0, v[0:1]
	s_cbranch_vccnz .LBB99_10
; %bb.15:                               ;   in Loop: Header=BB99_11 Depth=1
	s_and_b64 vcc, exec, s[10:11]
	s_cbranch_vccnz .LBB99_20
; %bb.16:                               ;   in Loop: Header=BB99_11 Depth=1
	s_and_saveexec_b64 s[18:19], s[8:9]
	s_cbranch_execz .LBB99_19
; %bb.17:                               ;   in Loop: Header=BB99_11 Depth=1
	s_mov_b64 s[20:21], 0
	v_pk_mov_b32 v[0:1], s[14:15], s[14:15] op_sel:[0,1]
	v_mov_b32_e32 v4, v41
.LBB99_18:                              ;   Parent Loop BB99_11 Depth=1
                                        ; =>  This Inner Loop Header: Depth=2
	v_mad_u64_u32 v[6:7], s[30:31], v4, s25, v[0:1]
	v_mov_b32_e32 v8, v7
	v_mad_u64_u32 v[8:9], s[30:31], v4, s24, v[8:9]
	v_mov_b32_e32 v7, v8
	v_lshlrev_b64 v[6:7], 3, v[6:7]
	v_add_co_u32_e32 v6, vcc, s28, v6
	v_addc_co_u32_e32 v7, vcc, v3, v7, vcc
	flat_load_dwordx2 v[8:9], v[6:7]
	v_add_u32_e32 v4, s58, v4
	v_cmp_le_u32_e32 vcc, s41, v4
	s_or_b64 s[20:21], vcc, s[20:21]
	s_waitcnt vmcnt(0) lgkmcnt(0)
	v_xor_b32_e32 v9, 0x80000000, v9
	flat_store_dwordx2 v[6:7], v[8:9]
	s_andn2_b64 exec, exec, s[20:21]
	s_cbranch_execnz .LBB99_18
.LBB99_19:                              ;   in Loop: Header=BB99_11 Depth=1
	s_or_b64 exec, exec, s[18:19]
	s_waitcnt lgkmcnt(0)
	s_barrier
.LBB99_20:                              ;   in Loop: Header=BB99_11 Depth=1
	s_and_saveexec_b64 s[18:19], s[6:7]
	s_cbranch_execz .LBB99_9
; %bb.21:                               ;   in Loop: Header=BB99_11 Depth=1
	global_load_dwordx2 v[0:1], v2, s[16:17]
	s_waitcnt vmcnt(0)
	v_xor_b32_e32 v1, 0x80000000, v1
	global_store_dwordx2 v2, v[0:1], s[16:17]
	s_branch .LBB99_9
.LBB99_22:
	s_mov_b32 s56, 0
.LBB99_23:
	s_cmp_lt_i32 s56, 1
	s_mov_b64 s[6:7], -1
	s_cbranch_scc0 .LBB99_257
; %bb.24:
	s_mul_i32 s6, s12, s40
	s_lshl_b32 s6, s6, 1
	s_ashr_i32 s7, s6, 31
	s_lshl_b64 s[6:7], s[6:7], 2
	s_add_u32 s6, s54, s6
	s_addc_u32 s7, s55, s7
	s_cmp_lg_u64 s[54:55], 0
	s_cselect_b32 s51, s7, 0
	s_cselect_b32 s50, s6, 0
	s_mov_b64 s[64:65], 0
	s_cmp_lg_u64 s[50:51], 0
	s_barrier
	s_cbranch_scc0 .LBB99_38
; %bb.25:
	s_or_b32 s6, s42, s41
	s_or_b32 s8, s6, s43
	s_cmp_gt_i32 s40, 0
	s_cselect_b64 s[62:63], -1, 0
	s_cmp_lg_u64 s[44:45], 0
	s_cselect_b64 s[6:7], -1, 0
	s_and_b64 s[48:49], s[62:63], s[6:7]
	s_cmp_eq_u32 s8, 0
	s_cbranch_scc1 .LBB99_39
; %bb.26:
	s_mov_b64 s[66:67], -1
	s_mov_b64 s[54:55], 0
	s_and_b64 vcc, exec, s[48:49]
	s_cbranch_vccz .LBB99_117
; %bb.27:
	v_cmp_gt_u32_e32 vcc, s40, v41
	s_barrier
	s_and_saveexec_b64 s[6:7], vcc
	s_cbranch_execz .LBB99_30
; %bb.28:
	s_mov_b64 s[8:9], 0
	v_mov_b32_e32 v1, 0
	v_mov_b32_e32 v2, s51
	;; [unrolled: 1-line block ×3, first 2 shown]
.LBB99_29:                              ; =>This Inner Loop Header: Depth=1
	v_lshlrev_b64 v[4:5], 2, v[0:1]
	v_add_co_u32_e32 v4, vcc, s50, v4
	v_addc_co_u32_e32 v5, vcc, v2, v5, vcc
	global_store_dword v[4:5], v0, off
	v_add_u32_e32 v0, s58, v0
	v_cmp_le_u32_e32 vcc, s40, v0
	s_or_b64 s[8:9], vcc, s[8:9]
	s_andn2_b64 exec, exec, s[8:9]
	s_cbranch_execnz .LBB99_29
.LBB99_30:
	s_or_b64 exec, exec, s[6:7]
	v_or3_b32 v0, v43, v44, v42
	v_cmp_eq_u32_e32 vcc, 0, v0
	s_barrier
	s_and_saveexec_b64 s[6:7], vcc
	s_cbranch_execz .LBB99_101
; %bb.31:
	s_cmpk_lt_i32 s40, 0x2be
	s_cbranch_scc1 .LBB99_40
; %bb.32:
	s_add_u32 s8, s50, 0xaf4
	s_addc_u32 s9, s51, 0
	s_mov_b64 s[10:11], 0x2bd
	s_mov_b32 s13, 0
	v_mov_b32_e32 v4, 0
	v_mov_b32_e32 v5, 0x1000
	s_mov_b64 s[14:15], s[46:47]
	s_branch .LBB99_34
.LBB99_33:                              ;   in Loop: Header=BB99_34 Depth=1
	s_lshl_b64 s[16:17], s[22:23], 3
	s_add_u32 s16, s46, s16
	s_addc_u32 s17, s47, s17
	global_store_dwordx2 v4, v[0:1], s[16:17]
	s_lshl_b64 s[16:17], s[22:23], 2
	s_add_u32 s16, s50, s16
	s_addc_u32 s17, s51, s17
	s_add_u32 s10, s10, 1
	s_addc_u32 s11, s11, 0
	;; [unrolled: 2-line block ×4, first 2 shown]
	s_cmp_eq_u32 s10, s40
	global_store_dword v4, v6, s[16:17]
	s_cbranch_scc1 .LBB99_40
.LBB99_34:                              ; =>This Loop Header: Depth=1
                                        ;     Child Loop BB99_36 Depth 2
	s_mov_b32 s12, s10
	s_lshl_b64 s[16:17], s[12:13], 3
	s_add_u32 s16, s46, s16
	s_addc_u32 s17, s47, s17
	s_lshl_b64 s[18:19], s[12:13], 2
	s_add_u32 s18, s50, s18
	s_addc_u32 s19, s51, s19
	global_load_dwordx2 v[0:1], v4, s[16:17]
	global_load_dword v6, v4, s[18:19]
	s_mov_b64 s[20:21], s[8:9]
	s_mov_b64 s[16:17], s[14:15]
	s_mov_b64 s[18:19], s[10:11]
	s_branch .LBB99_36
.LBB99_35:                              ;   in Loop: Header=BB99_36 Depth=2
	global_load_dword v7, v4, s[20:21] offset:-2804
	s_add_u32 s30, s20, 0xfffff50c
	s_addc_u32 s31, s21, -1
	s_add_u32 s22, s18, 0xfffffd43
	s_addc_u32 s23, s19, -1
	global_store_dwordx2 v5, v[2:3], s[16:17] offset:1512
	s_add_u32 s16, s16, 0xffffea18
	s_addc_u32 s17, s17, -1
	s_cmpk_lt_i32 s18, 0x57a
	s_mov_b64 s[18:19], s[22:23]
	s_cselect_b64 s[24:25], -1, 0
	s_waitcnt vmcnt(1)
	global_store_dword v4, v7, s[20:21]
	s_mov_b64 s[20:21], s[30:31]
	s_andn2_b64 vcc, exec, s[24:25]
	s_cbranch_vccz .LBB99_33
.LBB99_36:                              ;   Parent Loop BB99_34 Depth=1
                                        ; =>  This Inner Loop Header: Depth=2
	global_load_dwordx2 v[2:3], v4, s[16:17]
	s_mov_b64 s[24:25], -1
	s_waitcnt vmcnt(0)
	v_cmp_nlt_f64_e32 vcc, v[2:3], v[0:1]
	s_cbranch_vccz .LBB99_35
; %bb.37:                               ;   in Loop: Header=BB99_36 Depth=2
                                        ; implicit-def: $sgpr16_sgpr17
                                        ; implicit-def: $sgpr20_sgpr21
	s_mov_b64 s[22:23], s[18:19]
	s_andn2_b64 vcc, exec, s[24:25]
	s_cbranch_vccnz .LBB99_36
	s_branch .LBB99_33
.LBB99_38:
	s_branch .LBB99_233
.LBB99_39:
	s_mov_b64 s[54:55], 0
	s_cbranch_execnz .LBB99_142
	s_branch .LBB99_228
.LBB99_40:
	s_cmpk_lt_i32 s40, 0x12e
	s_cbranch_scc1 .LBB99_49
; %bb.41:
	s_add_u32 s8, s50, 0x4b4
	s_addc_u32 s9, s51, 0
	s_mov_b64 s[10:11], 0x12d
	s_mov_b32 s13, 0
	v_mov_b32_e32 v4, 0
	s_mov_b64 s[14:15], s[46:47]
	s_branch .LBB99_43
.LBB99_42:                              ;   in Loop: Header=BB99_43 Depth=1
	s_lshl_b64 s[18:19], s[16:17], 3
	s_add_u32 s18, s46, s18
	s_addc_u32 s19, s47, s19
	s_lshl_b64 s[16:17], s[16:17], 2
	s_add_u32 s16, s50, s16
	s_addc_u32 s17, s51, s17
	s_add_u32 s10, s10, 1
	s_addc_u32 s11, s11, 0
	;; [unrolled: 2-line block ×4, first 2 shown]
	s_cmp_lg_u32 s10, s40
	global_store_dwordx2 v4, v[0:1], s[18:19]
	global_store_dword v4, v5, s[16:17]
	s_cbranch_scc0 .LBB99_49
.LBB99_43:                              ; =>This Loop Header: Depth=1
                                        ;     Child Loop BB99_45 Depth 2
	s_mov_b32 s12, s10
	s_lshl_b64 s[16:17], s[12:13], 3
	s_add_u32 s16, s46, s16
	s_addc_u32 s17, s47, s17
	s_lshl_b64 s[18:19], s[12:13], 2
	s_add_u32 s18, s50, s18
	s_addc_u32 s19, s51, s19
	global_load_dwordx2 v[0:1], v4, s[16:17]
	global_load_dword v5, v4, s[18:19]
	s_mov_b64 s[18:19], s[14:15]
	s_mov_b64 s[20:21], s[8:9]
	;; [unrolled: 1-line block ×3, first 2 shown]
	s_branch .LBB99_45
.LBB99_44:                              ;   in Loop: Header=BB99_45 Depth=2
	global_load_dword v6, v4, s[20:21] offset:-1204
	s_add_u32 s64, s20, 0xfffffb4c
	s_addc_u32 s65, s21, -1
	s_add_u32 s24, s16, 0xfffffed3
	s_addc_u32 s25, s17, -1
	global_store_dwordx2 v4, v[2:3], s[18:19] offset:2408
	s_add_u32 s18, s18, 0xfffff698
	s_addc_u32 s19, s19, -1
	s_cmpk_lt_i32 s16, 0x25a
	s_mov_b64 s[22:23], 0
	s_mov_b64 s[16:17], s[24:25]
	s_cselect_b64 s[30:31], -1, 0
	s_waitcnt vmcnt(1)
	global_store_dword v4, v6, s[20:21]
	s_mov_b64 s[20:21], s[64:65]
	s_andn2_b64 vcc, exec, s[30:31]
	s_cbranch_vccz .LBB99_47
.LBB99_45:                              ;   Parent Loop BB99_43 Depth=1
                                        ; =>  This Inner Loop Header: Depth=2
	global_load_dwordx2 v[2:3], v4, s[18:19]
	s_mov_b64 s[22:23], -1
	s_waitcnt vmcnt(0)
	v_cmp_nlt_f64_e32 vcc, v[2:3], v[0:1]
	s_cbranch_vccz .LBB99_44
; %bb.46:                               ;   in Loop: Header=BB99_43 Depth=1
                                        ; implicit-def: $sgpr20_sgpr21
                                        ; implicit-def: $sgpr18_sgpr19
                                        ; implicit-def: $sgpr24_sgpr25
.LBB99_47:                              ;   in Loop: Header=BB99_43 Depth=1
	s_andn2_b64 vcc, exec, s[22:23]
	s_cbranch_vccz .LBB99_42
; %bb.48:                               ;   in Loop: Header=BB99_43 Depth=1
	s_bfe_i64 s[16:17], s[24:25], 0x200000
	s_branch .LBB99_42
.LBB99_49:
	s_cmpk_lt_i32 s40, 0x85
	s_cbranch_scc1 .LBB99_58
; %bb.50:
	s_add_u32 s8, s50, 0x210
	s_addc_u32 s9, s51, 0
	s_mov_b64 s[10:11], 0x84
	s_mov_b32 s13, 0
	v_mov_b32_e32 v4, 0
	s_mov_b64 s[14:15], s[46:47]
	s_branch .LBB99_52
.LBB99_51:                              ;   in Loop: Header=BB99_52 Depth=1
	s_lshl_b64 s[18:19], s[16:17], 3
	s_add_u32 s18, s46, s18
	s_addc_u32 s19, s47, s19
	s_lshl_b64 s[16:17], s[16:17], 2
	s_add_u32 s16, s50, s16
	s_addc_u32 s17, s51, s17
	s_add_u32 s10, s10, 1
	s_addc_u32 s11, s11, 0
	;; [unrolled: 2-line block ×4, first 2 shown]
	s_cmp_lg_u32 s10, s40
	global_store_dwordx2 v4, v[0:1], s[18:19]
	global_store_dword v4, v5, s[16:17]
	s_cbranch_scc0 .LBB99_58
.LBB99_52:                              ; =>This Loop Header: Depth=1
                                        ;     Child Loop BB99_54 Depth 2
	s_mov_b32 s12, s10
	s_lshl_b64 s[16:17], s[12:13], 3
	s_add_u32 s16, s46, s16
	s_addc_u32 s17, s47, s17
	s_lshl_b64 s[18:19], s[12:13], 2
	s_add_u32 s18, s50, s18
	s_addc_u32 s19, s51, s19
	global_load_dwordx2 v[0:1], v4, s[16:17]
	global_load_dword v5, v4, s[18:19]
	s_mov_b64 s[18:19], s[14:15]
	s_mov_b64 s[20:21], s[8:9]
	;; [unrolled: 1-line block ×3, first 2 shown]
	s_branch .LBB99_54
.LBB99_53:                              ;   in Loop: Header=BB99_54 Depth=2
	global_load_dword v6, v4, s[20:21] offset:-528
	s_add_u32 s64, s20, 0xfffffdf0
	s_addc_u32 s65, s21, -1
	s_add_u32 s24, s16, 0xffffff7c
	s_addc_u32 s25, s17, -1
	global_store_dwordx2 v4, v[2:3], s[18:19] offset:1056
	s_add_u32 s18, s18, 0xfffffbe0
	s_addc_u32 s19, s19, -1
	s_cmpk_lt_i32 s16, 0x108
	s_mov_b64 s[22:23], 0
	s_mov_b64 s[16:17], s[24:25]
	s_cselect_b64 s[30:31], -1, 0
	s_waitcnt vmcnt(1)
	global_store_dword v4, v6, s[20:21]
	s_mov_b64 s[20:21], s[64:65]
	s_andn2_b64 vcc, exec, s[30:31]
	s_cbranch_vccz .LBB99_56
.LBB99_54:                              ;   Parent Loop BB99_52 Depth=1
                                        ; =>  This Inner Loop Header: Depth=2
	global_load_dwordx2 v[2:3], v4, s[18:19]
	s_mov_b64 s[22:23], -1
	s_waitcnt vmcnt(0)
	v_cmp_nlt_f64_e32 vcc, v[2:3], v[0:1]
	s_cbranch_vccz .LBB99_53
; %bb.55:                               ;   in Loop: Header=BB99_52 Depth=1
                                        ; implicit-def: $sgpr20_sgpr21
                                        ; implicit-def: $sgpr18_sgpr19
                                        ; implicit-def: $sgpr24_sgpr25
.LBB99_56:                              ;   in Loop: Header=BB99_52 Depth=1
	s_andn2_b64 vcc, exec, s[22:23]
	s_cbranch_vccz .LBB99_51
; %bb.57:                               ;   in Loop: Header=BB99_52 Depth=1
	s_bfe_i64 s[16:17], s[24:25], 0x200000
	s_branch .LBB99_51
.LBB99_58:
	s_cmp_lt_i32 s40, 58
	s_cbranch_scc1 .LBB99_67
; %bb.59:
	s_add_u32 s8, s50, 0xe4
	s_addc_u32 s9, s51, 0
	s_mov_b64 s[10:11], 57
	s_mov_b32 s13, 0
	v_mov_b32_e32 v4, 0
	s_mov_b64 s[14:15], s[46:47]
	s_branch .LBB99_61
.LBB99_60:                              ;   in Loop: Header=BB99_61 Depth=1
	s_lshl_b64 s[18:19], s[16:17], 3
	s_add_u32 s18, s46, s18
	s_addc_u32 s19, s47, s19
	s_lshl_b64 s[16:17], s[16:17], 2
	s_add_u32 s16, s50, s16
	s_addc_u32 s17, s51, s17
	s_add_u32 s10, s10, 1
	s_addc_u32 s11, s11, 0
	;; [unrolled: 2-line block ×4, first 2 shown]
	s_cmp_lg_u32 s10, s40
	global_store_dwordx2 v4, v[0:1], s[18:19]
	global_store_dword v4, v5, s[16:17]
	s_cbranch_scc0 .LBB99_67
.LBB99_61:                              ; =>This Loop Header: Depth=1
                                        ;     Child Loop BB99_63 Depth 2
	s_mov_b32 s12, s10
	s_lshl_b64 s[16:17], s[12:13], 3
	s_add_u32 s16, s46, s16
	s_addc_u32 s17, s47, s17
	s_lshl_b64 s[18:19], s[12:13], 2
	s_add_u32 s18, s50, s18
	s_addc_u32 s19, s51, s19
	global_load_dwordx2 v[0:1], v4, s[16:17]
	global_load_dword v5, v4, s[18:19]
	s_mov_b64 s[18:19], s[14:15]
	s_mov_b64 s[20:21], s[8:9]
	;; [unrolled: 1-line block ×3, first 2 shown]
	s_branch .LBB99_63
.LBB99_62:                              ;   in Loop: Header=BB99_63 Depth=2
	global_load_dword v6, v4, s[20:21] offset:-228
	s_add_u32 s64, s20, 0xffffff1c
	s_addc_u32 s65, s21, -1
	s_add_u32 s24, s16, 0xffffffc7
	s_addc_u32 s25, s17, -1
	global_store_dwordx2 v4, v[2:3], s[18:19] offset:456
	s_add_u32 s18, s18, 0xfffffe38
	s_addc_u32 s19, s19, -1
	s_cmpk_lt_i32 s16, 0x72
	s_mov_b64 s[22:23], 0
	s_mov_b64 s[16:17], s[24:25]
	s_cselect_b64 s[30:31], -1, 0
	s_waitcnt vmcnt(1)
	global_store_dword v4, v6, s[20:21]
	s_mov_b64 s[20:21], s[64:65]
	s_andn2_b64 vcc, exec, s[30:31]
	s_cbranch_vccz .LBB99_65
.LBB99_63:                              ;   Parent Loop BB99_61 Depth=1
                                        ; =>  This Inner Loop Header: Depth=2
	global_load_dwordx2 v[2:3], v4, s[18:19]
	s_mov_b64 s[22:23], -1
	s_waitcnt vmcnt(0)
	v_cmp_nlt_f64_e32 vcc, v[2:3], v[0:1]
	s_cbranch_vccz .LBB99_62
; %bb.64:                               ;   in Loop: Header=BB99_61 Depth=1
                                        ; implicit-def: $sgpr20_sgpr21
                                        ; implicit-def: $sgpr18_sgpr19
                                        ; implicit-def: $sgpr24_sgpr25
.LBB99_65:                              ;   in Loop: Header=BB99_61 Depth=1
	s_andn2_b64 vcc, exec, s[22:23]
	s_cbranch_vccz .LBB99_60
; %bb.66:                               ;   in Loop: Header=BB99_61 Depth=1
	s_bfe_i64 s[16:17], s[24:25], 0x200000
	s_branch .LBB99_60
.LBB99_67:
	s_cmp_lt_i32 s40, 24
	s_cbranch_scc1 .LBB99_76
; %bb.68:
	s_add_u32 s8, s50, 0x5c
	s_addc_u32 s9, s51, 0
	s_mov_b64 s[10:11], 23
	s_mov_b32 s13, 0
	v_mov_b32_e32 v4, 0
	s_mov_b64 s[14:15], s[46:47]
	s_branch .LBB99_70
.LBB99_69:                              ;   in Loop: Header=BB99_70 Depth=1
	s_lshl_b64 s[18:19], s[16:17], 3
	s_add_u32 s18, s46, s18
	s_addc_u32 s19, s47, s19
	s_lshl_b64 s[16:17], s[16:17], 2
	s_add_u32 s16, s50, s16
	s_addc_u32 s17, s51, s17
	s_add_u32 s10, s10, 1
	s_addc_u32 s11, s11, 0
	s_add_u32 s8, s8, 4
	s_addc_u32 s9, s9, 0
	s_add_u32 s14, s14, 8
	s_addc_u32 s15, s15, 0
	s_cmp_lg_u32 s10, s40
	global_store_dwordx2 v4, v[0:1], s[18:19]
	global_store_dword v4, v5, s[16:17]
	s_cbranch_scc0 .LBB99_76
.LBB99_70:                              ; =>This Loop Header: Depth=1
                                        ;     Child Loop BB99_72 Depth 2
	s_mov_b32 s12, s10
	s_lshl_b64 s[16:17], s[12:13], 3
	s_add_u32 s16, s46, s16
	s_addc_u32 s17, s47, s17
	s_lshl_b64 s[18:19], s[12:13], 2
	s_add_u32 s18, s50, s18
	s_addc_u32 s19, s51, s19
	global_load_dwordx2 v[0:1], v4, s[16:17]
	global_load_dword v5, v4, s[18:19]
	s_mov_b64 s[18:19], s[14:15]
	s_mov_b64 s[20:21], s[8:9]
	;; [unrolled: 1-line block ×3, first 2 shown]
	s_branch .LBB99_72
.LBB99_71:                              ;   in Loop: Header=BB99_72 Depth=2
	global_load_dword v6, v4, s[20:21] offset:-92
	s_add_u32 s64, s20, 0xffffffa4
	s_addc_u32 s65, s21, -1
	s_add_u32 s24, s16, 0xffffffe9
	s_addc_u32 s25, s17, -1
	global_store_dwordx2 v4, v[2:3], s[18:19] offset:184
	s_add_u32 s18, s18, 0xffffff48
	s_addc_u32 s19, s19, -1
	s_cmp_lt_i32 s16, 46
	s_mov_b64 s[22:23], 0
	s_mov_b64 s[16:17], s[24:25]
	s_cselect_b64 s[30:31], -1, 0
	s_waitcnt vmcnt(1)
	global_store_dword v4, v6, s[20:21]
	s_mov_b64 s[20:21], s[64:65]
	s_andn2_b64 vcc, exec, s[30:31]
	s_cbranch_vccz .LBB99_74
.LBB99_72:                              ;   Parent Loop BB99_70 Depth=1
                                        ; =>  This Inner Loop Header: Depth=2
	global_load_dwordx2 v[2:3], v4, s[18:19]
	s_mov_b64 s[22:23], -1
	s_waitcnt vmcnt(0)
	v_cmp_nlt_f64_e32 vcc, v[2:3], v[0:1]
	s_cbranch_vccz .LBB99_71
; %bb.73:                               ;   in Loop: Header=BB99_70 Depth=1
                                        ; implicit-def: $sgpr20_sgpr21
                                        ; implicit-def: $sgpr18_sgpr19
                                        ; implicit-def: $sgpr24_sgpr25
.LBB99_74:                              ;   in Loop: Header=BB99_70 Depth=1
	s_andn2_b64 vcc, exec, s[22:23]
	s_cbranch_vccz .LBB99_69
; %bb.75:                               ;   in Loop: Header=BB99_70 Depth=1
	s_bfe_i64 s[16:17], s[24:25], 0x200000
	s_branch .LBB99_69
.LBB99_76:
	s_cmp_lt_i32 s40, 11
	s_cbranch_scc1 .LBB99_85
; %bb.77:
	s_add_u32 s8, s50, 40
	s_addc_u32 s9, s51, 0
	s_mov_b64 s[10:11], 10
	s_mov_b32 s13, 0
	v_mov_b32_e32 v4, 0
	s_mov_b64 s[14:15], s[46:47]
	s_branch .LBB99_79
.LBB99_78:                              ;   in Loop: Header=BB99_79 Depth=1
	s_lshl_b64 s[18:19], s[16:17], 3
	s_add_u32 s18, s46, s18
	s_addc_u32 s19, s47, s19
	s_lshl_b64 s[16:17], s[16:17], 2
	s_add_u32 s16, s50, s16
	s_addc_u32 s17, s51, s17
	s_add_u32 s10, s10, 1
	s_addc_u32 s11, s11, 0
	;; [unrolled: 2-line block ×4, first 2 shown]
	s_cmp_lg_u32 s10, s40
	global_store_dwordx2 v4, v[0:1], s[18:19]
	global_store_dword v4, v5, s[16:17]
	s_cbranch_scc0 .LBB99_85
.LBB99_79:                              ; =>This Loop Header: Depth=1
                                        ;     Child Loop BB99_81 Depth 2
	s_mov_b32 s12, s10
	s_lshl_b64 s[16:17], s[12:13], 3
	s_add_u32 s16, s46, s16
	s_addc_u32 s17, s47, s17
	s_lshl_b64 s[18:19], s[12:13], 2
	s_add_u32 s18, s50, s18
	s_addc_u32 s19, s51, s19
	global_load_dwordx2 v[0:1], v4, s[16:17]
	global_load_dword v5, v4, s[18:19]
	s_mov_b64 s[18:19], s[14:15]
	s_mov_b64 s[20:21], s[8:9]
	;; [unrolled: 1-line block ×3, first 2 shown]
	s_branch .LBB99_81
.LBB99_80:                              ;   in Loop: Header=BB99_81 Depth=2
	global_load_dword v6, v4, s[20:21] offset:-40
	s_add_u32 s64, s20, 0xffffffd8
	s_addc_u32 s65, s21, -1
	s_add_u32 s24, s16, -10
	s_addc_u32 s25, s17, -1
	global_store_dwordx2 v4, v[2:3], s[18:19] offset:80
	s_add_u32 s18, s18, 0xffffffb0
	s_addc_u32 s19, s19, -1
	s_cmp_lt_i32 s16, 20
	s_mov_b64 s[22:23], 0
	s_mov_b64 s[16:17], s[24:25]
	s_cselect_b64 s[30:31], -1, 0
	s_waitcnt vmcnt(1)
	global_store_dword v4, v6, s[20:21]
	s_mov_b64 s[20:21], s[64:65]
	s_andn2_b64 vcc, exec, s[30:31]
	s_cbranch_vccz .LBB99_83
.LBB99_81:                              ;   Parent Loop BB99_79 Depth=1
                                        ; =>  This Inner Loop Header: Depth=2
	global_load_dwordx2 v[2:3], v4, s[18:19]
	s_mov_b64 s[22:23], -1
	s_waitcnt vmcnt(0)
	v_cmp_nlt_f64_e32 vcc, v[2:3], v[0:1]
	s_cbranch_vccz .LBB99_80
; %bb.82:                               ;   in Loop: Header=BB99_79 Depth=1
                                        ; implicit-def: $sgpr20_sgpr21
                                        ; implicit-def: $sgpr18_sgpr19
                                        ; implicit-def: $sgpr24_sgpr25
.LBB99_83:                              ;   in Loop: Header=BB99_79 Depth=1
	s_andn2_b64 vcc, exec, s[22:23]
	s_cbranch_vccz .LBB99_78
; %bb.84:                               ;   in Loop: Header=BB99_79 Depth=1
	s_bfe_i64 s[16:17], s[24:25], 0x200000
	s_branch .LBB99_78
.LBB99_85:
	s_cmp_lt_i32 s40, 5
	s_cbranch_scc1 .LBB99_94
; %bb.86:
	s_add_u32 s8, s50, 16
	s_addc_u32 s9, s51, 0
	s_add_u32 s10, s60, s44
	s_addc_u32 s11, s61, s45
	;; [unrolled: 2-line block ×3, first 2 shown]
	s_mov_b64 s[12:13], 4
	s_mov_b32 s15, 0
	v_mov_b32_e32 v4, 0
	s_branch .LBB99_88
.LBB99_87:                              ;   in Loop: Header=BB99_88 Depth=1
	s_lshl_b64 s[18:19], s[16:17], 3
	s_add_u32 s18, s46, s18
	s_addc_u32 s19, s47, s19
	s_lshl_b64 s[16:17], s[16:17], 2
	s_add_u32 s16, s50, s16
	s_addc_u32 s17, s51, s17
	s_add_u32 s12, s12, 1
	s_addc_u32 s13, s13, 0
	s_add_u32 s8, s8, 4
	s_addc_u32 s9, s9, 0
	s_add_u32 s10, s10, 8
	s_addc_u32 s11, s11, 0
	s_cmp_lg_u32 s12, s40
	global_store_dwordx2 v4, v[0:1], s[18:19]
	global_store_dword v4, v5, s[16:17]
	s_cbranch_scc0 .LBB99_94
.LBB99_88:                              ; =>This Loop Header: Depth=1
                                        ;     Child Loop BB99_90 Depth 2
	s_mov_b32 s14, s12
	s_lshl_b64 s[16:17], s[14:15], 3
	s_add_u32 s16, s46, s16
	s_addc_u32 s17, s47, s17
	s_lshl_b64 s[18:19], s[14:15], 2
	s_add_u32 s18, s50, s18
	s_addc_u32 s19, s51, s19
	global_load_dwordx2 v[0:1], v4, s[16:17]
	global_load_dword v5, v4, s[18:19]
	s_mov_b64 s[20:21], s[10:11]
	s_mov_b64 s[18:19], s[8:9]
	;; [unrolled: 1-line block ×3, first 2 shown]
	s_branch .LBB99_90
.LBB99_89:                              ;   in Loop: Header=BB99_90 Depth=2
	global_load_dword v6, v4, s[18:19] offset:-16
	s_mov_b64 s[22:23], 0
	global_store_dwordx2 v4, v[2:3], s[20:21]
	s_add_u32 s20, s18, -16
	s_addc_u32 s21, s19, -1
	s_add_u32 s24, s16, -4
	s_addc_u32 s25, s17, -1
	s_cmp_lt_i32 s16, 8
	s_mov_b64 s[16:17], s[24:25]
	s_cselect_b64 s[64:65], -1, 0
	s_waitcnt vmcnt(1)
	global_store_dword v4, v6, s[18:19]
	s_mov_b64 s[18:19], s[20:21]
	s_mov_b64 s[20:21], s[30:31]
	s_andn2_b64 vcc, exec, s[64:65]
	s_cbranch_vccz .LBB99_92
.LBB99_90:                              ;   Parent Loop BB99_88 Depth=1
                                        ; =>  This Inner Loop Header: Depth=2
	global_load_dwordx2 v[2:3], v4, s[20:21] offset:-32
	s_add_u32 s30, s20, 0xffffffe0
	s_addc_u32 s31, s21, -1
	s_mov_b64 s[22:23], -1
	s_waitcnt vmcnt(0)
	v_cmp_nlt_f64_e32 vcc, v[2:3], v[0:1]
	s_cbranch_vccz .LBB99_89
; %bb.91:                               ;   in Loop: Header=BB99_88 Depth=1
                                        ; implicit-def: $sgpr18_sgpr19
                                        ; implicit-def: $sgpr20_sgpr21
                                        ; implicit-def: $sgpr24_sgpr25
.LBB99_92:                              ;   in Loop: Header=BB99_88 Depth=1
	s_andn2_b64 vcc, exec, s[22:23]
	s_cbranch_vccz .LBB99_87
; %bb.93:                               ;   in Loop: Header=BB99_88 Depth=1
	s_bfe_i64 s[16:17], s[24:25], 0x200000
	s_branch .LBB99_87
.LBB99_94:
	s_cmp_lt_i32 s40, 2
	s_cbranch_scc1 .LBB99_101
; %bb.95:
	s_add_u32 s8, s50, 4
	s_addc_u32 s9, s51, 0
	s_add_u32 s10, s60, s44
	s_addc_u32 s11, s61, s45
	;; [unrolled: 2-line block ×3, first 2 shown]
	s_mov_b64 s[12:13], 1
	s_mov_b32 s15, 0
	v_mov_b32_e32 v4, 0
	s_branch .LBB99_97
.LBB99_96:                              ;   in Loop: Header=BB99_97 Depth=1
	s_lshl_b64 s[16:17], s[22:23], 3
	s_add_u32 s16, s46, s16
	s_addc_u32 s17, s47, s17
	global_store_dwordx2 v4, v[0:1], s[16:17]
	s_lshl_b64 s[16:17], s[22:23], 2
	s_add_u32 s16, s50, s16
	s_addc_u32 s17, s51, s17
	s_add_u32 s12, s12, 1
	s_addc_u32 s13, s13, 0
	;; [unrolled: 2-line block ×4, first 2 shown]
	s_cmp_eq_u32 s12, s40
	global_store_dword v4, v5, s[16:17]
	s_cbranch_scc1 .LBB99_101
.LBB99_97:                              ; =>This Loop Header: Depth=1
                                        ;     Child Loop BB99_99 Depth 2
	s_mov_b32 s14, s12
	s_lshl_b64 s[16:17], s[14:15], 3
	s_add_u32 s16, s46, s16
	s_addc_u32 s17, s47, s17
	s_lshl_b64 s[18:19], s[14:15], 2
	s_add_u32 s18, s50, s18
	s_addc_u32 s19, s51, s19
	global_load_dwordx2 v[0:1], v4, s[16:17]
	global_load_dword v5, v4, s[18:19]
	s_mov_b64 s[20:21], s[10:11]
	s_mov_b64 s[16:17], s[8:9]
	;; [unrolled: 1-line block ×3, first 2 shown]
	s_branch .LBB99_99
.LBB99_98:                              ;   in Loop: Header=BB99_99 Depth=2
	global_load_dword v6, v4, s[16:17] offset:-4
	s_mov_b64 s[22:23], 0
	global_store_dwordx2 v4, v[2:3], s[20:21]
	s_add_u32 s20, s16, -4
	s_addc_u32 s21, s17, -1
	s_add_u32 s30, s18, -1
	s_addc_u32 s31, s19, -1
	s_cmp_lt_i32 s18, 2
	s_mov_b64 s[18:19], s[30:31]
	s_cselect_b64 s[30:31], -1, 0
	s_waitcnt vmcnt(1)
	global_store_dword v4, v6, s[16:17]
	s_mov_b64 s[16:17], s[20:21]
	s_mov_b64 s[20:21], s[24:25]
	s_andn2_b64 vcc, exec, s[30:31]
	s_cbranch_vccz .LBB99_96
.LBB99_99:                              ;   Parent Loop BB99_97 Depth=1
                                        ; =>  This Inner Loop Header: Depth=2
	global_load_dwordx2 v[2:3], v4, s[20:21] offset:-8
	s_add_u32 s24, s20, -8
	s_addc_u32 s25, s21, -1
	s_mov_b64 s[30:31], -1
	s_waitcnt vmcnt(0)
	v_cmp_nlt_f64_e32 vcc, v[2:3], v[0:1]
	s_cbranch_vccz .LBB99_98
; %bb.100:                              ;   in Loop: Header=BB99_99 Depth=2
                                        ; implicit-def: $sgpr16_sgpr17
                                        ; implicit-def: $sgpr20_sgpr21
	s_mov_b64 s[22:23], s[18:19]
	s_andn2_b64 vcc, exec, s[30:31]
	s_cbranch_vccnz .LBB99_99
	s_branch .LBB99_96
.LBB99_101:
	s_or_b64 exec, exec, s[6:7]
	s_cmp_lt_i32 s40, 2
	s_cselect_b64 s[10:11], -1, 0
	s_mov_b64 s[66:67], 0
	s_and_b64 vcc, exec, s[10:11]
	s_barrier
	s_cbranch_vccnz .LBB99_109
; %bb.102:
	s_add_i32 s20, s40, -1
	v_cmp_gt_u32_e32 vcc, s20, v41
	s_mov_b64 s[10:11], -1
	s_mov_b64 s[6:7], 0
	s_and_saveexec_b64 s[8:9], vcc
	s_cbranch_execz .LBB99_111
; %bb.103:
	s_add_u32 s21, s46, 8
	s_addc_u32 s22, s47, 0
	s_mov_b64 s[10:11], 0
	v_mov_b32_e32 v1, 0
	v_mov_b32_e32 v4, s47
	;; [unrolled: 1-line block ×3, first 2 shown]
                                        ; implicit-def: $sgpr12_sgpr13
	s_branch .LBB99_105
.LBB99_104:                             ;   in Loop: Header=BB99_105 Depth=1
	s_or_b64 exec, exec, s[18:19]
	s_xor_b64 s[14:15], s[14:15], -1
	s_and_b64 s[6:7], exec, s[6:7]
	s_or_b64 s[10:11], s[6:7], s[10:11]
	s_andn2_b64 s[6:7], s[12:13], exec
	s_and_b64 s[12:13], s[14:15], exec
	s_or_b64 s[12:13], s[6:7], s[12:13]
	s_andn2_b64 exec, exec, s[10:11]
	s_cbranch_execz .LBB99_110
.LBB99_105:                             ; =>This Inner Loop Header: Depth=1
	v_lshlrev_b64 v[2:3], 3, v[0:1]
	v_add_co_u32_e32 v2, vcc, s46, v2
	v_addc_co_u32_e32 v3, vcc, v4, v3, vcc
	global_load_dwordx2 v[2:3], v[2:3], off
                                        ; implicit-def: $sgpr14_sgpr15
	s_waitcnt vmcnt(0)
	v_cmp_u_f64_e64 s[16:17], v[2:3], v[2:3]
	v_cmp_o_f64_e32 vcc, v[2:3], v[2:3]
	s_and_saveexec_b64 s[18:19], vcc
	s_cbranch_execz .LBB99_107
; %bb.106:                              ;   in Loop: Header=BB99_105 Depth=1
	v_ashrrev_i32_e32 v7, 31, v0
	v_mov_b32_e32 v6, v0
	v_lshlrev_b64 v[6:7], 3, v[6:7]
	v_mov_b32_e32 v5, s22
	v_add_co_u32_e32 v6, vcc, s21, v6
	v_addc_co_u32_e32 v7, vcc, v5, v7, vcc
	global_load_dwordx2 v[6:7], v[6:7], off
	s_andn2_b64 s[16:17], s[16:17], exec
	s_mov_b64 s[14:15], -1
	s_waitcnt vmcnt(0)
	v_cmp_u_f64_e32 vcc, v[6:7], v[6:7]
	v_cmp_ge_f64_e64 s[6:7], v[2:3], v[6:7]
	s_or_b64 s[6:7], vcc, s[6:7]
	s_and_b64 s[6:7], s[6:7], exec
	s_or_b64 s[16:17], s[16:17], s[6:7]
.LBB99_107:                             ;   in Loop: Header=BB99_105 Depth=1
	s_or_b64 exec, exec, s[18:19]
	s_mov_b64 s[6:7], -1
	s_and_saveexec_b64 s[18:19], s[16:17]
	s_cbranch_execz .LBB99_104
; %bb.108:                              ;   in Loop: Header=BB99_105 Depth=1
	v_add_u32_e32 v0, s58, v0
	v_cmp_le_u32_e32 vcc, s20, v0
	s_andn2_b64 s[14:15], s[14:15], exec
	s_orn2_b64 s[6:7], vcc, exec
	s_branch .LBB99_104
.LBB99_109:
	s_mov_b64 s[6:7], 0
	s_branch .LBB99_112
.LBB99_110:
	s_or_b64 exec, exec, s[10:11]
	s_mov_b64 s[6:7], exec
	s_orn2_b64 s[10:11], s[12:13], exec
.LBB99_111:
	s_or_b64 exec, exec, s[8:9]
.LBB99_112:
	s_and_saveexec_b64 s[8:9], s[10:11]
	s_cbranch_execz .LBB99_114
; %bb.113:
	s_mov_b64 s[66:67], exec
	s_barrier
	s_andn2_b64 s[6:7], s[6:7], exec
.LBB99_114:
	s_or_b64 exec, exec, s[8:9]
	s_mov_b64 s[64:65], 0
	s_and_saveexec_b64 s[68:69], s[6:7]
	s_cbranch_execz .LBB99_116
; %bb.115:
	s_add_u32 s8, s4, 0x90
	s_addc_u32 s9, s5, 0
	s_getpc_b64 s[6:7]
	s_add_u32 s6, s6, __PRETTY_FUNCTION__._ZN9rocsolver6v33100L21shell_sort_descendingIdiEEvT0_PT_PS2_@rel32@lo+4
	s_addc_u32 s7, s7, __PRETTY_FUNCTION__._ZN9rocsolver6v33100L21shell_sort_descendingIdiEEvT0_PT_PS2_@rel32@hi+12
	v_mov_b32_e32 v0, s6
	v_mov_b32_e32 v1, s7
	s_getpc_b64 s[10:11]
	s_add_u32 s10, s10, __assert_fail@rel32@lo+4
	s_addc_u32 s11, s11, __assert_fail@rel32@hi+12
	s_mov_b64 s[64:65], s[4:5]
	s_swappc_b64 s[30:31], s[10:11]
	s_mov_b64 s[4:5], s[64:65]
	s_mov_b64 s[64:65], exec
.LBB99_116:
	s_or_b64 exec, exec, s[68:69]
.LBB99_117:
	s_and_saveexec_b64 s[20:21], s[66:67]
	s_cbranch_execz .LBB99_141
; %bb.118:
	s_andn2_b64 vcc, exec, s[62:63]
	s_barrier
	s_cbranch_vccnz .LBB99_140
; %bb.119:
	s_cmp_gt_i32 s41, 0
	s_cselect_b64 s[14:15], -1, 0
	s_ashr_i32 s33, s59, 31
	s_cmp_gt_i32 s42, 0
	s_cselect_b64 s[16:17], -1, 0
	s_cmp_gt_i32 s43, 0
	v_cndmask_b32_e64 v0, 0, 1, s[14:15]
	s_cselect_b64 s[18:19], -1, 0
	v_cmp_ne_u32_e64 s[14:15], 1, v0
	v_cndmask_b32_e64 v0, 0, 1, s[16:17]
	s_mov_b32 s23, 0
	v_cmp_ne_u32_e64 s[16:17], 1, v0
	v_cndmask_b32_e64 v0, 0, 1, s[18:19]
	v_cmp_eq_u32_e64 s[6:7], 0, v41
	v_cmp_gt_u32_e64 s[8:9], s41, v41
	s_mov_b32 s72, s59
	v_cmp_gt_u32_e64 s[10:11], s42, v41
	s_mov_b32 s73, s39
	v_cmp_gt_u32_e64 s[12:13], s43, v41
	s_ashr_i32 s74, s57, 31
	s_mov_b32 s75, s57
	v_mov_b32_e32 v1, 0
	v_cmp_ne_u32_e64 s[18:19], 1, v0
	s_mov_b32 s22, s23
	s_branch .LBB99_121
.LBB99_120:                             ;   in Loop: Header=BB99_121 Depth=1
	s_add_i32 s22, s22, 1
	s_cmp_eq_u32 s22, s40
	s_cbranch_scc1 .LBB99_140
.LBB99_121:                             ; =>This Loop Header: Depth=1
                                        ;     Child Loop BB99_124 Depth 2
                                        ;       Child Loop BB99_129 Depth 3
                                        ;       Child Loop BB99_134 Depth 3
	;; [unrolled: 1-line block ×3, first 2 shown]
	s_lshl_b64 s[24:25], s[22:23], 2
	s_add_u32 s24, s50, s24
	s_addc_u32 s25, s51, s25
	global_load_dword v0, v1, s[24:25]
	s_waitcnt vmcnt(0)
	v_cmp_eq_u32_e32 vcc, s22, v0
	v_readfirstlane_b32 s30, v0
	s_cbranch_vccz .LBB99_124
	s_branch .LBB99_120
.LBB99_122:                             ;   in Loop: Header=BB99_124 Depth=2
	s_or_b64 exec, exec, s[62:63]
	s_waitcnt lgkmcnt(0)
	s_barrier
.LBB99_123:                             ;   in Loop: Header=BB99_124 Depth=2
	global_load_dword v0, v1, s[24:25]
	s_waitcnt vmcnt(0)
	v_cmp_ne_u32_e32 vcc, s22, v0
	v_readfirstlane_b32 s30, v0
	s_cbranch_vccz .LBB99_120
.LBB99_124:                             ;   Parent Loop BB99_121 Depth=1
                                        ; =>  This Loop Header: Depth=2
                                        ;       Child Loop BB99_129 Depth 3
                                        ;       Child Loop BB99_134 Depth 3
	;; [unrolled: 1-line block ×3, first 2 shown]
	s_ashr_i32 s31, s30, 31
	s_lshl_b64 s[54:55], s[30:31], 2
	s_add_u32 s62, s50, s54
	s_addc_u32 s63, s51, s55
	global_load_dword v0, v1, s[62:63]
	s_barrier
	s_waitcnt vmcnt(0)
	v_readfirstlane_b32 s54, v0
	s_and_saveexec_b64 s[66:67], s[6:7]
	s_cbranch_execz .LBB99_126
; %bb.125:                              ;   in Loop: Header=BB99_124 Depth=2
	v_mov_b32_e32 v0, s30
	global_store_dword v1, v0, s[62:63]
	v_mov_b32_e32 v0, s54
	global_store_dword v1, v0, s[24:25]
.LBB99_126:                             ;   in Loop: Header=BB99_124 Depth=2
	s_or_b64 exec, exec, s[66:67]
	s_and_b64 vcc, exec, s[14:15]
	s_barrier
	s_cbranch_vccnz .LBB99_131
; %bb.127:                              ;   in Loop: Header=BB99_124 Depth=2
	s_and_saveexec_b64 s[62:63], s[8:9]
	s_cbranch_execz .LBB99_130
; %bb.128:                              ;   in Loop: Header=BB99_124 Depth=2
	s_ashr_i32 s55, s54, 31
	s_mov_b64 s[66:67], 0
	s_lshl_b64 s[68:69], s[30:31], 3
	s_lshl_b64 s[70:71], s[54:55], 3
	v_mov_b32_e32 v0, v41
.LBB99_129:                             ;   Parent Loop BB99_121 Depth=1
                                        ;     Parent Loop BB99_124 Depth=2
                                        ; =>    This Inner Loop Header: Depth=3
	v_mad_u64_u32 v[2:3], s[76:77], v0, s72, 0
	v_mov_b32_e32 v4, v3
	v_mad_u64_u32 v[4:5], s[76:77], v0, s33, v[4:5]
	v_mov_b32_e32 v3, v4
	v_lshlrev_b64 v[2:3], 3, v[2:3]
	v_mov_b32_e32 v6, s29
	v_add_co_u32_e32 v4, vcc, s28, v2
	v_addc_co_u32_e32 v5, vcc, v6, v3, vcc
	v_mov_b32_e32 v7, s69
	v_add_co_u32_e32 v2, vcc, s68, v4
	v_addc_co_u32_e32 v3, vcc, v5, v7, vcc
	;; [unrolled: 3-line block ×3, first 2 shown]
	flat_load_dwordx2 v[6:7], v[4:5]
	flat_load_dwordx2 v[8:9], v[2:3]
	v_add_u32_e32 v0, s58, v0
	v_cmp_le_u32_e32 vcc, s41, v0
	s_or_b64 s[66:67], vcc, s[66:67]
	s_waitcnt vmcnt(0) lgkmcnt(0)
	flat_store_dwordx2 v[2:3], v[6:7]
	flat_store_dwordx2 v[4:5], v[8:9]
	s_andn2_b64 exec, exec, s[66:67]
	s_cbranch_execnz .LBB99_129
.LBB99_130:                             ;   in Loop: Header=BB99_124 Depth=2
	s_or_b64 exec, exec, s[62:63]
	s_waitcnt lgkmcnt(0)
	s_barrier
.LBB99_131:                             ;   in Loop: Header=BB99_124 Depth=2
	s_and_b64 vcc, exec, s[16:17]
	s_cbranch_vccnz .LBB99_136
; %bb.132:                              ;   in Loop: Header=BB99_124 Depth=2
	s_and_saveexec_b64 s[62:63], s[10:11]
	s_cbranch_execz .LBB99_135
; %bb.133:                              ;   in Loop: Header=BB99_124 Depth=2
	s_mul_hi_i32 s67, s30, s73
	s_mul_i32 s66, s30, s73
	s_lshl_b64 s[66:67], s[66:67], 3
	s_add_u32 s55, s34, s66
	s_addc_u32 s69, s35, s67
	s_mul_hi_i32 s67, s54, s73
	s_mul_i32 s66, s54, s73
	s_lshl_b64 s[66:67], s[66:67], 3
	s_add_u32 s68, s34, s66
	s_addc_u32 s70, s35, s67
	s_mov_b64 s[66:67], 0
	v_mov_b32_e32 v2, s69
	v_mov_b32_e32 v3, s70
	;; [unrolled: 1-line block ×3, first 2 shown]
.LBB99_134:                             ;   Parent Loop BB99_121 Depth=1
                                        ;     Parent Loop BB99_124 Depth=2
                                        ; =>    This Inner Loop Header: Depth=3
	v_lshlrev_b64 v[4:5], 3, v[0:1]
	v_add_co_u32_e32 v6, vcc, s55, v4
	v_addc_co_u32_e32 v7, vcc, v2, v5, vcc
	v_add_co_u32_e32 v4, vcc, s68, v4
	v_addc_co_u32_e32 v5, vcc, v3, v5, vcc
	flat_load_dwordx2 v[8:9], v[4:5]
	flat_load_dwordx2 v[10:11], v[6:7]
	v_add_u32_e32 v0, s58, v0
	v_cmp_le_u32_e32 vcc, s42, v0
	s_or_b64 s[66:67], vcc, s[66:67]
	s_waitcnt vmcnt(0) lgkmcnt(0)
	flat_store_dwordx2 v[6:7], v[8:9]
	flat_store_dwordx2 v[4:5], v[10:11]
	s_andn2_b64 exec, exec, s[66:67]
	s_cbranch_execnz .LBB99_134
.LBB99_135:                             ;   in Loop: Header=BB99_124 Depth=2
	s_or_b64 exec, exec, s[62:63]
	s_waitcnt lgkmcnt(0)
	s_barrier
.LBB99_136:                             ;   in Loop: Header=BB99_124 Depth=2
	s_and_b64 vcc, exec, s[18:19]
	s_cbranch_vccnz .LBB99_123
; %bb.137:                              ;   in Loop: Header=BB99_124 Depth=2
	s_and_saveexec_b64 s[62:63], s[12:13]
	s_cbranch_execz .LBB99_122
; %bb.138:                              ;   in Loop: Header=BB99_124 Depth=2
	s_ashr_i32 s55, s54, 31
	s_mov_b64 s[66:67], 0
	s_lshl_b64 s[54:55], s[54:55], 3
	v_mov_b32_e32 v0, v41
.LBB99_139:                             ;   Parent Loop BB99_121 Depth=1
                                        ;     Parent Loop BB99_124 Depth=2
                                        ; =>    This Inner Loop Header: Depth=3
	v_mad_u64_u32 v[2:3], s[68:69], v0, s75, 0
	v_mov_b32_e32 v4, v3
	v_mad_u64_u32 v[4:5], s[70:71], v0, s74, v[4:5]
	v_mov_b32_e32 v3, v4
	v_lshlrev_b64 v[2:3], 3, v[2:3]
	v_mov_b32_e32 v6, s37
	v_add_co_u32_e32 v4, vcc, s36, v2
	s_lshl_b64 s[68:69], s[30:31], 3
	v_addc_co_u32_e32 v5, vcc, v6, v3, vcc
	v_mov_b32_e32 v8, s69
	v_add_co_u32_e32 v2, vcc, s68, v4
	v_addc_co_u32_e32 v3, vcc, v5, v8, vcc
	v_mov_b32_e32 v7, s55
	v_add_co_u32_e32 v4, vcc, s54, v4
	v_addc_co_u32_e32 v5, vcc, v5, v7, vcc
	flat_load_dwordx2 v[6:7], v[4:5]
	flat_load_dwordx2 v[8:9], v[2:3]
	v_add_u32_e32 v0, s58, v0
	v_cmp_le_u32_e32 vcc, s43, v0
	s_or_b64 s[66:67], vcc, s[66:67]
	s_waitcnt vmcnt(0) lgkmcnt(0)
	flat_store_dwordx2 v[2:3], v[6:7]
	flat_store_dwordx2 v[4:5], v[8:9]
	s_andn2_b64 exec, exec, s[66:67]
	s_cbranch_execnz .LBB99_139
	s_branch .LBB99_122
.LBB99_140:
	s_mov_b64 s[54:55], exec
.LBB99_141:
	s_or_b64 exec, exec, s[20:21]
	s_branch .LBB99_228
.LBB99_142:
	s_mov_b64 s[54:55], -1
	s_and_b64 vcc, exec, s[48:49]
	s_cbranch_vccz .LBB99_228
; %bb.143:
	v_or3_b32 v0, v43, v44, v42
	v_cmp_eq_u32_e32 vcc, 0, v0
	s_barrier
	s_barrier
	s_and_saveexec_b64 s[6:7], vcc
	s_cbranch_execz .LBB99_212
; %bb.144:
	s_cmpk_lt_u32 s40, 0x2be
	s_cbranch_scc1 .LBB99_151
; %bb.145:
	s_mov_b64 s[8:9], 0x2bd
	s_mov_b32 s11, 0
	v_mov_b32_e32 v4, 0
	v_mov_b32_e32 v5, 0x1000
	s_mov_b64 s[12:13], s[46:47]
	s_branch .LBB99_147
.LBB99_146:                             ;   in Loop: Header=BB99_147 Depth=1
	s_lshl_b64 s[14:15], s[18:19], 3
	s_add_u32 s14, s46, s14
	s_addc_u32 s15, s47, s15
	s_add_u32 s8, s8, 1
	s_addc_u32 s9, s9, 0
	;; [unrolled: 2-line block ×3, first 2 shown]
	s_cmp_eq_u32 s8, s40
	global_store_dwordx2 v4, v[0:1], s[14:15]
	s_cbranch_scc1 .LBB99_151
.LBB99_147:                             ; =>This Loop Header: Depth=1
                                        ;     Child Loop BB99_149 Depth 2
	s_mov_b32 s10, s8
	s_lshl_b64 s[14:15], s[10:11], 3
	s_add_u32 s14, s46, s14
	s_addc_u32 s15, s47, s15
	global_load_dwordx2 v[0:1], v4, s[14:15]
	s_mov_b64 s[14:15], s[12:13]
	s_mov_b64 s[16:17], s[8:9]
	s_branch .LBB99_149
.LBB99_148:                             ;   in Loop: Header=BB99_149 Depth=2
	s_add_u32 s18, s16, 0xfffffd43
	s_addc_u32 s19, s17, -1
	global_store_dwordx2 v5, v[2:3], s[14:15] offset:1512
	s_add_u32 s14, s14, 0xffffea18
	s_addc_u32 s15, s15, -1
	s_cmpk_lt_i32 s16, 0x57a
	s_cselect_b64 s[20:21], -1, 0
	s_mov_b64 s[16:17], s[18:19]
	s_andn2_b64 vcc, exec, s[20:21]
	s_cbranch_vccz .LBB99_146
.LBB99_149:                             ;   Parent Loop BB99_147 Depth=1
                                        ; =>  This Inner Loop Header: Depth=2
	global_load_dwordx2 v[2:3], v4, s[14:15]
	s_mov_b64 s[20:21], -1
	s_waitcnt vmcnt(0)
	v_cmp_nlt_f64_e32 vcc, v[2:3], v[0:1]
	s_cbranch_vccz .LBB99_148
; %bb.150:                              ;   in Loop: Header=BB99_149 Depth=2
                                        ; implicit-def: $sgpr14_sgpr15
	s_mov_b64 s[18:19], s[16:17]
	s_andn2_b64 vcc, exec, s[20:21]
	s_cbranch_vccnz .LBB99_149
	s_branch .LBB99_146
.LBB99_151:
	s_cmpk_lt_i32 s40, 0x12e
	s_cbranch_scc1 .LBB99_160
; %bb.152:
	s_mov_b64 s[8:9], 0x12d
	s_mov_b32 s11, 0
	v_mov_b32_e32 v4, 0
	s_mov_b64 s[12:13], s[46:47]
	s_branch .LBB99_154
.LBB99_153:                             ;   in Loop: Header=BB99_154 Depth=1
	s_lshl_b64 s[14:15], s[14:15], 3
	s_add_u32 s14, s46, s14
	s_addc_u32 s15, s47, s15
	s_add_u32 s8, s8, 1
	s_addc_u32 s9, s9, 0
	;; [unrolled: 2-line block ×3, first 2 shown]
	s_cmp_lg_u32 s8, s40
	global_store_dwordx2 v4, v[0:1], s[14:15]
	s_cbranch_scc0 .LBB99_160
.LBB99_154:                             ; =>This Loop Header: Depth=1
                                        ;     Child Loop BB99_156 Depth 2
	s_mov_b32 s10, s8
	s_lshl_b64 s[14:15], s[10:11], 3
	s_add_u32 s14, s46, s14
	s_addc_u32 s15, s47, s15
	global_load_dwordx2 v[0:1], v4, s[14:15]
	s_mov_b64 s[16:17], s[12:13]
	s_mov_b64 s[14:15], s[8:9]
	s_branch .LBB99_156
.LBB99_155:                             ;   in Loop: Header=BB99_156 Depth=2
	s_add_u32 s18, s14, 0xfffffed3
	s_addc_u32 s19, s15, -1
	global_store_dwordx2 v4, v[2:3], s[16:17] offset:2408
	s_add_u32 s16, s16, 0xfffff698
	s_addc_u32 s17, s17, -1
	s_cmpk_lt_i32 s14, 0x25a
	s_mov_b64 s[20:21], 0
	s_cselect_b64 s[22:23], -1, 0
	s_mov_b64 s[14:15], s[18:19]
	s_andn2_b64 vcc, exec, s[22:23]
	s_cbranch_vccz .LBB99_158
.LBB99_156:                             ;   Parent Loop BB99_154 Depth=1
                                        ; =>  This Inner Loop Header: Depth=2
	global_load_dwordx2 v[2:3], v4, s[16:17]
	s_mov_b64 s[20:21], -1
	s_waitcnt vmcnt(0)
	v_cmp_nlt_f64_e32 vcc, v[2:3], v[0:1]
	s_cbranch_vccz .LBB99_155
; %bb.157:                              ;   in Loop: Header=BB99_154 Depth=1
                                        ; implicit-def: $sgpr16_sgpr17
                                        ; implicit-def: $sgpr18_sgpr19
.LBB99_158:                             ;   in Loop: Header=BB99_154 Depth=1
	s_andn2_b64 vcc, exec, s[20:21]
	s_cbranch_vccz .LBB99_153
; %bb.159:                              ;   in Loop: Header=BB99_154 Depth=1
	s_bfe_i64 s[14:15], s[18:19], 0x200000
	s_branch .LBB99_153
.LBB99_160:
	s_cmpk_lt_i32 s40, 0x85
	s_cbranch_scc1 .LBB99_169
; %bb.161:
	s_mov_b64 s[8:9], 0x84
	s_mov_b32 s11, 0
	v_mov_b32_e32 v4, 0
	s_mov_b64 s[12:13], s[46:47]
	s_branch .LBB99_163
.LBB99_162:                             ;   in Loop: Header=BB99_163 Depth=1
	s_lshl_b64 s[14:15], s[14:15], 3
	s_add_u32 s14, s46, s14
	s_addc_u32 s15, s47, s15
	s_add_u32 s8, s8, 1
	s_addc_u32 s9, s9, 0
	;; [unrolled: 2-line block ×3, first 2 shown]
	s_cmp_lg_u32 s8, s40
	global_store_dwordx2 v4, v[0:1], s[14:15]
	s_cbranch_scc0 .LBB99_169
.LBB99_163:                             ; =>This Loop Header: Depth=1
                                        ;     Child Loop BB99_165 Depth 2
	s_mov_b32 s10, s8
	s_lshl_b64 s[14:15], s[10:11], 3
	s_add_u32 s14, s46, s14
	s_addc_u32 s15, s47, s15
	global_load_dwordx2 v[0:1], v4, s[14:15]
	s_mov_b64 s[16:17], s[12:13]
	s_mov_b64 s[14:15], s[8:9]
	s_branch .LBB99_165
.LBB99_164:                             ;   in Loop: Header=BB99_165 Depth=2
	s_add_u32 s18, s14, 0xffffff7c
	s_addc_u32 s19, s15, -1
	global_store_dwordx2 v4, v[2:3], s[16:17] offset:1056
	s_add_u32 s16, s16, 0xfffffbe0
	s_addc_u32 s17, s17, -1
	s_cmpk_lt_i32 s14, 0x108
	s_mov_b64 s[20:21], 0
	s_cselect_b64 s[22:23], -1, 0
	s_mov_b64 s[14:15], s[18:19]
	s_andn2_b64 vcc, exec, s[22:23]
	s_cbranch_vccz .LBB99_167
.LBB99_165:                             ;   Parent Loop BB99_163 Depth=1
                                        ; =>  This Inner Loop Header: Depth=2
	global_load_dwordx2 v[2:3], v4, s[16:17]
	s_mov_b64 s[20:21], -1
	s_waitcnt vmcnt(0)
	v_cmp_nlt_f64_e32 vcc, v[2:3], v[0:1]
	s_cbranch_vccz .LBB99_164
; %bb.166:                              ;   in Loop: Header=BB99_163 Depth=1
                                        ; implicit-def: $sgpr16_sgpr17
                                        ; implicit-def: $sgpr18_sgpr19
.LBB99_167:                             ;   in Loop: Header=BB99_163 Depth=1
	s_andn2_b64 vcc, exec, s[20:21]
	s_cbranch_vccz .LBB99_162
; %bb.168:                              ;   in Loop: Header=BB99_163 Depth=1
	s_bfe_i64 s[14:15], s[18:19], 0x200000
	s_branch .LBB99_162
.LBB99_169:
	s_cmp_lt_i32 s40, 58
	s_cbranch_scc1 .LBB99_178
; %bb.170:
	s_mov_b64 s[8:9], 57
	s_mov_b32 s11, 0
	v_mov_b32_e32 v4, 0
	s_mov_b64 s[12:13], s[46:47]
	s_branch .LBB99_172
.LBB99_171:                             ;   in Loop: Header=BB99_172 Depth=1
	s_lshl_b64 s[14:15], s[14:15], 3
	s_add_u32 s14, s46, s14
	s_addc_u32 s15, s47, s15
	s_add_u32 s8, s8, 1
	s_addc_u32 s9, s9, 0
	;; [unrolled: 2-line block ×3, first 2 shown]
	s_cmp_lg_u32 s8, s40
	global_store_dwordx2 v4, v[0:1], s[14:15]
	s_cbranch_scc0 .LBB99_178
.LBB99_172:                             ; =>This Loop Header: Depth=1
                                        ;     Child Loop BB99_174 Depth 2
	s_mov_b32 s10, s8
	s_lshl_b64 s[14:15], s[10:11], 3
	s_add_u32 s14, s46, s14
	s_addc_u32 s15, s47, s15
	global_load_dwordx2 v[0:1], v4, s[14:15]
	s_mov_b64 s[16:17], s[12:13]
	s_mov_b64 s[14:15], s[8:9]
	s_branch .LBB99_174
.LBB99_173:                             ;   in Loop: Header=BB99_174 Depth=2
	s_add_u32 s18, s14, 0xffffffc7
	s_addc_u32 s19, s15, -1
	global_store_dwordx2 v4, v[2:3], s[16:17] offset:456
	s_add_u32 s16, s16, 0xfffffe38
	s_addc_u32 s17, s17, -1
	s_cmpk_lt_i32 s14, 0x72
	s_mov_b64 s[20:21], 0
	s_cselect_b64 s[22:23], -1, 0
	s_mov_b64 s[14:15], s[18:19]
	s_andn2_b64 vcc, exec, s[22:23]
	s_cbranch_vccz .LBB99_176
.LBB99_174:                             ;   Parent Loop BB99_172 Depth=1
                                        ; =>  This Inner Loop Header: Depth=2
	global_load_dwordx2 v[2:3], v4, s[16:17]
	s_mov_b64 s[20:21], -1
	s_waitcnt vmcnt(0)
	v_cmp_nlt_f64_e32 vcc, v[2:3], v[0:1]
	s_cbranch_vccz .LBB99_173
; %bb.175:                              ;   in Loop: Header=BB99_172 Depth=1
                                        ; implicit-def: $sgpr16_sgpr17
                                        ; implicit-def: $sgpr18_sgpr19
.LBB99_176:                             ;   in Loop: Header=BB99_172 Depth=1
	s_andn2_b64 vcc, exec, s[20:21]
	s_cbranch_vccz .LBB99_171
; %bb.177:                              ;   in Loop: Header=BB99_172 Depth=1
	s_bfe_i64 s[14:15], s[18:19], 0x200000
	s_branch .LBB99_171
.LBB99_178:
	s_cmp_lt_i32 s40, 24
	s_cbranch_scc1 .LBB99_187
; %bb.179:
	s_mov_b64 s[8:9], 23
	s_mov_b32 s11, 0
	v_mov_b32_e32 v4, 0
	s_mov_b64 s[12:13], s[46:47]
	s_branch .LBB99_181
.LBB99_180:                             ;   in Loop: Header=BB99_181 Depth=1
	s_lshl_b64 s[14:15], s[14:15], 3
	s_add_u32 s14, s46, s14
	s_addc_u32 s15, s47, s15
	s_add_u32 s8, s8, 1
	s_addc_u32 s9, s9, 0
	;; [unrolled: 2-line block ×3, first 2 shown]
	s_cmp_lg_u32 s8, s40
	global_store_dwordx2 v4, v[0:1], s[14:15]
	s_cbranch_scc0 .LBB99_187
.LBB99_181:                             ; =>This Loop Header: Depth=1
                                        ;     Child Loop BB99_183 Depth 2
	s_mov_b32 s10, s8
	s_lshl_b64 s[14:15], s[10:11], 3
	s_add_u32 s14, s46, s14
	s_addc_u32 s15, s47, s15
	global_load_dwordx2 v[0:1], v4, s[14:15]
	s_mov_b64 s[16:17], s[12:13]
	s_mov_b64 s[14:15], s[8:9]
	s_branch .LBB99_183
.LBB99_182:                             ;   in Loop: Header=BB99_183 Depth=2
	s_add_u32 s18, s14, 0xffffffe9
	s_addc_u32 s19, s15, -1
	global_store_dwordx2 v4, v[2:3], s[16:17] offset:184
	s_add_u32 s16, s16, 0xffffff48
	s_addc_u32 s17, s17, -1
	s_cmp_lt_i32 s14, 46
	s_mov_b64 s[20:21], 0
	s_cselect_b64 s[22:23], -1, 0
	s_mov_b64 s[14:15], s[18:19]
	s_andn2_b64 vcc, exec, s[22:23]
	s_cbranch_vccz .LBB99_185
.LBB99_183:                             ;   Parent Loop BB99_181 Depth=1
                                        ; =>  This Inner Loop Header: Depth=2
	global_load_dwordx2 v[2:3], v4, s[16:17]
	s_mov_b64 s[20:21], -1
	s_waitcnt vmcnt(0)
	v_cmp_nlt_f64_e32 vcc, v[2:3], v[0:1]
	s_cbranch_vccz .LBB99_182
; %bb.184:                              ;   in Loop: Header=BB99_181 Depth=1
                                        ; implicit-def: $sgpr16_sgpr17
                                        ; implicit-def: $sgpr18_sgpr19
.LBB99_185:                             ;   in Loop: Header=BB99_181 Depth=1
	s_andn2_b64 vcc, exec, s[20:21]
	s_cbranch_vccz .LBB99_180
; %bb.186:                              ;   in Loop: Header=BB99_181 Depth=1
	s_bfe_i64 s[14:15], s[18:19], 0x200000
	s_branch .LBB99_180
.LBB99_187:
	s_cmp_lt_i32 s40, 11
	s_cbranch_scc1 .LBB99_196
; %bb.188:
	s_mov_b64 s[8:9], 10
	s_mov_b32 s11, 0
	v_mov_b32_e32 v4, 0
	s_mov_b64 s[12:13], s[46:47]
	s_branch .LBB99_190
.LBB99_189:                             ;   in Loop: Header=BB99_190 Depth=1
	s_lshl_b64 s[14:15], s[14:15], 3
	s_add_u32 s14, s46, s14
	s_addc_u32 s15, s47, s15
	s_add_u32 s8, s8, 1
	s_addc_u32 s9, s9, 0
	;; [unrolled: 2-line block ×3, first 2 shown]
	s_cmp_lg_u32 s8, s40
	global_store_dwordx2 v4, v[0:1], s[14:15]
	s_cbranch_scc0 .LBB99_196
.LBB99_190:                             ; =>This Loop Header: Depth=1
                                        ;     Child Loop BB99_192 Depth 2
	s_mov_b32 s10, s8
	s_lshl_b64 s[14:15], s[10:11], 3
	s_add_u32 s14, s46, s14
	s_addc_u32 s15, s47, s15
	global_load_dwordx2 v[0:1], v4, s[14:15]
	s_mov_b64 s[16:17], s[12:13]
	s_mov_b64 s[14:15], s[8:9]
	s_branch .LBB99_192
.LBB99_191:                             ;   in Loop: Header=BB99_192 Depth=2
	s_add_u32 s18, s14, -10
	s_addc_u32 s19, s15, -1
	global_store_dwordx2 v4, v[2:3], s[16:17] offset:80
	s_add_u32 s16, s16, 0xffffffb0
	s_addc_u32 s17, s17, -1
	s_cmp_lt_i32 s14, 20
	s_mov_b64 s[20:21], 0
	s_cselect_b64 s[22:23], -1, 0
	s_mov_b64 s[14:15], s[18:19]
	s_andn2_b64 vcc, exec, s[22:23]
	s_cbranch_vccz .LBB99_194
.LBB99_192:                             ;   Parent Loop BB99_190 Depth=1
                                        ; =>  This Inner Loop Header: Depth=2
	global_load_dwordx2 v[2:3], v4, s[16:17]
	s_mov_b64 s[20:21], -1
	s_waitcnt vmcnt(0)
	v_cmp_nlt_f64_e32 vcc, v[2:3], v[0:1]
	s_cbranch_vccz .LBB99_191
; %bb.193:                              ;   in Loop: Header=BB99_190 Depth=1
                                        ; implicit-def: $sgpr16_sgpr17
                                        ; implicit-def: $sgpr18_sgpr19
.LBB99_194:                             ;   in Loop: Header=BB99_190 Depth=1
	s_andn2_b64 vcc, exec, s[20:21]
	s_cbranch_vccz .LBB99_189
; %bb.195:                              ;   in Loop: Header=BB99_190 Depth=1
	s_bfe_i64 s[14:15], s[18:19], 0x200000
	s_branch .LBB99_189
.LBB99_196:
	s_cmp_lt_i32 s40, 5
	s_cbranch_scc1 .LBB99_205
; %bb.197:
	s_add_u32 s8, s60, s44
	s_addc_u32 s9, s61, s45
	s_add_u32 s8, s8, 32
	s_addc_u32 s9, s9, 0
	s_mov_b64 s[10:11], 4
	s_mov_b32 s13, 0
	v_mov_b32_e32 v4, 0
	s_branch .LBB99_199
.LBB99_198:                             ;   in Loop: Header=BB99_199 Depth=1
	s_lshl_b64 s[14:15], s[14:15], 3
	s_add_u32 s14, s46, s14
	s_addc_u32 s15, s47, s15
	s_add_u32 s10, s10, 1
	s_addc_u32 s11, s11, 0
	s_add_u32 s8, s8, 8
	s_addc_u32 s9, s9, 0
	s_cmp_lg_u32 s10, s40
	global_store_dwordx2 v4, v[0:1], s[14:15]
	s_cbranch_scc0 .LBB99_205
.LBB99_199:                             ; =>This Loop Header: Depth=1
                                        ;     Child Loop BB99_201 Depth 2
	s_mov_b32 s12, s10
	s_lshl_b64 s[14:15], s[12:13], 3
	s_add_u32 s14, s46, s14
	s_addc_u32 s15, s47, s15
	global_load_dwordx2 v[0:1], v4, s[14:15]
	s_mov_b64 s[16:17], s[8:9]
	s_mov_b64 s[14:15], s[10:11]
	s_branch .LBB99_201
.LBB99_200:                             ;   in Loop: Header=BB99_201 Depth=2
	s_add_u32 s20, s14, -4
	s_addc_u32 s21, s15, -1
	s_cmp_lt_i32 s14, 8
	global_store_dwordx2 v4, v[2:3], s[16:17]
	s_mov_b64 s[18:19], 0
	s_cselect_b64 s[24:25], -1, 0
	s_mov_b64 s[14:15], s[20:21]
	s_mov_b64 s[16:17], s[22:23]
	s_andn2_b64 vcc, exec, s[24:25]
	s_cbranch_vccz .LBB99_203
.LBB99_201:                             ;   Parent Loop BB99_199 Depth=1
                                        ; =>  This Inner Loop Header: Depth=2
	global_load_dwordx2 v[2:3], v4, s[16:17] offset:-32
	s_add_u32 s22, s16, 0xffffffe0
	s_addc_u32 s23, s17, -1
	s_mov_b64 s[18:19], -1
	s_waitcnt vmcnt(0)
	v_cmp_nlt_f64_e32 vcc, v[2:3], v[0:1]
	s_cbranch_vccz .LBB99_200
; %bb.202:                              ;   in Loop: Header=BB99_199 Depth=1
                                        ; implicit-def: $sgpr16_sgpr17
                                        ; implicit-def: $sgpr20_sgpr21
.LBB99_203:                             ;   in Loop: Header=BB99_199 Depth=1
	s_andn2_b64 vcc, exec, s[18:19]
	s_cbranch_vccz .LBB99_198
; %bb.204:                              ;   in Loop: Header=BB99_199 Depth=1
	s_bfe_i64 s[14:15], s[20:21], 0x200000
	s_branch .LBB99_198
.LBB99_205:
	s_cmp_lt_i32 s40, 2
	s_cbranch_scc1 .LBB99_212
; %bb.206:
	s_add_u32 s8, s60, s44
	s_addc_u32 s9, s61, s45
	s_add_u32 s8, s8, 8
	s_addc_u32 s9, s9, 0
	s_mov_b64 s[10:11], 1
	s_mov_b32 s13, 0
	v_mov_b32_e32 v4, 0
	s_branch .LBB99_208
.LBB99_207:                             ;   in Loop: Header=BB99_208 Depth=1
	s_lshl_b64 s[14:15], s[18:19], 3
	s_add_u32 s14, s46, s14
	s_addc_u32 s15, s47, s15
	s_add_u32 s10, s10, 1
	s_addc_u32 s11, s11, 0
	s_add_u32 s8, s8, 8
	s_addc_u32 s9, s9, 0
	s_cmp_eq_u32 s10, s40
	global_store_dwordx2 v4, v[0:1], s[14:15]
	s_cbranch_scc1 .LBB99_212
.LBB99_208:                             ; =>This Loop Header: Depth=1
                                        ;     Child Loop BB99_210 Depth 2
	s_mov_b32 s12, s10
	s_lshl_b64 s[14:15], s[12:13], 3
	s_add_u32 s14, s46, s14
	s_addc_u32 s15, s47, s15
	global_load_dwordx2 v[0:1], v4, s[14:15]
	s_mov_b64 s[16:17], s[8:9]
	s_mov_b64 s[14:15], s[10:11]
	s_branch .LBB99_210
.LBB99_209:                             ;   in Loop: Header=BB99_210 Depth=2
	global_store_dwordx2 v4, v[2:3], s[16:17]
	s_add_u32 s16, s14, -1
	s_addc_u32 s17, s15, -1
	s_cmp_lt_i32 s14, 2
	s_mov_b64 s[18:19], 0
	s_cselect_b64 s[20:21], -1, 0
	s_mov_b64 s[14:15], s[16:17]
	s_mov_b64 s[16:17], s[22:23]
	s_andn2_b64 vcc, exec, s[20:21]
	s_cbranch_vccz .LBB99_207
.LBB99_210:                             ;   Parent Loop BB99_208 Depth=1
                                        ; =>  This Inner Loop Header: Depth=2
	global_load_dwordx2 v[2:3], v4, s[16:17] offset:-8
	s_add_u32 s22, s16, -8
	s_addc_u32 s23, s17, -1
	s_mov_b64 s[20:21], -1
	s_waitcnt vmcnt(0)
	v_cmp_nlt_f64_e32 vcc, v[2:3], v[0:1]
	s_cbranch_vccz .LBB99_209
; %bb.211:                              ;   in Loop: Header=BB99_210 Depth=2
                                        ; implicit-def: $sgpr16_sgpr17
	s_mov_b64 s[18:19], s[14:15]
	s_andn2_b64 vcc, exec, s[20:21]
	s_cbranch_vccnz .LBB99_210
	s_branch .LBB99_207
.LBB99_212:
	s_or_b64 exec, exec, s[6:7]
	s_cmp_lt_i32 s40, 2
	s_cselect_b64 s[10:11], -1, 0
	s_mov_b64 s[54:55], 0
	s_and_b64 vcc, exec, s[10:11]
	s_barrier
	s_cbranch_vccnz .LBB99_220
; %bb.213:
	s_add_i32 s20, s40, -1
	v_cmp_gt_u32_e32 vcc, s20, v41
	s_mov_b64 s[10:11], -1
	s_mov_b64 s[6:7], 0
	s_and_saveexec_b64 s[8:9], vcc
	s_cbranch_execz .LBB99_222
; %bb.214:
	s_add_u32 s21, s46, 8
	s_addc_u32 s22, s47, 0
	s_mov_b64 s[10:11], 0
	v_mov_b32_e32 v1, 0
	v_mov_b32_e32 v4, s47
	;; [unrolled: 1-line block ×3, first 2 shown]
                                        ; implicit-def: $sgpr12_sgpr13
	s_branch .LBB99_216
.LBB99_215:                             ;   in Loop: Header=BB99_216 Depth=1
	s_or_b64 exec, exec, s[18:19]
	s_xor_b64 s[14:15], s[14:15], -1
	s_and_b64 s[6:7], exec, s[6:7]
	s_or_b64 s[10:11], s[6:7], s[10:11]
	s_andn2_b64 s[6:7], s[12:13], exec
	s_and_b64 s[12:13], s[14:15], exec
	s_or_b64 s[12:13], s[6:7], s[12:13]
	s_andn2_b64 exec, exec, s[10:11]
	s_cbranch_execz .LBB99_221
.LBB99_216:                             ; =>This Inner Loop Header: Depth=1
	v_lshlrev_b64 v[2:3], 3, v[0:1]
	v_add_co_u32_e32 v2, vcc, s46, v2
	v_addc_co_u32_e32 v3, vcc, v4, v3, vcc
	global_load_dwordx2 v[2:3], v[2:3], off
                                        ; implicit-def: $sgpr14_sgpr15
	s_waitcnt vmcnt(0)
	v_cmp_u_f64_e64 s[16:17], v[2:3], v[2:3]
	v_cmp_o_f64_e32 vcc, v[2:3], v[2:3]
	s_and_saveexec_b64 s[18:19], vcc
	s_cbranch_execz .LBB99_218
; %bb.217:                              ;   in Loop: Header=BB99_216 Depth=1
	v_ashrrev_i32_e32 v7, 31, v0
	v_mov_b32_e32 v6, v0
	v_lshlrev_b64 v[6:7], 3, v[6:7]
	v_mov_b32_e32 v5, s22
	v_add_co_u32_e32 v6, vcc, s21, v6
	v_addc_co_u32_e32 v7, vcc, v5, v7, vcc
	global_load_dwordx2 v[6:7], v[6:7], off
	s_andn2_b64 s[16:17], s[16:17], exec
	s_mov_b64 s[14:15], -1
	s_waitcnt vmcnt(0)
	v_cmp_u_f64_e32 vcc, v[6:7], v[6:7]
	v_cmp_ge_f64_e64 s[6:7], v[2:3], v[6:7]
	s_or_b64 s[6:7], vcc, s[6:7]
	s_and_b64 s[6:7], s[6:7], exec
	s_or_b64 s[16:17], s[16:17], s[6:7]
.LBB99_218:                             ;   in Loop: Header=BB99_216 Depth=1
	s_or_b64 exec, exec, s[18:19]
	s_mov_b64 s[6:7], -1
	s_and_saveexec_b64 s[18:19], s[16:17]
	s_cbranch_execz .LBB99_215
; %bb.219:                              ;   in Loop: Header=BB99_216 Depth=1
	v_add_u32_e32 v0, s58, v0
	v_cmp_le_u32_e32 vcc, s20, v0
	s_andn2_b64 s[14:15], s[14:15], exec
	s_orn2_b64 s[6:7], vcc, exec
	s_branch .LBB99_215
.LBB99_220:
	s_mov_b64 s[6:7], 0
	s_branch .LBB99_223
.LBB99_221:
	s_or_b64 exec, exec, s[10:11]
	s_mov_b64 s[6:7], exec
	s_orn2_b64 s[10:11], s[12:13], exec
.LBB99_222:
	s_or_b64 exec, exec, s[8:9]
.LBB99_223:
	s_and_saveexec_b64 s[8:9], s[10:11]
	s_cbranch_execz .LBB99_225
; %bb.224:
	s_mov_b64 s[54:55], exec
	s_barrier
	s_andn2_b64 s[6:7], s[6:7], exec
.LBB99_225:
	s_or_b64 exec, exec, s[8:9]
	s_and_saveexec_b64 s[48:49], s[6:7]
	s_cbranch_execz .LBB99_227
; %bb.226:
	s_add_u32 s8, s4, 0x90
	s_addc_u32 s9, s5, 0
	s_getpc_b64 s[4:5]
	s_add_u32 s4, s4, __PRETTY_FUNCTION__._ZN9rocsolver6v33100L21shell_sort_descendingIdiEEvT0_PT_PS2_@rel32@lo+4
	s_addc_u32 s5, s5, __PRETTY_FUNCTION__._ZN9rocsolver6v33100L21shell_sort_descendingIdiEEvT0_PT_PS2_@rel32@hi+12
	v_mov_b32_e32 v0, s4
	v_mov_b32_e32 v1, s5
	s_getpc_b64 s[6:7]
	s_add_u32 s6, s6, __assert_fail@rel32@lo+4
	s_addc_u32 s7, s7, __assert_fail@rel32@hi+12
	s_swappc_b64 s[30:31], s[6:7]
	s_or_b64 s[64:65], s[64:65], exec
.LBB99_227:
	s_or_b64 exec, exec, s[48:49]
.LBB99_228:
	s_and_saveexec_b64 s[4:5], s[64:65]
; %bb.229:
	; divergent unreachable
; %bb.230:
	s_or_b64 exec, exec, s[4:5]
	s_and_saveexec_b64 s[4:5], s[54:55]
	s_cbranch_execz .LBB99_232
; %bb.231:
	s_barrier
.LBB99_232:
	s_or_b64 exec, exec, s[4:5]
	s_cbranch_execnz .LBB99_256
.LBB99_233:
	s_cmp_lt_i32 s40, 2
	s_cbranch_scc1 .LBB99_256
; %bb.234:
	s_cmp_lg_u32 s41, 0
	s_cselect_b64 s[12:13], -1, 0
	s_cmp_lg_u32 s42, 0
	s_cselect_b64 s[14:15], -1, 0
	;; [unrolled: 2-line block ×3, first 2 shown]
	s_add_i32 s33, s40, -2
	s_add_u32 s18, s60, s44
	v_cndmask_b32_e64 v0, 0, 1, s[12:13]
	s_addc_u32 s21, s61, s45
	v_cmp_ne_u32_e64 s[12:13], 1, v0
	v_cndmask_b32_e64 v0, 0, 1, s[14:15]
	s_add_u32 s20, s18, 8
	v_cmp_ne_u32_e64 s[14:15], 1, v0
	v_cndmask_b32_e64 v0, 0, 1, s[16:17]
	s_mov_b32 s19, 0
	v_cmp_eq_u32_e64 s[4:5], 0, v41
	v_cmp_gt_i32_e64 s[6:7], s41, v41
	v_cmp_gt_i32_e64 s[8:9], s42, v41
	;; [unrolled: 1-line block ×3, first 2 shown]
	s_addc_u32 s21, s21, 0
	v_mul_lo_u32 v2, s59, v41
	s_mul_i32 s44, s59, s38
	v_mul_lo_u32 v3, s57, v41
	s_mul_i32 s45, s57, s38
	v_mov_b32_e32 v4, 0
	v_cmp_ne_u32_e64 s[16:17], 1, v0
	s_mov_b32 s48, 0
	s_mov_b32 s49, 0
	s_branch .LBB99_237
.LBB99_235:                             ;   in Loop: Header=BB99_237 Depth=1
	s_or_b64 exec, exec, s[24:25]
	s_waitcnt lgkmcnt(0)
	s_barrier
.LBB99_236:                             ;   in Loop: Header=BB99_237 Depth=1
	s_add_u32 s20, s20, 8
	s_addc_u32 s21, s21, 0
	s_add_i32 s48, s48, s39
	s_cmp_eq_u32 s18, s33
	s_cbranch_scc1 .LBB99_256
.LBB99_237:                             ; =>This Loop Header: Depth=1
                                        ;     Child Loop BB99_238 Depth 2
                                        ;     Child Loop BB99_245 Depth 2
	;; [unrolled: 1-line block ×4, first 2 shown]
	s_mov_b32 s18, s49
	s_lshl_b64 s[22:23], s[18:19], 3
	s_add_u32 s24, s46, s22
	s_addc_u32 s25, s47, s23
	global_load_dwordx2 v[0:1], v4, s[24:25]
	s_add_i32 s49, s49, 1
	s_mov_b64 s[30:31], s[20:21]
	s_mov_b32 s23, s49
	s_mov_b32 s22, s18
.LBB99_238:                             ;   Parent Loop BB99_237 Depth=1
                                        ; =>  This Inner Loop Header: Depth=2
	global_load_dwordx2 v[6:7], v4, s[30:31]
	s_waitcnt vmcnt(0)
	v_cmp_gt_f64_e32 vcc, v[6:7], v[0:1]
	s_and_b64 s[50:51], vcc, exec
	s_cselect_b32 s22, s23, s22
	s_add_i32 s23, s23, 1
	s_add_u32 s30, s30, 8
	s_addc_u32 s31, s31, 0
	v_cndmask_b32_e32 v1, v1, v7, vcc
	s_cmp_lt_i32 s23, s40
	v_cndmask_b32_e32 v0, v0, v6, vcc
	s_cbranch_scc1 .LBB99_238
; %bb.239:                              ;   in Loop: Header=BB99_237 Depth=1
	s_cmp_eq_u32 s22, s18
	s_barrier
	s_cbranch_scc1 .LBB99_236
; %bb.240:                              ;   in Loop: Header=BB99_237 Depth=1
	s_and_saveexec_b64 s[30:31], s[4:5]
	s_cbranch_execz .LBB99_242
; %bb.241:                              ;   in Loop: Header=BB99_237 Depth=1
	global_load_dwordx2 v[6:7], v4, s[24:25]
	s_ashr_i32 s23, s22, 31
	s_lshl_b64 s[50:51], s[22:23], 3
	s_add_u32 s50, s46, s50
	s_addc_u32 s51, s47, s51
	s_waitcnt vmcnt(0)
	global_store_dwordx2 v4, v[6:7], s[50:51]
	global_store_dwordx2 v4, v[0:1], s[24:25]
.LBB99_242:                             ;   in Loop: Header=BB99_237 Depth=1
	s_or_b64 exec, exec, s[30:31]
	s_and_b64 vcc, exec, s[12:13]
	s_cbranch_vccnz .LBB99_247
; %bb.243:                              ;   in Loop: Header=BB99_237 Depth=1
	s_and_saveexec_b64 s[24:25], s[6:7]
	s_cbranch_execz .LBB99_246
; %bb.244:                              ;   in Loop: Header=BB99_237 Depth=1
	s_mov_b64 s[30:31], 0
	v_mov_b32_e32 v0, v2
	v_mov_b32_e32 v1, v41
.LBB99_245:                             ;   Parent Loop BB99_237 Depth=1
                                        ; =>  This Inner Loop Header: Depth=2
	v_add_u32_e32 v6, s22, v0
	v_ashrrev_i32_e32 v7, 31, v6
	v_add_u32_e32 v8, s18, v0
	v_lshlrev_b64 v[6:7], 3, v[6:7]
	v_mov_b32_e32 v5, s29
	v_ashrrev_i32_e32 v9, 31, v8
	v_add_co_u32_e32 v6, vcc, s28, v6
	v_lshlrev_b64 v[8:9], 3, v[8:9]
	v_addc_co_u32_e32 v7, vcc, v5, v7, vcc
	v_add_co_u32_e32 v8, vcc, s28, v8
	v_addc_co_u32_e32 v9, vcc, v5, v9, vcc
	flat_load_dwordx2 v[10:11], v[8:9]
	flat_load_dwordx2 v[12:13], v[6:7]
	v_add_u32_e32 v1, s38, v1
	v_cmp_le_i32_e32 vcc, s41, v1
	v_add_u32_e32 v0, s44, v0
	s_or_b64 s[30:31], vcc, s[30:31]
	s_waitcnt vmcnt(0) lgkmcnt(0)
	flat_store_dwordx2 v[6:7], v[10:11]
	flat_store_dwordx2 v[8:9], v[12:13]
	s_andn2_b64 exec, exec, s[30:31]
	s_cbranch_execnz .LBB99_245
.LBB99_246:                             ;   in Loop: Header=BB99_237 Depth=1
	s_or_b64 exec, exec, s[24:25]
	s_waitcnt lgkmcnt(0)
	s_barrier
.LBB99_247:                             ;   in Loop: Header=BB99_237 Depth=1
	s_and_b64 vcc, exec, s[14:15]
	s_cbranch_vccnz .LBB99_252
; %bb.248:                              ;   in Loop: Header=BB99_237 Depth=1
	s_and_saveexec_b64 s[24:25], s[8:9]
	s_cbranch_execz .LBB99_251
; %bb.249:                              ;   in Loop: Header=BB99_237 Depth=1
	s_mul_i32 s23, s22, s39
	s_mov_b64 s[30:31], 0
	v_mov_b32_e32 v0, v41
.LBB99_250:                             ;   Parent Loop BB99_237 Depth=1
                                        ; =>  This Inner Loop Header: Depth=2
	v_add_u32_e32 v6, s23, v0
	v_ashrrev_i32_e32 v7, 31, v6
	v_add_u32_e32 v8, s48, v0
	v_lshlrev_b64 v[6:7], 3, v[6:7]
	v_mov_b32_e32 v1, s35
	v_ashrrev_i32_e32 v9, 31, v8
	v_add_co_u32_e32 v6, vcc, s34, v6
	v_lshlrev_b64 v[8:9], 3, v[8:9]
	v_addc_co_u32_e32 v7, vcc, v1, v7, vcc
	v_add_co_u32_e32 v8, vcc, s34, v8
	v_addc_co_u32_e32 v9, vcc, v1, v9, vcc
	flat_load_dwordx2 v[10:11], v[8:9]
	flat_load_dwordx2 v[12:13], v[6:7]
	v_add_u32_e32 v0, s38, v0
	v_cmp_le_i32_e32 vcc, s42, v0
	s_or_b64 s[30:31], vcc, s[30:31]
	s_waitcnt vmcnt(0) lgkmcnt(0)
	flat_store_dwordx2 v[6:7], v[10:11]
	flat_store_dwordx2 v[8:9], v[12:13]
	s_andn2_b64 exec, exec, s[30:31]
	s_cbranch_execnz .LBB99_250
.LBB99_251:                             ;   in Loop: Header=BB99_237 Depth=1
	s_or_b64 exec, exec, s[24:25]
	s_waitcnt lgkmcnt(0)
	s_barrier
.LBB99_252:                             ;   in Loop: Header=BB99_237 Depth=1
	s_and_b64 vcc, exec, s[16:17]
	s_cbranch_vccnz .LBB99_236
; %bb.253:                              ;   in Loop: Header=BB99_237 Depth=1
	s_and_saveexec_b64 s[24:25], s[10:11]
	s_cbranch_execz .LBB99_235
; %bb.254:                              ;   in Loop: Header=BB99_237 Depth=1
	s_mov_b64 s[30:31], 0
	v_mov_b32_e32 v0, v3
	v_mov_b32_e32 v1, v41
.LBB99_255:                             ;   Parent Loop BB99_237 Depth=1
                                        ; =>  This Inner Loop Header: Depth=2
	v_add_u32_e32 v6, s22, v0
	v_ashrrev_i32_e32 v7, 31, v6
	v_add_u32_e32 v8, s18, v0
	v_lshlrev_b64 v[6:7], 3, v[6:7]
	v_mov_b32_e32 v5, s37
	v_ashrrev_i32_e32 v9, 31, v8
	v_add_co_u32_e32 v6, vcc, s36, v6
	v_lshlrev_b64 v[8:9], 3, v[8:9]
	v_addc_co_u32_e32 v7, vcc, v5, v7, vcc
	v_add_co_u32_e32 v8, vcc, s36, v8
	v_addc_co_u32_e32 v9, vcc, v5, v9, vcc
	flat_load_dwordx2 v[10:11], v[8:9]
	flat_load_dwordx2 v[12:13], v[6:7]
	v_add_u32_e32 v1, s38, v1
	v_cmp_le_i32_e32 vcc, s43, v1
	v_add_u32_e32 v0, s45, v0
	s_or_b64 s[30:31], vcc, s[30:31]
	s_waitcnt vmcnt(0) lgkmcnt(0)
	flat_store_dwordx2 v[6:7], v[10:11]
	flat_store_dwordx2 v[8:9], v[12:13]
	s_andn2_b64 exec, exec, s[30:31]
	s_cbranch_execnz .LBB99_255
	s_branch .LBB99_235
.LBB99_256:
	s_mov_b64 s[6:7], 0
.LBB99_257:
	s_andn2_b64 vcc, exec, s[6:7]
	s_cbranch_vccnz .LBB99_260
; %bb.258:
	v_cmp_eq_u32_e32 vcc, 0, v41
	s_and_saveexec_b64 s[4:5], vcc
	s_cbranch_execz .LBB99_260
; %bb.259:
	s_add_u32 s4, s52, s26
	s_addc_u32 s5, s53, s27
	v_mov_b32_e32 v0, 0
	v_mov_b32_e32 v1, s56
	global_store_dword v0, v1, s[4:5]
.LBB99_260:
	s_endpgm
	.section	.rodata,"a",@progbits
	.p2align	6, 0x0
	.amdhsa_kernel _ZN9rocsolver6v33100L14bdsqr_finalizeIddPKPdS2_S4_EEviiiiPT0_lS6_lT1_iilT2_iilT3_iilPiSA_SA_
		.amdhsa_group_segment_fixed_size 0
		.amdhsa_private_segment_fixed_size 64
		.amdhsa_kernarg_size 400
		.amdhsa_user_sgpr_count 8
		.amdhsa_user_sgpr_private_segment_buffer 1
		.amdhsa_user_sgpr_dispatch_ptr 0
		.amdhsa_user_sgpr_queue_ptr 0
		.amdhsa_user_sgpr_kernarg_segment_ptr 1
		.amdhsa_user_sgpr_dispatch_id 0
		.amdhsa_user_sgpr_flat_scratch_init 1
		.amdhsa_user_sgpr_kernarg_preload_length 0
		.amdhsa_user_sgpr_kernarg_preload_offset 0
		.amdhsa_user_sgpr_private_segment_size 0
		.amdhsa_uses_dynamic_stack 0
		.amdhsa_system_sgpr_private_segment_wavefront_offset 1
		.amdhsa_system_sgpr_workgroup_id_x 1
		.amdhsa_system_sgpr_workgroup_id_y 1
		.amdhsa_system_sgpr_workgroup_id_z 0
		.amdhsa_system_sgpr_workgroup_info 0
		.amdhsa_system_vgpr_workitem_id 2
		.amdhsa_next_free_vgpr 45
		.amdhsa_next_free_sgpr 78
		.amdhsa_accum_offset 48
		.amdhsa_reserve_vcc 1
		.amdhsa_reserve_flat_scratch 1
		.amdhsa_float_round_mode_32 0
		.amdhsa_float_round_mode_16_64 0
		.amdhsa_float_denorm_mode_32 3
		.amdhsa_float_denorm_mode_16_64 3
		.amdhsa_dx10_clamp 1
		.amdhsa_ieee_mode 1
		.amdhsa_fp16_overflow 0
		.amdhsa_tg_split 0
		.amdhsa_exception_fp_ieee_invalid_op 0
		.amdhsa_exception_fp_denorm_src 0
		.amdhsa_exception_fp_ieee_div_zero 0
		.amdhsa_exception_fp_ieee_overflow 0
		.amdhsa_exception_fp_ieee_underflow 0
		.amdhsa_exception_fp_ieee_inexact 0
		.amdhsa_exception_int_div_zero 0
	.end_amdhsa_kernel
	.section	.text._ZN9rocsolver6v33100L14bdsqr_finalizeIddPKPdS2_S4_EEviiiiPT0_lS6_lT1_iilT2_iilT3_iilPiSA_SA_,"axG",@progbits,_ZN9rocsolver6v33100L14bdsqr_finalizeIddPKPdS2_S4_EEviiiiPT0_lS6_lT1_iilT2_iilT3_iilPiSA_SA_,comdat
.Lfunc_end99:
	.size	_ZN9rocsolver6v33100L14bdsqr_finalizeIddPKPdS2_S4_EEviiiiPT0_lS6_lT1_iilT2_iilT3_iilPiSA_SA_, .Lfunc_end99-_ZN9rocsolver6v33100L14bdsqr_finalizeIddPKPdS2_S4_EEviiiiPT0_lS6_lT1_iilT2_iilT3_iilPiSA_SA_
                                        ; -- End function
	.section	.AMDGPU.csdata,"",@progbits
; Kernel info:
; codeLenInByte = 7796
; NumSgprs: 84
; NumVgprs: 45
; NumAgprs: 0
; TotalNumVgprs: 45
; ScratchSize: 64
; MemoryBound: 0
; FloatMode: 240
; IeeeMode: 1
; LDSByteSize: 0 bytes/workgroup (compile time only)
; SGPRBlocks: 10
; VGPRBlocks: 5
; NumSGPRsForWavesPerEU: 84
; NumVGPRsForWavesPerEU: 45
; AccumOffset: 48
; Occupancy: 8
; WaveLimiterHint : 1
; COMPUTE_PGM_RSRC2:SCRATCH_EN: 1
; COMPUTE_PGM_RSRC2:USER_SGPR: 8
; COMPUTE_PGM_RSRC2:TRAP_HANDLER: 0
; COMPUTE_PGM_RSRC2:TGID_X_EN: 1
; COMPUTE_PGM_RSRC2:TGID_Y_EN: 1
; COMPUTE_PGM_RSRC2:TGID_Z_EN: 0
; COMPUTE_PGM_RSRC2:TIDIG_COMP_CNT: 2
; COMPUTE_PGM_RSRC3_GFX90A:ACCUM_OFFSET: 11
; COMPUTE_PGM_RSRC3_GFX90A:TG_SPLIT: 0
	.section	.text._ZN9rocsolver6v33100L17bdsqr_lower2upperIddPKPdS4_EEviiiPT0_lS6_lT1_iilT2_iilPiS6_lS9_,"axG",@progbits,_ZN9rocsolver6v33100L17bdsqr_lower2upperIddPKPdS4_EEviiiPT0_lS6_lT1_iilT2_iilPiS6_lS9_,comdat
	.globl	_ZN9rocsolver6v33100L17bdsqr_lower2upperIddPKPdS4_EEviiiPT0_lS6_lT1_iilT2_iilPiS6_lS9_ ; -- Begin function _ZN9rocsolver6v33100L17bdsqr_lower2upperIddPKPdS4_EEviiiPT0_lS6_lT1_iilT2_iilPiS6_lS9_
	.p2align	8
	.type	_ZN9rocsolver6v33100L17bdsqr_lower2upperIddPKPdS4_EEviiiPT0_lS6_lT1_iilT2_iilPiS6_lS9_,@function
_ZN9rocsolver6v33100L17bdsqr_lower2upperIddPKPdS4_EEviiiPT0_lS6_lT1_iilT2_iilPiS6_lS9_: ; @_ZN9rocsolver6v33100L17bdsqr_lower2upperIddPKPdS4_EEviiiPT0_lS6_lT1_iilT2_iilPiS6_lS9_
; %bb.0:
	s_load_dwordx2 s[0:1], s[4:5], 0x78
	s_mov_b32 s26, s7
	s_ashr_i32 s27, s7, 31
	s_lshl_b64 s[2:3], s[26:27], 2
	s_waitcnt lgkmcnt(0)
	s_add_u32 s0, s0, s2
	s_addc_u32 s1, s1, s3
	s_load_dword s0, s[0:1], 0x8
	s_waitcnt lgkmcnt(0)
	s_cmp_lg_u32 s0, 0
	s_cbranch_scc1 .LBB100_34
; %bb.1:
	s_load_dwordx4 s[20:23], s[4:5], 0x30
	s_load_dwordx4 s[8:11], s[4:5], 0x68
	s_mov_b64 s[6:7], 0
	s_mov_b64 s[24:25], 0
	s_waitcnt lgkmcnt(0)
	s_cmp_eq_u64 s[20:21], 0
	s_cbranch_scc1 .LBB100_3
; %bb.2:
	s_lshl_b64 s[0:1], s[26:27], 3
	s_add_u32 s0, s20, s0
	s_addc_u32 s1, s21, s1
	s_load_dwordx2 s[0:1], s[0:1], 0x0
	s_ashr_i32 s3, s22, 31
	s_mov_b32 s2, s22
	s_lshl_b64 s[2:3], s[2:3], 3
	s_waitcnt lgkmcnt(0)
	s_add_u32 s24, s0, s2
	s_addc_u32 s25, s1, s3
.LBB100_3:
	s_load_dwordx4 s[0:3], s[4:5], 0x48
	s_waitcnt lgkmcnt(0)
	s_cmp_eq_u64 s[0:1], 0
	s_cbranch_scc1 .LBB100_5
; %bb.4:
	s_lshl_b64 s[6:7], s[26:27], 3
	s_add_u32 s0, s0, s6
	s_addc_u32 s1, s1, s7
	s_load_dwordx2 s[0:1], s[0:1], 0x0
	s_ashr_i32 s7, s2, 31
	s_mov_b32 s6, s2
	s_lshl_b64 s[6:7], s[6:7], 3
	s_waitcnt lgkmcnt(0)
	s_add_u32 s6, s0, s6
	s_addc_u32 s7, s1, s7
.LBB100_5:
	s_mul_i32 s0, s26, s11
	s_mul_hi_u32 s1, s26, s10
	s_load_dwordx4 s[16:19], s[4:5], 0x0
	s_add_i32 s0, s1, s0
	s_mul_i32 s1, s27, s10
	s_add_i32 s1, s0, s1
	s_mul_i32 s0, s26, s10
	s_lshl_b64 s[0:1], s[0:1], 3
	s_add_u32 s2, s8, s0
	s_waitcnt lgkmcnt(0)
	s_addc_u32 s19, s9, s1
	v_cmp_eq_u32_e32 vcc, 0, v0
	s_and_saveexec_b64 s[0:1], vcc
	s_cbranch_execz .LBB100_22
; %bb.6:
	s_load_dwordx8 s[8:15], s[4:5], 0x10
	s_waitcnt lgkmcnt(0)
	s_mul_i32 s11, s26, s11
	s_mul_hi_u32 s20, s26, s10
	s_mul_i32 s21, s27, s10
	s_add_i32 s11, s20, s11
	s_add_i32 s11, s11, s21
	s_mul_i32 s10, s26, s10
	s_lshl_b64 s[28:29], s[10:11], 3
	s_add_u32 s10, s8, s28
	s_addc_u32 s11, s9, s29
	s_load_dwordx2 s[30:31], s[10:11], 0x0
	s_add_i32 s20, s16, -1
	s_cmp_lt_i32 s16, 2
	s_waitcnt lgkmcnt(0)
	v_pk_mov_b32 v[4:5], s[30:31], s[30:31] op_sel:[0,1]
	s_cbranch_scc1 .LBB100_21
; %bb.7:
	s_mul_i32 s15, s26, s15
	s_mul_hi_u32 s21, s26, s14
	s_add_i32 s15, s21, s15
	s_mul_i32 s21, s27, s14
	s_add_i32 s15, s15, s21
	s_mul_i32 s14, s26, s14
	s_lshl_b64 s[14:15], s[14:15], 3
	s_add_u32 s34, s14, s12
	s_addc_u32 s35, s15, s13
	s_or_b32 s12, s18, s17
	s_cmp_lg_u32 s12, 0
	s_cselect_b64 s[14:15], -1, 0
	s_add_u32 s26, s2, 32
	s_addc_u32 s27, s19, 0
	s_load_dwordx2 s[36:37], s[34:35], 0x0
	s_add_u32 s8, s28, s8
	s_addc_u32 s9, s29, s9
	s_add_u32 s8, s8, 8
	s_addc_u32 s9, s9, 0
	s_add_u32 s28, s34, 8
	v_pk_mov_b32 v[4:5], s[30:31], s[30:31] op_sel:[0,1]
	s_mov_b32 s30, 0
	s_mov_b32 s13, 0
	s_addc_u32 s29, s35, 0
	s_waitcnt lgkmcnt(0)
	v_pk_mov_b32 v[2:3], s[36:37], s[36:37] op_sel:[0,1]
	s_brev_b32 s31, 8
	v_mov_b32_e32 v1, 0x260
	v_mov_b32_e32 v10, 0
	s_mov_b64 s[34:35], s[26:27]
	s_mov_b32 s21, 0
	s_branch .LBB100_9
.LBB100_8:                              ;   in Loop: Header=BB100_9 Depth=1
	s_add_i32 s21, s21, 1
	s_add_u32 s34, s34, 8
	s_addc_u32 s35, s35, 0
	s_add_u32 s8, s8, 8
	s_addc_u32 s9, s9, 0
	s_add_u32 s28, s28, 8
	s_addc_u32 s29, s29, 0
	s_cmp_lg_u32 s20, s21
	s_waitcnt vmcnt(0)
	v_mul_f64 v[4:5], v[6:7], v[4:5]
	s_cbranch_scc0 .LBB100_21
.LBB100_9:                              ; =>This Inner Loop Header: Depth=1
	v_cmp_eq_f64_e32 vcc, 0, v[2:3]
	v_pk_mov_b32 v[8:9], 0, 0
	s_cbranch_vccnz .LBB100_13
; %bb.10:                               ;   in Loop: Header=BB100_9 Depth=1
	v_cmp_neq_f64_e32 vcc, 0, v[4:5]
	s_cbranch_vccz .LBB100_14
; %bb.11:                               ;   in Loop: Header=BB100_9 Depth=1
	v_cmp_ngt_f64_e64 s[36:37], |v[2:3]|, |v[4:5]|
	s_and_b64 vcc, exec, s[36:37]
	s_cbranch_vccz .LBB100_15
; %bb.12:                               ;   in Loop: Header=BB100_9 Depth=1
	v_div_scale_f64 v[6:7], s[36:37], v[4:5], v[4:5], -v[2:3]
	v_rcp_f64_e32 v[8:9], v[6:7]
	v_div_scale_f64 v[12:13], vcc, -v[2:3], v[4:5], -v[2:3]
	v_fma_f64 v[14:15], -v[6:7], v[8:9], 1.0
	v_fmac_f64_e32 v[8:9], v[8:9], v[14:15]
	v_fma_f64 v[14:15], -v[6:7], v[8:9], 1.0
	v_fmac_f64_e32 v[8:9], v[8:9], v[14:15]
	v_mul_f64 v[14:15], v[12:13], v[8:9]
	v_fma_f64 v[6:7], -v[6:7], v[14:15], v[12:13]
	v_div_fmas_f64 v[6:7], v[6:7], v[8:9], v[14:15]
	v_div_fixup_f64 v[8:9], v[6:7], v[4:5], -v[2:3]
	v_fma_f64 v[6:7], v[8:9], v[8:9], 1.0
	v_cmp_gt_f64_e32 vcc, s[30:31], v[6:7]
	v_cndmask_b32_e64 v11, 0, 1, vcc
	v_lshlrev_b32_e32 v11, 8, v11
	v_ldexp_f64 v[6:7], v[6:7], v11
	v_rsq_f64_e32 v[12:13], v[6:7]
	s_and_b64 s[36:37], vcc, exec
	s_cselect_b32 s12, 0xffffff80, 0
	v_cmp_class_f64_e32 vcc, v[6:7], v1
	v_mul_f64 v[14:15], v[6:7], v[12:13]
	v_mul_f64 v[12:13], v[12:13], 0.5
	v_fma_f64 v[16:17], -v[12:13], v[14:15], 0.5
	v_fmac_f64_e32 v[14:15], v[14:15], v[16:17]
	v_fma_f64 v[18:19], -v[14:15], v[14:15], v[6:7]
	v_fmac_f64_e32 v[12:13], v[12:13], v[16:17]
	v_fmac_f64_e32 v[14:15], v[18:19], v[12:13]
	v_fma_f64 v[16:17], -v[14:15], v[14:15], v[6:7]
	v_fmac_f64_e32 v[14:15], v[16:17], v[12:13]
	v_ldexp_f64 v[12:13], v[14:15], s12
	v_cndmask_b32_e32 v7, v13, v7, vcc
	v_cndmask_b32_e32 v6, v12, v6, vcc
	v_div_scale_f64 v[12:13], s[36:37], v[6:7], v[6:7], 1.0
	v_rcp_f64_e32 v[14:15], v[12:13]
	v_fma_f64 v[16:17], -v[12:13], v[14:15], 1.0
	v_fmac_f64_e32 v[14:15], v[14:15], v[16:17]
	v_fma_f64 v[16:17], -v[12:13], v[14:15], 1.0
	v_fmac_f64_e32 v[14:15], v[14:15], v[16:17]
	v_div_scale_f64 v[16:17], vcc, 1.0, v[6:7], 1.0
	v_mul_f64 v[18:19], v[16:17], v[14:15]
	v_fma_f64 v[12:13], -v[12:13], v[18:19], v[16:17]
	s_nop 1
	v_div_fmas_f64 v[12:13], v[12:13], v[14:15], v[18:19]
	v_div_fixup_f64 v[6:7], v[12:13], v[6:7], 1.0
	v_mul_f64 v[8:9], v[8:9], v[6:7]
	s_cbranch_execz .LBB100_16
	s_branch .LBB100_17
.LBB100_13:                             ;   in Loop: Header=BB100_9 Depth=1
	v_mov_b32_e32 v6, 0
	v_mov_b32_e32 v7, 0x3ff00000
	s_branch .LBB100_19
.LBB100_14:                             ;   in Loop: Header=BB100_9 Depth=1
                                        ; implicit-def: $vgpr4_vgpr5
                                        ; implicit-def: $vgpr8_vgpr9
                                        ; implicit-def: $vgpr6_vgpr7
	s_cbranch_execnz .LBB100_18
	s_branch .LBB100_19
.LBB100_15:                             ;   in Loop: Header=BB100_9 Depth=1
                                        ; implicit-def: $vgpr8_vgpr9
                                        ; implicit-def: $vgpr6_vgpr7
.LBB100_16:                             ;   in Loop: Header=BB100_9 Depth=1
	v_div_scale_f64 v[6:7], s[36:37], v[2:3], v[2:3], -v[4:5]
	v_rcp_f64_e32 v[8:9], v[6:7]
	v_div_scale_f64 v[12:13], vcc, -v[4:5], v[2:3], -v[4:5]
	v_fma_f64 v[14:15], -v[6:7], v[8:9], 1.0
	v_fmac_f64_e32 v[8:9], v[8:9], v[14:15]
	v_fma_f64 v[14:15], -v[6:7], v[8:9], 1.0
	v_fmac_f64_e32 v[8:9], v[8:9], v[14:15]
	v_mul_f64 v[14:15], v[12:13], v[8:9]
	v_fma_f64 v[6:7], -v[6:7], v[14:15], v[12:13]
	v_div_fmas_f64 v[6:7], v[6:7], v[8:9], v[14:15]
	v_div_fixup_f64 v[6:7], v[6:7], v[2:3], -v[4:5]
	v_fma_f64 v[8:9], v[6:7], v[6:7], 1.0
	v_cmp_gt_f64_e32 vcc, s[30:31], v[8:9]
	v_cndmask_b32_e64 v11, 0, 1, vcc
	v_lshlrev_b32_e32 v11, 8, v11
	v_ldexp_f64 v[8:9], v[8:9], v11
	v_rsq_f64_e32 v[12:13], v[8:9]
	s_and_b64 s[36:37], vcc, exec
	s_cselect_b32 s12, 0xffffff80, 0
	v_cmp_class_f64_e32 vcc, v[8:9], v1
	v_mul_f64 v[14:15], v[8:9], v[12:13]
	v_mul_f64 v[12:13], v[12:13], 0.5
	v_fma_f64 v[16:17], -v[12:13], v[14:15], 0.5
	v_fmac_f64_e32 v[14:15], v[14:15], v[16:17]
	v_fma_f64 v[18:19], -v[14:15], v[14:15], v[8:9]
	v_fmac_f64_e32 v[12:13], v[12:13], v[16:17]
	v_fmac_f64_e32 v[14:15], v[18:19], v[12:13]
	v_fma_f64 v[16:17], -v[14:15], v[14:15], v[8:9]
	v_fmac_f64_e32 v[14:15], v[16:17], v[12:13]
	v_ldexp_f64 v[12:13], v[14:15], s12
	v_cndmask_b32_e32 v9, v13, v9, vcc
	v_cndmask_b32_e32 v8, v12, v8, vcc
	v_div_scale_f64 v[12:13], s[36:37], v[8:9], v[8:9], 1.0
	v_rcp_f64_e32 v[14:15], v[12:13]
	v_fma_f64 v[16:17], -v[12:13], v[14:15], 1.0
	v_fmac_f64_e32 v[14:15], v[14:15], v[16:17]
	v_fma_f64 v[16:17], -v[12:13], v[14:15], 1.0
	v_fmac_f64_e32 v[14:15], v[14:15], v[16:17]
	v_div_scale_f64 v[16:17], vcc, 1.0, v[8:9], 1.0
	v_mul_f64 v[18:19], v[16:17], v[14:15]
	v_fma_f64 v[12:13], -v[12:13], v[18:19], v[16:17]
	s_nop 1
	v_div_fmas_f64 v[12:13], v[12:13], v[14:15], v[18:19]
	v_div_fixup_f64 v[8:9], v[12:13], v[8:9], 1.0
	v_mul_f64 v[6:7], v[6:7], v[8:9]
.LBB100_17:                             ;   in Loop: Header=BB100_9 Depth=1
	v_mul_f64 v[12:13], v[2:3], v[8:9]
	v_fma_f64 v[4:5], v[4:5], v[6:7], -v[12:13]
	s_branch .LBB100_19
.LBB100_18:                             ;   in Loop: Header=BB100_9 Depth=1
	v_xor_b32_e32 v3, 0x80000000, v3
	v_mov_b32_e32 v8, 0
	v_pk_mov_b32 v[6:7], 0, 0
	v_mov_b32_e32 v9, 0x3ff00000
	v_pk_mov_b32 v[4:5], v[2:3], v[2:3] op_sel:[0,1]
.LBB100_19:                             ;   in Loop: Header=BB100_9 Depth=1
	global_load_dwordx2 v[12:13], v10, s[8:9]
	s_andn2_b64 vcc, exec, s[14:15]
	global_store_dwordx2 v10, v[4:5], s[8:9] offset:-8
	global_load_dwordx2 v[2:3], v10, s[28:29]
	s_waitcnt vmcnt(2)
	v_mul_f64 v[4:5], v[12:13], -v[8:9]
	global_store_dwordx2 v10, v[4:5], s[28:29] offset:-8
	global_load_dwordx2 v[4:5], v10, s[8:9]
	s_cbranch_vccnz .LBB100_8
; %bb.20:                               ;   in Loop: Header=BB100_9 Depth=1
	s_add_i32 s12, s16, s21
	s_lshl_b64 s[36:37], s[12:13], 3
	s_add_u32 s36, s26, s36
	s_addc_u32 s37, s27, s37
	global_store_dwordx2 v10, v[6:7], s[34:35]
	global_store_dwordx2 v10, v[8:9], s[36:37]
	s_branch .LBB100_8
.LBB100_21:
	s_ashr_i32 s21, s20, 31
	s_lshl_b64 s[8:9], s[20:21], 3
	s_add_u32 s8, s10, s8
	s_addc_u32 s9, s11, s9
	v_mov_b32_e32 v1, 0
	global_store_dwordx2 v1, v[4:5], s[8:9]
.LBB100_22:
	s_or_b64 exec, exec, s[0:1]
	v_cmp_gt_i32_e32 vcc, s17, v0
	s_barrier
	s_and_saveexec_b64 s[8:9], vcc
	s_cbranch_execz .LBB100_28
; %bb.23:
	s_load_dword s10, s[4:5], 0x8c
	s_add_i32 s28, s16, -1
	s_cmp_gt_i32 s16, 1
	s_cselect_b64 s[0:1], -1, 0
	s_mul_i32 s26, s28, s23
	s_waitcnt lgkmcnt(0)
	s_and_b32 s29, s10, 0xffff
	s_add_u32 s10, s2, 32
	s_addc_u32 s11, s19, 0
	s_ashr_i32 s27, s26, 31
	s_ashr_i32 s13, s23, 31
	s_mov_b32 s12, s23
	s_mov_b32 s15, 0
	s_mov_b32 s14, s16
	v_cndmask_b32_e64 v2, 0, 1, s[0:1]
	s_lshl_b64 s[22:23], s[26:27], 3
	s_lshl_b64 s[12:13], s[12:13], 3
	;; [unrolled: 1-line block ×3, first 2 shown]
	s_mov_b64 s[20:21], 0
	v_mov_b32_e32 v1, s25
	v_cmp_ne_u32_e64 s[0:1], 1, v2
	v_mov_b32_e32 v10, 0
	v_mov_b32_e32 v11, s23
	;; [unrolled: 1-line block ×3, first 2 shown]
	s_branch .LBB100_25
.LBB100_24:                             ;   in Loop: Header=BB100_25 Depth=1
	v_add_co_u32_e32 v6, vcc, s22, v6
	v_addc_co_u32_e32 v7, vcc, v7, v11, vcc
	v_add_u32_e32 v2, s29, v2
	v_cmp_le_i32_e32 vcc, s17, v2
	s_or_b64 s[20:21], vcc, s[20:21]
	s_waitcnt vmcnt(0) lgkmcnt(0)
	flat_store_dwordx2 v[6:7], v[4:5]
	s_andn2_b64 exec, exec, s[20:21]
	s_cbranch_execz .LBB100_28
.LBB100_25:                             ; =>This Loop Header: Depth=1
                                        ;     Child Loop BB100_27 Depth 2
	v_ashrrev_i32_e32 v3, 31, v2
	v_lshlrev_b64 v[4:5], 3, v[2:3]
	v_add_co_u32_e32 v6, vcc, s24, v4
	v_addc_co_u32_e32 v7, vcc, v1, v5, vcc
	flat_load_dwordx2 v[4:5], v[6:7]
	s_and_b64 vcc, exec, s[0:1]
	s_cbranch_vccnz .LBB100_24
; %bb.26:                               ;   in Loop: Header=BB100_25 Depth=1
	s_mov_b32 s23, s28
	s_mov_b64 s[26:27], s[10:11]
	v_pk_mov_b32 v[8:9], v[6:7], v[6:7] op_sel:[0,1]
.LBB100_27:                             ;   Parent Loop BB100_25 Depth=1
                                        ; =>  This Inner Loop Header: Depth=2
	v_mov_b32_e32 v3, s13
	v_add_co_u32_e32 v12, vcc, s12, v8
	v_addc_co_u32_e32 v13, vcc, v9, v3, vcc
	s_add_u32 s30, s26, s14
	flat_load_dwordx2 v[14:15], v[12:13]
	s_addc_u32 s31, s27, s15
	global_load_dwordx2 v[16:17], v10, s[30:31]
	global_load_dwordx2 v[18:19], v10, s[26:27]
	s_add_u32 s26, s26, 8
	s_addc_u32 s27, s27, 0
	s_add_i32 s23, s23, -1
	s_cmp_lg_u32 s23, 0
	s_waitcnt vmcnt(0) lgkmcnt(0)
	v_mul_f64 v[20:21], v[14:15], v[16:17]
	v_fma_f64 v[20:21], v[4:5], v[18:19], -v[20:21]
	v_mul_f64 v[4:5], v[4:5], v[16:17]
	flat_store_dwordx2 v[8:9], v[20:21]
	v_fmac_f64_e32 v[4:5], v[14:15], v[18:19]
	v_pk_mov_b32 v[8:9], v[12:13], v[12:13] op_sel:[0,1]
	s_cbranch_scc1 .LBB100_27
	s_branch .LBB100_24
.LBB100_28:
	s_or_b64 exec, exec, s[8:9]
	v_cmp_gt_i32_e32 vcc, s18, v0
	s_and_saveexec_b64 s[0:1], vcc
	s_cbranch_execz .LBB100_34
; %bb.29:
	s_load_dword s5, s[4:5], 0x8c
	s_add_i32 s4, s16, -1
	s_cmp_gt_i32 s16, 1
	s_cselect_b64 s[0:1], -1, 0
	s_mov_b32 s17, 0
	s_waitcnt lgkmcnt(0)
	s_and_b32 s20, s5, 0xffff
	s_add_u32 s8, s2, 32
	s_addc_u32 s9, s19, 0
	s_ashr_i32 s5, s4, 31
	v_cndmask_b32_e64 v3, 0, 1, s[0:1]
	s_lshl_b64 s[14:15], s[4:5], 3
	v_mul_lo_u32 v2, v0, s3
	s_mul_i32 s2, s3, s20
	s_lshl_b64 s[10:11], s[16:17], 3
	s_mov_b64 s[12:13], 0
	v_mov_b32_e32 v1, s7
	v_cmp_ne_u32_e64 s[0:1], 1, v3
	v_mov_b32_e32 v10, 0
	v_mov_b32_e32 v11, s15
	s_branch .LBB100_31
.LBB100_30:                             ;   in Loop: Header=BB100_31 Depth=1
	v_add_co_u32_e32 v4, vcc, s14, v4
	v_addc_co_u32_e32 v5, vcc, v5, v11, vcc
	v_add_u32_e32 v0, s20, v0
	v_cmp_le_i32_e32 vcc, s18, v0
	s_or_b64 s[12:13], vcc, s[12:13]
	v_add_u32_e32 v2, s2, v2
	s_waitcnt vmcnt(0) lgkmcnt(0)
	flat_store_dwordx2 v[4:5], v[6:7]
	s_andn2_b64 exec, exec, s[12:13]
	s_cbranch_execz .LBB100_34
.LBB100_31:                             ; =>This Loop Header: Depth=1
                                        ;     Child Loop BB100_33 Depth 2
	v_mul_lo_u32 v4, v0, s3
	v_ashrrev_i32_e32 v5, 31, v4
	v_lshlrev_b64 v[4:5], 3, v[4:5]
	v_add_co_u32_e32 v4, vcc, s6, v4
	v_addc_co_u32_e32 v5, vcc, v1, v5, vcc
	flat_load_dwordx2 v[6:7], v[4:5]
	s_and_b64 vcc, exec, s[0:1]
	s_cbranch_vccnz .LBB100_30
; %bb.32:                               ;   in Loop: Header=BB100_31 Depth=1
	v_ashrrev_i32_e32 v3, 31, v2
	v_lshlrev_b64 v[8:9], 3, v[2:3]
	v_add_co_u32_e32 v8, vcc, s6, v8
	v_addc_co_u32_e32 v9, vcc, v1, v9, vcc
	s_mov_b32 s5, s4
	s_mov_b64 s[16:17], s[8:9]
.LBB100_33:                             ;   Parent Loop BB100_31 Depth=1
                                        ; =>  This Inner Loop Header: Depth=2
	s_add_u32 s22, s16, s10
	s_addc_u32 s23, s17, s11
	flat_load_dwordx2 v[12:13], v[8:9] offset:8
	global_load_dwordx2 v[14:15], v10, s[16:17]
	global_load_dwordx2 v[16:17], v10, s[22:23]
	v_add_co_u32_e32 v18, vcc, 8, v8
	s_add_u32 s16, s16, 8
	v_addc_co_u32_e32 v19, vcc, 0, v9, vcc
	s_addc_u32 s17, s17, 0
	s_add_i32 s5, s5, -1
	s_cmp_lg_u32 s5, 0
	s_waitcnt vmcnt(0) lgkmcnt(0)
	v_mul_f64 v[20:21], v[12:13], v[16:17]
	v_fma_f64 v[20:21], v[6:7], v[14:15], -v[20:21]
	v_mul_f64 v[6:7], v[6:7], v[16:17]
	flat_store_dwordx2 v[8:9], v[20:21]
	v_fmac_f64_e32 v[6:7], v[12:13], v[14:15]
	v_pk_mov_b32 v[8:9], v[18:19], v[18:19] op_sel:[0,1]
	s_cbranch_scc1 .LBB100_33
	s_branch .LBB100_30
.LBB100_34:
	s_endpgm
	.section	.rodata,"a",@progbits
	.p2align	6, 0x0
	.amdhsa_kernel _ZN9rocsolver6v33100L17bdsqr_lower2upperIddPKPdS4_EEviiiPT0_lS6_lT1_iilT2_iilPiS6_lS9_
		.amdhsa_group_segment_fixed_size 0
		.amdhsa_private_segment_fixed_size 0
		.amdhsa_kernarg_size 384
		.amdhsa_user_sgpr_count 6
		.amdhsa_user_sgpr_private_segment_buffer 1
		.amdhsa_user_sgpr_dispatch_ptr 0
		.amdhsa_user_sgpr_queue_ptr 0
		.amdhsa_user_sgpr_kernarg_segment_ptr 1
		.amdhsa_user_sgpr_dispatch_id 0
		.amdhsa_user_sgpr_flat_scratch_init 0
		.amdhsa_user_sgpr_kernarg_preload_length 0
		.amdhsa_user_sgpr_kernarg_preload_offset 0
		.amdhsa_user_sgpr_private_segment_size 0
		.amdhsa_uses_dynamic_stack 0
		.amdhsa_system_sgpr_private_segment_wavefront_offset 0
		.amdhsa_system_sgpr_workgroup_id_x 1
		.amdhsa_system_sgpr_workgroup_id_y 1
		.amdhsa_system_sgpr_workgroup_id_z 0
		.amdhsa_system_sgpr_workgroup_info 0
		.amdhsa_system_vgpr_workitem_id 0
		.amdhsa_next_free_vgpr 22
		.amdhsa_next_free_sgpr 38
		.amdhsa_accum_offset 24
		.amdhsa_reserve_vcc 1
		.amdhsa_reserve_flat_scratch 0
		.amdhsa_float_round_mode_32 0
		.amdhsa_float_round_mode_16_64 0
		.amdhsa_float_denorm_mode_32 3
		.amdhsa_float_denorm_mode_16_64 3
		.amdhsa_dx10_clamp 1
		.amdhsa_ieee_mode 1
		.amdhsa_fp16_overflow 0
		.amdhsa_tg_split 0
		.amdhsa_exception_fp_ieee_invalid_op 0
		.amdhsa_exception_fp_denorm_src 0
		.amdhsa_exception_fp_ieee_div_zero 0
		.amdhsa_exception_fp_ieee_overflow 0
		.amdhsa_exception_fp_ieee_underflow 0
		.amdhsa_exception_fp_ieee_inexact 0
		.amdhsa_exception_int_div_zero 0
	.end_amdhsa_kernel
	.section	.text._ZN9rocsolver6v33100L17bdsqr_lower2upperIddPKPdS4_EEviiiPT0_lS6_lT1_iilT2_iilPiS6_lS9_,"axG",@progbits,_ZN9rocsolver6v33100L17bdsqr_lower2upperIddPKPdS4_EEviiiPT0_lS6_lT1_iilT2_iilPiS6_lS9_,comdat
.Lfunc_end100:
	.size	_ZN9rocsolver6v33100L17bdsqr_lower2upperIddPKPdS4_EEviiiPT0_lS6_lT1_iilT2_iilPiS6_lS9_, .Lfunc_end100-_ZN9rocsolver6v33100L17bdsqr_lower2upperIddPKPdS4_EEviiiPT0_lS6_lT1_iilT2_iilPiS6_lS9_
                                        ; -- End function
	.section	.AMDGPU.csdata,"",@progbits
; Kernel info:
; codeLenInByte = 2052
; NumSgprs: 42
; NumVgprs: 22
; NumAgprs: 0
; TotalNumVgprs: 22
; ScratchSize: 0
; MemoryBound: 0
; FloatMode: 240
; IeeeMode: 1
; LDSByteSize: 0 bytes/workgroup (compile time only)
; SGPRBlocks: 5
; VGPRBlocks: 2
; NumSGPRsForWavesPerEU: 42
; NumVGPRsForWavesPerEU: 22
; AccumOffset: 24
; Occupancy: 8
; WaveLimiterHint : 0
; COMPUTE_PGM_RSRC2:SCRATCH_EN: 0
; COMPUTE_PGM_RSRC2:USER_SGPR: 6
; COMPUTE_PGM_RSRC2:TRAP_HANDLER: 0
; COMPUTE_PGM_RSRC2:TGID_X_EN: 1
; COMPUTE_PGM_RSRC2:TGID_Y_EN: 1
; COMPUTE_PGM_RSRC2:TGID_Z_EN: 0
; COMPUTE_PGM_RSRC2:TIDIG_COMP_CNT: 0
; COMPUTE_PGM_RSRC3_GFX90A:ACCUM_OFFSET: 5
; COMPUTE_PGM_RSRC3_GFX90A:TG_SPLIT: 0
	.section	.text._ZN9rocsolver6v33100L13bdsqr_computeILi256EddPdPKS2_S4_EEviiiiPT1_lS6_lT2_iilT3_iilT4_iiliS5_S5_S5_S5_PiS6_ilSA_,"axG",@progbits,_ZN9rocsolver6v33100L13bdsqr_computeILi256EddPdPKS2_S4_EEviiiiPT1_lS6_lT2_iilT3_iilT4_iiliS5_S5_S5_S5_PiS6_ilSA_,comdat
	.globl	_ZN9rocsolver6v33100L13bdsqr_computeILi256EddPdPKS2_S4_EEviiiiPT1_lS6_lT2_iilT3_iilT4_iiliS5_S5_S5_S5_PiS6_ilSA_ ; -- Begin function _ZN9rocsolver6v33100L13bdsqr_computeILi256EddPdPKS2_S4_EEviiiiPT1_lS6_lT2_iilT3_iilT4_iiliS5_S5_S5_S5_PiS6_ilSA_
	.p2align	8
	.type	_ZN9rocsolver6v33100L13bdsqr_computeILi256EddPdPKS2_S4_EEviiiiPT1_lS6_lT2_iilT3_iilT4_iiliS5_S5_S5_S5_PiS6_ilSA_,@function
_ZN9rocsolver6v33100L13bdsqr_computeILi256EddPdPKS2_S4_EEviiiiPT1_lS6_lT2_iilT3_iilT4_iiliS5_S5_S5_S5_PiS6_ilSA_: ; @_ZN9rocsolver6v33100L13bdsqr_computeILi256EddPdPKS2_S4_EEviiiiPT1_lS6_lT2_iilT3_iilT4_iiliS5_S5_S5_S5_PiS6_ilSA_
; %bb.0:
	s_load_dwordx4 s[0:3], s[4:5], 0xb8
	s_ashr_i32 s9, s8, 31
	s_lshl_b64 s[10:11], s[8:9], 2
	s_waitcnt lgkmcnt(0)
	s_add_u32 s2, s2, s10
	s_addc_u32 s3, s3, s11
	s_load_dword s2, s[2:3], 0x8
	s_waitcnt lgkmcnt(0)
	s_cmp_lg_u32 s2, 0
	s_cbranch_scc1 .LBB101_181
; %bb.1:
	s_load_dwordx8 s[20:27], s[4:5], 0x30
	s_mov_b64 s[34:35], 0
	s_mov_b64 s[52:53], 0
	s_waitcnt lgkmcnt(0)
	s_cmp_eq_u64 s[20:21], 0
	s_cbranch_scc1 .LBB101_3
; %bb.2:
	s_mul_i32 s6, s8, s25
	s_mul_hi_u32 s10, s8, s24
	s_add_i32 s6, s10, s6
	s_mul_i32 s10, s9, s24
	s_add_i32 s11, s6, s10
	s_mul_i32 s10, s8, s24
	s_ashr_i32 s3, s22, 31
	s_lshl_b64 s[10:11], s[10:11], 3
	s_mov_b32 s2, s22
	s_add_u32 s6, s20, s10
	s_addc_u32 s10, s21, s11
	s_lshl_b64 s[2:3], s[2:3], 3
	s_add_u32 s52, s6, s2
	s_addc_u32 s53, s10, s3
.LBB101_3:
	s_load_dwordx2 s[74:75], s[4:5], 0x50
	s_cmp_eq_u64 s[26:27], 0
	s_cbranch_scc1 .LBB101_5
; %bb.4:
	s_lshl_b64 s[2:3], s[8:9], 3
	s_add_u32 s2, s26, s2
	s_addc_u32 s3, s27, s3
	s_load_dwordx2 s[2:3], s[2:3], 0x0
	s_waitcnt lgkmcnt(0)
	s_ashr_i32 s11, s74, 31
	s_mov_b32 s10, s74
	s_lshl_b64 s[10:11], s[10:11], 3
	s_add_u32 s34, s2, s10
	s_addc_u32 s35, s3, s11
.LBB101_5:
	s_load_dwordx4 s[44:47], s[4:5], 0x60
	s_mov_b64 s[54:55], 0
	s_waitcnt lgkmcnt(0)
	s_cmp_eq_u64 s[44:45], 0
	s_cbranch_scc1 .LBB101_7
; %bb.6:
	s_lshl_b64 s[2:3], s[8:9], 3
	s_add_u32 s2, s44, s2
	s_addc_u32 s3, s45, s3
	s_load_dwordx2 s[2:3], s[2:3], 0x0
	s_ashr_i32 s11, s46, 31
	s_mov_b32 s10, s46
	s_lshl_b64 s[10:11], s[10:11], 3
	s_waitcnt lgkmcnt(0)
	s_add_u32 s54, s2, s10
	s_addc_u32 s55, s3, s11
.LBB101_7:
	s_load_dwordx8 s[24:31], s[4:5], 0x90
	s_mul_i32 s1, s8, s1
	s_mul_hi_u32 s2, s8, s0
	s_add_i32 s1, s2, s1
	s_mul_i32 s2, s9, s0
	s_add_i32 s1, s1, s2
	s_mul_i32 s0, s8, s0
	s_lshl_b64 s[10:11], s[0:1], 3
	s_waitcnt lgkmcnt(0)
	s_add_u32 s44, s30, s10
	s_addc_u32 s45, s31, s11
	s_load_dwordx2 s[0:1], s[44:45], 0x10
	s_waitcnt lgkmcnt(0)
	v_cvt_i32_f64_e32 v1, s[0:1]
	v_cmp_ge_i32_e32 vcc, s7, v1
	s_cbranch_vccnz .LBB101_181
; %bb.8:
	s_load_dwordx4 s[48:51], s[4:5], 0x0
	s_load_dwordx8 s[36:43], s[4:5], 0x10
                                        ; implicit-def: $vgpr36 : SGPR spill to VGPR lane
	v_lshlrev_b32_e32 v16, 3, v0
	v_mul_lo_u32 v21, v0, s23
	v_mul_lo_u32 v23, v0, s47
	s_waitcnt lgkmcnt(0)
	s_mul_i32 s0, s8, s48
	s_lshl_b32 s0, s0, 1
	s_ashr_i32 s1, s0, 31
	s_lshl_b64 s[0:1], s[0:1], 2
	s_mul_i32 s2, s8, s39
	s_mul_hi_u32 s3, s8, s38
	s_add_u32 s6, s28, s0
	s_addc_u32 s20, s29, s1
	s_add_i32 s0, s3, s2
	s_mul_i32 s1, s9, s38
	s_add_i32 s1, s0, s1
	s_mul_i32 s0, s8, s38
	s_lshl_b64 s[0:1], s[0:1], 3
	s_add_u32 s22, s36, s0
	s_addc_u32 s33, s37, s1
	s_mul_i32 s0, s8, s43
	s_mul_hi_u32 s1, s8, s42
	s_add_i32 s0, s1, s0
	s_mul_i32 s1, s9, s42
	s_add_i32 s1, s0, s1
	s_mul_i32 s0, s8, s42
	v_writelane_b32 v36, s0, 0
	s_lshl_b64 s[12:13], s[0:1], 3
	s_add_u32 s46, s40, s12
	s_addc_u32 s48, s41, s13
	s_cmp_lg_u32 s49, 0
	s_cselect_b64 s[36:37], -1, 0
	s_or_b32 s8, s51, s50
	s_cmp_eq_u32 s8, 0
	v_writelane_b32 v36, s1, 1
	s_cselect_b64 s[8:9], -1, 0
	v_writelane_b32 v36, s8, 2
	s_cmp_lg_u64 s[52:53], 0
	v_writelane_b32 v36, s9, 3
	s_cselect_b64 s[8:9], -1, 0
	s_and_b64 s[82:83], s[36:37], s[8:9]
	s_add_u32 s92, s4, 0xc8
	s_addc_u32 s93, s5, 0
	s_cmp_lg_u64 s[34:35], 0
	s_cselect_b64 s[8:9], -1, 0
	s_cmp_lg_u32 s50, 0
	s_cselect_b64 s[14:15], -1, 0
	s_and_b64 s[94:95], s[14:15], s[8:9]
	s_cmp_lg_u64 s[54:55], 0
	s_cselect_b64 s[8:9], -1, 0
	s_cmp_lg_u32 s51, 0
	s_cselect_b64 s[14:15], -1, 0
	s_and_b64 s[8:9], s[14:15], s[8:9]
	s_add_u32 s18, s30, s10
	v_writelane_b32 v36, s8, 4
	s_addc_u32 s19, s31, s11
	v_writelane_b32 v36, s9, 5
	s_add_u32 s8, s18, 24
	v_writelane_b32 v36, s8, 6
	s_addc_u32 s8, s19, 0
	v_writelane_b32 v36, s8, 7
	v_cmp_gt_i32_e64 s[8:9], s50, v0
	v_writelane_b32 v36, s8, 8
	v_writelane_b32 v36, s9, 9
	s_load_dword s8, s[4:5], 0x78
	s_load_dwordx2 s[14:15], s[4:5], 0x80
	s_add_u32 s10, s40, -8
	s_addc_u32 s11, s41, -1
	s_load_dword s79, s[4:5], 0xb0
	s_load_dword s9, s[4:5], 0xcc
	s_add_u32 s4, s10, s12
	s_waitcnt lgkmcnt(0)
	v_writelane_b32 v36, s14, 10
	v_writelane_b32 v36, s15, 11
	;; [unrolled: 1-line block ×5, first 2 shown]
	s_addc_u32 s4, s11, s13
	v_writelane_b32 v36, s4, 15
	s_add_u32 s4, s22, -8
	v_writelane_b32 v36, s4, 16
	s_addc_u32 s4, s33, -1
	v_mov_b32_e32 v3, s33
	v_add_co_u32_e32 v17, vcc, s22, v16
	v_writelane_b32 v36, s4, 17
	s_add_u32 s4, s18, 40
	v_addc_co_u32_e32 v18, vcc, 0, v3, vcc
	v_writelane_b32 v36, s4, 18
	s_addc_u32 s4, s19, 0
	s_movk_i32 s0, 0x80
	v_mov_b32_e32 v3, s48
	v_add_co_u32_e32 v19, vcc, s46, v16
	v_writelane_b32 v36, s4, 19
	v_cmp_gt_i32_e64 s[4:5], s51, v0
	s_mov_b32 s40, 0
	v_cmp_gt_u32_e64 s[0:1], s0, v0
	v_cmp_gt_u32_e64 s[2:3], 64, v0
	v_cmp_eq_u32_e64 s[16:17], 0, v0
	v_cmp_gt_i32_e64 s[90:91], s49, v0
	v_mov_b32_e32 v2, 0
	v_addc_co_u32_e32 v20, vcc, 0, v3, vcc
	v_add_u32_e32 v22, -1, v21
	v_add_u32_e32 v24, -1, v23
	v_mov_b32_e32 v25, 0x260
	v_mov_b32_e32 v26, 1
	v_writelane_b32 v36, s4, 20
	s_brev_b32 s41, 8
	v_writelane_b32 v36, s5, 21
	s_branch .LBB101_11
.LBB101_9:                              ;   in Loop: Header=BB101_11 Depth=1
	s_or_b64 exec, exec, s[12:13]
.LBB101_10:                             ;   in Loop: Header=BB101_11 Depth=1
	s_add_i32 s7, s9, s7
	v_cmp_lt_i32_e32 vcc, s7, v1
	s_cbranch_vccz .LBB101_181
.LBB101_11:                             ; =>This Loop Header: Depth=1
                                        ;     Child Loop BB101_15 Depth 2
                                        ;     Child Loop BB101_40 Depth 2
	;; [unrolled: 1-line block ×5, first 2 shown]
                                        ;       Child Loop BB101_164 Depth 3
                                        ;     Child Loop BB101_170 Depth 2
                                        ;       Child Loop BB101_172 Depth 3
                                        ;     Child Loop BB101_178 Depth 2
                                        ;       Child Loop BB101_180 Depth 3
	s_lshl_b32 s4, s7, 2
	s_ashr_i32 s5, s4, 31
	s_lshl_b64 s[4:5], s[4:5], 2
	s_add_u32 s12, s6, s4
	s_addc_u32 s13, s20, s5
	global_load_dwordx2 v[4:5], v2, s[12:13] offset:4
	s_waitcnt vmcnt(0)
	v_readfirstlane_b32 s66, v4
	v_readfirstlane_b32 s64, v5
	s_cmp_le_i32 s64, s66
	s_cbranch_scc1 .LBB101_10
; %bb.12:                               ;   in Loop: Header=BB101_11 Depth=1
	global_load_dword v3, v2, s[12:13] offset:12
	s_waitcnt vmcnt(0)
	v_cmp_le_i32_e32 vcc, s8, v3
	s_cbranch_vccnz .LBB101_10
; %bb.13:                               ;   in Loop: Header=BB101_11 Depth=1
	s_sub_i32 s62, s64, s66
	s_ashr_i32 s67, s66, 31
	v_cmp_ge_i32_e32 vcc, s62, v0
	v_pk_mov_b32 v[4:5], 0, 0
	s_and_saveexec_b64 s[4:5], vcc
	s_cbranch_execz .LBB101_17
; %bb.14:                               ;   in Loop: Header=BB101_11 Depth=1
	s_lshl_b64 s[10:11], s[66:67], 3
	v_mov_b32_e32 v3, s11
	v_add_co_u32_e32 v6, vcc, s10, v17
	v_addc_co_u32_e32 v7, vcc, v18, v3, vcc
	s_mov_b64 s[14:15], 0
	v_pk_mov_b32 v[4:5], 0, 0
	v_mov_b32_e32 v3, v0
.LBB101_15:                             ;   Parent Loop BB101_11 Depth=1
                                        ; =>  This Inner Loop Header: Depth=2
	global_load_dwordx2 v[8:9], v[6:7], off
	v_add_co_u32_e32 v6, vcc, 0x800, v6
	v_add_u32_e32 v3, 0x100, v3
	v_addc_co_u32_e32 v7, vcc, 0, v7, vcc
	v_cmp_lt_i32_e32 vcc, s62, v3
	s_or_b64 s[14:15], vcc, s[14:15]
	s_waitcnt vmcnt(0)
	v_and_b32_e32 v10, 0x7fffffff, v9
	v_cmp_lt_f64_e64 vcc, v[4:5], |v[8:9]|
	v_cndmask_b32_e32 v5, v5, v10, vcc
	v_cndmask_b32_e32 v4, v4, v8, vcc
	s_andn2_b64 exec, exec, s[14:15]
	s_cbranch_execnz .LBB101_15
; %bb.16:                               ;   in Loop: Header=BB101_11 Depth=1
	s_or_b64 exec, exec, s[14:15]
.LBB101_17:                             ;   in Loop: Header=BB101_11 Depth=1
	s_or_b64 exec, exec, s[4:5]
	s_cmp_lt_i32 s62, 1
	ds_write_b64 v16, v[4:5]
	s_waitcnt lgkmcnt(0)
	s_barrier
	s_cbranch_scc1 .LBB101_38
; %bb.18:                               ;   in Loop: Header=BB101_11 Depth=1
	s_and_saveexec_b64 s[4:5], s[0:1]
	s_cbranch_execz .LBB101_22
; %bb.19:                               ;   in Loop: Header=BB101_11 Depth=1
	ds_read_b64 v[6:7], v16 offset:1024
	s_waitcnt lgkmcnt(0)
	v_cmp_lt_f64_e32 vcc, v[4:5], v[6:7]
	s_and_saveexec_b64 s[14:15], vcc
	s_cbranch_execz .LBB101_21
; %bb.20:                               ;   in Loop: Header=BB101_11 Depth=1
	v_pk_mov_b32 v[4:5], v[6:7], v[6:7] op_sel:[0,1]
	ds_write_b64 v16, v[6:7]
.LBB101_21:                             ;   in Loop: Header=BB101_11 Depth=1
	s_or_b64 exec, exec, s[14:15]
.LBB101_22:                             ;   in Loop: Header=BB101_11 Depth=1
	s_or_b64 exec, exec, s[4:5]
	s_waitcnt lgkmcnt(0)
	s_barrier
	s_and_saveexec_b64 s[4:5], s[2:3]
	s_cbranch_execz .LBB101_37
; %bb.23:                               ;   in Loop: Header=BB101_11 Depth=1
	ds_read_b64 v[6:7], v16 offset:512
	s_waitcnt lgkmcnt(0)
	v_cmp_lt_f64_e32 vcc, v[4:5], v[6:7]
	s_and_saveexec_b64 s[14:15], vcc
	s_cbranch_execz .LBB101_25
; %bb.24:                               ;   in Loop: Header=BB101_11 Depth=1
	v_pk_mov_b32 v[4:5], v[6:7], v[6:7] op_sel:[0,1]
	ds_write_b64 v16, v[6:7]
.LBB101_25:                             ;   in Loop: Header=BB101_11 Depth=1
	s_or_b64 exec, exec, s[14:15]
	ds_read_b64 v[6:7], v16 offset:256
	s_waitcnt lgkmcnt(0)
	v_cmp_lt_f64_e32 vcc, v[4:5], v[6:7]
	s_and_saveexec_b64 s[14:15], vcc
	s_cbranch_execz .LBB101_27
; %bb.26:                               ;   in Loop: Header=BB101_11 Depth=1
	v_pk_mov_b32 v[4:5], v[6:7], v[6:7] op_sel:[0,1]
	ds_write_b64 v16, v[6:7]
.LBB101_27:                             ;   in Loop: Header=BB101_11 Depth=1
	s_or_b64 exec, exec, s[14:15]
	;; [unrolled: 10-line block ×6, first 2 shown]
	ds_read_b64 v[6:7], v16 offset:8
	s_waitcnt lgkmcnt(0)
	v_cmp_lt_f64_e32 vcc, v[4:5], v[6:7]
	s_and_b64 exec, exec, vcc
	s_cbranch_execz .LBB101_37
; %bb.36:                               ;   in Loop: Header=BB101_11 Depth=1
	ds_write_b64 v16, v[6:7]
.LBB101_37:                             ;   in Loop: Header=BB101_11 Depth=1
	s_or_b64 exec, exec, s[4:5]
.LBB101_38:                             ;   in Loop: Header=BB101_11 Depth=1
	v_cmp_gt_i32_e32 vcc, s62, v0
	v_pk_mov_b32 v[4:5], 0, 0
	s_waitcnt lgkmcnt(0)
	s_barrier
	s_and_saveexec_b64 s[4:5], vcc
	s_cbranch_execz .LBB101_42
; %bb.39:                               ;   in Loop: Header=BB101_11 Depth=1
	s_lshl_b64 s[10:11], s[66:67], 3
	v_mov_b32_e32 v3, s11
	v_add_co_u32_e32 v6, vcc, s10, v19
	v_addc_co_u32_e32 v7, vcc, v20, v3, vcc
	s_mov_b64 s[14:15], 0
	v_pk_mov_b32 v[4:5], 0, 0
	v_mov_b32_e32 v3, v0
.LBB101_40:                             ;   Parent Loop BB101_11 Depth=1
                                        ; =>  This Inner Loop Header: Depth=2
	global_load_dwordx2 v[8:9], v[6:7], off
	v_add_co_u32_e32 v6, vcc, 0x800, v6
	v_add_u32_e32 v3, 0x100, v3
	v_addc_co_u32_e32 v7, vcc, 0, v7, vcc
	v_cmp_le_i32_e32 vcc, s62, v3
	s_or_b64 s[14:15], vcc, s[14:15]
	s_waitcnt vmcnt(0)
	v_and_b32_e32 v10, 0x7fffffff, v9
	v_cmp_lt_f64_e64 vcc, v[4:5], |v[8:9]|
	v_cndmask_b32_e32 v5, v5, v10, vcc
	v_cndmask_b32_e32 v4, v4, v8, vcc
	s_andn2_b64 exec, exec, s[14:15]
	s_cbranch_execnz .LBB101_40
; %bb.41:                               ;   in Loop: Header=BB101_11 Depth=1
	s_or_b64 exec, exec, s[14:15]
.LBB101_42:                             ;   in Loop: Header=BB101_11 Depth=1
	s_or_b64 exec, exec, s[4:5]
	s_cmp_lt_i32 s62, 2
	ds_write_b64 v16, v[4:5] offset:8
	s_waitcnt lgkmcnt(0)
	s_barrier
	s_cbranch_scc1 .LBB101_63
; %bb.43:                               ;   in Loop: Header=BB101_11 Depth=1
	s_and_saveexec_b64 s[4:5], s[0:1]
	s_cbranch_execz .LBB101_47
; %bb.44:                               ;   in Loop: Header=BB101_11 Depth=1
	ds_read_b64 v[6:7], v16 offset:1032
	s_waitcnt lgkmcnt(0)
	v_cmp_lt_f64_e32 vcc, v[4:5], v[6:7]
	s_and_saveexec_b64 s[14:15], vcc
	s_cbranch_execz .LBB101_46
; %bb.45:                               ;   in Loop: Header=BB101_11 Depth=1
	v_pk_mov_b32 v[4:5], v[6:7], v[6:7] op_sel:[0,1]
	ds_write_b64 v16, v[6:7] offset:8
.LBB101_46:                             ;   in Loop: Header=BB101_11 Depth=1
	s_or_b64 exec, exec, s[14:15]
.LBB101_47:                             ;   in Loop: Header=BB101_11 Depth=1
	s_or_b64 exec, exec, s[4:5]
	s_waitcnt lgkmcnt(0)
	s_barrier
	s_and_saveexec_b64 s[4:5], s[2:3]
	s_cbranch_execz .LBB101_62
; %bb.48:                               ;   in Loop: Header=BB101_11 Depth=1
	ds_read_b64 v[6:7], v16 offset:520
	s_waitcnt lgkmcnt(0)
	v_cmp_lt_f64_e32 vcc, v[4:5], v[6:7]
	s_and_saveexec_b64 s[14:15], vcc
	s_cbranch_execz .LBB101_50
; %bb.49:                               ;   in Loop: Header=BB101_11 Depth=1
	v_pk_mov_b32 v[4:5], v[6:7], v[6:7] op_sel:[0,1]
	ds_write_b64 v16, v[6:7] offset:8
.LBB101_50:                             ;   in Loop: Header=BB101_11 Depth=1
	s_or_b64 exec, exec, s[14:15]
	ds_read_b64 v[6:7], v16 offset:264
	s_waitcnt lgkmcnt(0)
	v_cmp_lt_f64_e32 vcc, v[4:5], v[6:7]
	s_and_saveexec_b64 s[14:15], vcc
	s_cbranch_execz .LBB101_52
; %bb.51:                               ;   in Loop: Header=BB101_11 Depth=1
	v_pk_mov_b32 v[4:5], v[6:7], v[6:7] op_sel:[0,1]
	ds_write_b64 v16, v[6:7] offset:8
.LBB101_52:                             ;   in Loop: Header=BB101_11 Depth=1
	s_or_b64 exec, exec, s[14:15]
	;; [unrolled: 10-line block ×6, first 2 shown]
	ds_read_b64 v[6:7], v16 offset:16
	s_waitcnt lgkmcnt(0)
	v_cmp_lt_f64_e32 vcc, v[4:5], v[6:7]
	s_and_b64 exec, exec, vcc
	s_cbranch_execz .LBB101_62
; %bb.61:                               ;   in Loop: Header=BB101_11 Depth=1
	ds_write_b64 v16, v[6:7] offset:8
.LBB101_62:                             ;   in Loop: Header=BB101_11 Depth=1
	s_or_b64 exec, exec, s[4:5]
.LBB101_63:                             ;   in Loop: Header=BB101_11 Depth=1
	s_lshl_b64 s[68:69], s[66:67], 3
	s_add_u32 s10, s46, s68
	s_addc_u32 s11, s48, s69
	s_add_u32 s14, s22, s68
	s_addc_u32 s15, s33, s69
	s_waitcnt lgkmcnt(0)
	s_barrier
	s_and_saveexec_b64 s[70:71], s[16:17]
	s_cbranch_execz .LBB101_78
; %bb.64:                               ;   in Loop: Header=BB101_11 Depth=1
	s_ashr_i32 s65, s64, 31
	s_lshl_b64 s[4:5], s[64:65], 3
	s_add_u32 s4, s22, s4
	s_addc_u32 s5, s33, s5
	global_load_dwordx2 v[4:5], v2, s[14:15]
	global_load_dwordx2 v[6:7], v2, s[4:5]
	s_ashr_i32 s63, s62, 31
	s_lshl_b64 s[4:5], s[62:63], 3
	s_add_u32 s21, s14, s4
	s_addc_u32 s30, s15, s5
	s_waitcnt vmcnt(0)
	v_cmp_ge_f64_e64 s[4:5], |v[4:5]|, |v[6:7]|
	s_and_b64 s[28:29], s[4:5], exec
	s_cselect_b32 s29, s15, s30
	s_cselect_b32 s28, s14, s21
	global_load_dwordx2 v[8:9], v2, s[28:29]
	v_cndmask_b32_e64 v3, 0, 1, s[4:5]
	s_cmp_lt_i32 s62, 1
	ds_write_b32 v2, v3 offset:2064
	s_waitcnt vmcnt(0)
	v_and_b32_e32 v9, 0x7fffffff, v9
	s_cbranch_scc1 .LBB101_71
; %bb.65:                               ;   in Loop: Header=BB101_11 Depth=1
	s_not_b32 s21, s66
	s_add_i32 s21, s21, s64
	s_mov_b32 s28, 0
	v_pk_mov_b32 v[10:11], v[8:9], v[8:9] op_sel:[0,1]
	s_branch .LBB101_67
.LBB101_66:                             ;   in Loop: Header=BB101_67 Depth=2
	s_add_i32 s28, s28, 1
	s_and_b64 s[38:39], s[4:5], exec
	s_cselect_b32 s38, s28, s21
	s_ashr_i32 s39, s38, 31
	s_lshl_b64 s[38:39], s[38:39], 3
	s_add_u32 s38, s14, s38
	s_addc_u32 s39, s15, s39
	global_load_dwordx2 v[14:15], v2, s[38:39]
	v_add_f64 v[12:13], v[10:11], |v[12:13]|
	v_div_scale_f64 v[28:29], s[38:39], v[12:13], v[12:13], v[10:11]
	v_rcp_f64_e32 v[30:31], v[28:29]
	v_div_scale_f64 v[32:33], vcc, v[10:11], v[12:13], v[10:11]
	s_add_i32 s21, s21, -1
	v_fma_f64 v[34:35], -v[28:29], v[30:31], 1.0
	v_fmac_f64_e32 v[30:31], v[30:31], v[34:35]
	v_fma_f64 v[34:35], -v[28:29], v[30:31], 1.0
	v_fmac_f64_e32 v[30:31], v[30:31], v[34:35]
	v_mul_f64 v[34:35], v[32:33], v[30:31]
	v_fma_f64 v[28:29], -v[28:29], v[34:35], v[32:33]
	v_div_fmas_f64 v[28:29], v[28:29], v[30:31], v[34:35]
	v_div_fixup_f64 v[10:11], v[28:29], v[12:13], v[10:11]
	s_cmp_eq_u32 s21, -1
	s_mov_b64 s[38:39], 0
	s_cselect_b64 s[72:73], -1, 0
	s_waitcnt vmcnt(0)
	v_mul_f64 v[10:11], v[10:11], |v[14:15]|
	v_cmp_lt_f64_e32 vcc, v[10:11], v[8:9]
	v_cndmask_b32_e32 v9, v9, v11, vcc
	v_cndmask_b32_e32 v8, v8, v10, vcc
	s_andn2_b64 vcc, exec, s[72:73]
	s_cbranch_vccz .LBB101_69
.LBB101_67:                             ;   Parent Loop BB101_11 Depth=1
                                        ; =>  This Inner Loop Header: Depth=2
	s_and_b64 s[30:31], s[4:5], exec
	s_cselect_b32 s30, s28, s21
	s_ashr_i32 s31, s30, 31
	s_lshl_b64 s[30:31], s[30:31], 3
	s_add_u32 s30, s10, s30
	s_addc_u32 s31, s11, s31
	global_load_dwordx2 v[12:13], v2, s[30:31]
	v_mul_f64 v[14:15], v[10:11], s[24:25]
	s_waitcnt vmcnt(0)
	v_cmp_nle_f64_e64 s[38:39], |v[12:13]|, v[14:15]
	s_and_b64 vcc, exec, s[38:39]
	s_cbranch_vccnz .LBB101_66
; %bb.68:                               ;   in Loop: Header=BB101_11 Depth=1
	s_mov_b64 s[38:39], -1
                                        ; implicit-def: $vgpr10_vgpr11
                                        ; implicit-def: $sgpr21
                                        ; implicit-def: $sgpr28
                                        ; implicit-def: $vgpr8_vgpr9
.LBB101_69:                             ;   in Loop: Header=BB101_11 Depth=1
	s_and_b64 vcc, exec, s[38:39]
	s_cbranch_vccz .LBB101_71
; %bb.70:                               ;   in Loop: Header=BB101_11 Depth=1
	v_mov_b32_e32 v8, 0
	v_mov_b32_e32 v3, v2
	;; [unrolled: 1-line block ×3, first 2 shown]
	global_store_dwordx2 v2, v[2:3], s[30:31]
.LBB101_71:                             ;   in Loop: Header=BB101_11 Depth=1
	v_cmp_nle_f64_e32 vcc, 0, v[8:9]
	v_and_b32_e32 v3, 0x7fffffff, v5
	v_and_b32_e32 v5, 0x7fffffff, v7
	ds_write_b64 v2, v[8:9] offset:2056
	ds_write_b8 v2, v2 offset:2068
	s_cbranch_vccnz .LBB101_78
; %bb.72:                               ;   in Loop: Header=BB101_11 Depth=1
	ds_read_b128 v[10:13], v2
	s_mov_b64 s[30:31], -1
	s_waitcnt lgkmcnt(0)
	v_cmp_lt_f64_e32 vcc, v[10:11], v[12:13]
	v_cndmask_b32_e32 v11, v11, v13, vcc
	v_cndmask_b32_e32 v10, v10, v12, vcc
	v_div_scale_f64 v[12:13], s[28:29], v[10:11], v[10:11], v[8:9]
	v_rcp_f64_e32 v[14:15], v[12:13]
	v_div_scale_f64 v[28:29], vcc, v[8:9], v[10:11], v[8:9]
	v_fma_f64 v[30:31], -v[12:13], v[14:15], 1.0
	v_fmac_f64_e32 v[14:15], v[14:15], v[30:31]
	v_fma_f64 v[30:31], -v[12:13], v[14:15], 1.0
	v_fmac_f64_e32 v[14:15], v[14:15], v[30:31]
	v_mul_f64 v[30:31], v[28:29], v[14:15]
	v_fma_f64 v[12:13], -v[12:13], v[30:31], v[28:29]
	v_div_fmas_f64 v[12:13], v[12:13], v[14:15], v[30:31]
	v_div_fixup_f64 v[10:11], v[12:13], v[10:11], v[8:9]
	v_cmp_ge_f64_e32 vcc, s[26:27], v[10:11]
	s_cbranch_vccnz .LBB101_75
; %bb.73:                               ;   in Loop: Header=BB101_11 Depth=1
	v_cndmask_b32_e64 v5, v5, v3, s[4:5]
	v_cndmask_b32_e64 v4, v6, v4, s[4:5]
	v_cmp_lt_f64_e32 vcc, 0, v[4:5]
	s_mov_b64 s[30:31], 0
	s_cbranch_vccz .LBB101_75
; %bb.74:                               ;   in Loop: Header=BB101_11 Depth=1
	v_mul_f64 v[6:7], v[8:9], v[8:9]
	v_div_scale_f64 v[8:9], s[4:5], v[4:5], v[4:5], v[6:7]
	v_rcp_f64_e32 v[10:11], v[8:9]
	v_div_scale_f64 v[12:13], vcc, v[6:7], v[4:5], v[6:7]
	v_fma_f64 v[14:15], -v[8:9], v[10:11], 1.0
	v_fmac_f64_e32 v[10:11], v[10:11], v[14:15]
	v_fma_f64 v[14:15], -v[8:9], v[10:11], 1.0
	v_fmac_f64_e32 v[10:11], v[10:11], v[14:15]
	v_mul_f64 v[14:15], v[12:13], v[10:11]
	v_fma_f64 v[8:9], -v[8:9], v[14:15], v[12:13]
	v_div_fmas_f64 v[8:9], v[8:9], v[10:11], v[14:15]
	v_div_fixup_f64 v[6:7], v[8:9], v[4:5], v[6:7]
	v_div_scale_f64 v[8:9], s[4:5], v[4:5], v[4:5], v[6:7]
	v_rcp_f64_e32 v[10:11], v[8:9]
	v_readlane_b32 s4, v36, 10
	v_readlane_b32 s5, v36, 11
	v_fma_f64 v[12:13], -v[8:9], v[10:11], 1.0
	v_fmac_f64_e32 v[10:11], v[10:11], v[12:13]
	v_fma_f64 v[12:13], -v[8:9], v[10:11], 1.0
	v_fmac_f64_e32 v[10:11], v[10:11], v[12:13]
	v_div_scale_f64 v[12:13], vcc, v[6:7], v[4:5], v[6:7]
	v_mul_f64 v[14:15], v[12:13], v[10:11]
	v_fma_f64 v[8:9], -v[8:9], v[14:15], v[12:13]
	s_nop 1
	v_div_fmas_f64 v[8:9], v[8:9], v[10:11], v[14:15]
	v_div_fixup_f64 v[4:5], v[8:9], v[4:5], v[6:7]
	v_cmp_gt_f64_e64 s[30:31], s[4:5], v[4:5]
.LBB101_75:                             ;   in Loop: Header=BB101_11 Depth=1
	s_and_b64 vcc, exec, s[30:31]
	s_cbranch_vccz .LBB101_77
; %bb.76:                               ;   in Loop: Header=BB101_11 Depth=1
	v_mov_b32_e32 v3, v2
	ds_write_b64 v2, v[2:3] offset:2056
.LBB101_77:                             ;   in Loop: Header=BB101_11 Depth=1
	ds_write_b8 v2, v26 offset:2068
.LBB101_78:                             ;   in Loop: Header=BB101_11 Depth=1
	s_or_b64 exec, exec, s[70:71]
	s_waitcnt lgkmcnt(0)
	s_barrier
	ds_read_u8 v3, v2 offset:2068
	s_mov_b64 s[4:5], -1
	s_waitcnt lgkmcnt(0)
	v_cmp_eq_u32_e32 vcc, 0, v3
	s_cbranch_vccz .LBB101_82
; %bb.79:                               ;   in Loop: Header=BB101_11 Depth=1
	s_and_saveexec_b64 s[4:5], s[16:17]
	s_cbranch_execz .LBB101_81
; %bb.80:                               ;   in Loop: Header=BB101_11 Depth=1
	global_store_dword v2, v2, s[12:13]
.LBB101_81:                             ;   in Loop: Header=BB101_11 Depth=1
	s_or_b64 exec, exec, s[4:5]
	s_mov_b64 s[4:5], 0
.LBB101_82:                             ;   in Loop: Header=BB101_11 Depth=1
	s_andn2_b64 vcc, exec, s[4:5]
	s_cbranch_vccnz .LBB101_10
; %bb.83:                               ;   in Loop: Header=BB101_11 Depth=1
	ds_read_b32 v3, v2 offset:2064
	s_waitcnt lgkmcnt(0)
	v_readfirstlane_b32 s70, v3
	s_and_saveexec_b64 s[4:5], s[16:17]
	s_cbranch_execz .LBB101_85
; %bb.84:                               ;   in Loop: Header=BB101_11 Depth=1
	s_cmp_eq_u32 s70, 0
	s_cselect_b32 s21, -1, 1
	v_mov_b32_e32 v3, s21
	global_store_dword v2, v3, s[12:13]
.LBB101_85:                             ;   in Loop: Header=BB101_11 Depth=1
	s_or_b64 exec, exec, s[4:5]
	s_add_i32 s80, s62, 1
	s_mul_i32 s72, s66, s79
	s_sub_i32 s78, 1, s70
	s_ashr_i32 s73, s72, 31
	s_sub_i32 s74, s70, s78
	s_lshl_b32 s12, s80, 1
	s_and_b64 s[4:5], s[36:37], exec
	s_cselect_b32 s63, s12, 0
	s_and_saveexec_b64 s[4:5], s[16:17]
	s_cbranch_execz .LBB101_158
; %bb.86:                               ;   in Loop: Header=BB101_11 Depth=1
	s_cmp_lg_u32 s70, 0
	s_cselect_b64 s[76:77], -1, 0
	s_and_b64 s[12:13], s[76:77], exec
	s_cselect_b32 s86, 0, s62
	s_ashr_i32 s87, s86, 31
	s_lshl_b64 s[12:13], s[86:87], 3
	s_add_u32 s14, s14, s12
	s_addc_u32 s15, s15, s13
	global_load_dwordx2 v[4:5], v2, s[14:15]
	v_pk_mov_b32 v[6:7], 0, 0
	s_waitcnt vmcnt(0)
	v_cmp_eq_f64_e32 vcc, 0, v[4:5]
	s_cbranch_vccnz .LBB101_88
; %bb.87:                               ;   in Loop: Header=BB101_11 Depth=1
	ds_read_b64 v[6:7], v2 offset:2056
	v_cmp_lt_f64_e32 vcc, 0, v[4:5]
	v_cndmask_b32_e64 v3, 0, 1, vcc
	v_cmp_gt_f64_e32 vcc, 0, v[4:5]
	v_subbrev_co_u32_e32 v3, vcc, 0, v3, vcc
	s_waitcnt lgkmcnt(0)
	v_div_scale_f64 v[8:9], s[12:13], v[4:5], v[4:5], v[6:7]
	v_rcp_f64_e32 v[10:11], v[8:9]
	v_add_f64 v[12:13], |v[4:5]|, -v[6:7]
	v_cvt_f64_i32_e32 v[14:15], v3
	v_fma_f64 v[28:29], -v[8:9], v[10:11], 1.0
	v_fmac_f64_e32 v[10:11], v[10:11], v[28:29]
	v_fma_f64 v[28:29], -v[8:9], v[10:11], 1.0
	v_fmac_f64_e32 v[10:11], v[10:11], v[28:29]
	v_div_scale_f64 v[28:29], vcc, v[6:7], v[4:5], v[6:7]
	v_mul_f64 v[30:31], v[28:29], v[10:11]
	v_fma_f64 v[8:9], -v[8:9], v[30:31], v[28:29]
	s_nop 1
	v_div_fmas_f64 v[8:9], v[8:9], v[10:11], v[30:31]
	v_div_fixup_f64 v[6:7], v[8:9], v[4:5], v[6:7]
	v_add_f64 v[6:7], v[6:7], v[14:15]
	v_mul_f64 v[6:7], v[12:13], v[6:7]
.LBB101_88:                             ;   in Loop: Header=BB101_11 Depth=1
	s_cmp_gt_i32 s62, 0
	s_cbranch_scc1 .LBB101_90
; %bb.89:                               ;   in Loop: Header=BB101_11 Depth=1
	s_add_i32 s65, s62, -1
	s_cbranch_execz .LBB101_91
	s_branch .LBB101_157
.LBB101_90:                             ;   in Loop: Header=BB101_11 Depth=1
                                        ; implicit-def: $sgpr65
.LBB101_91:                             ;   in Loop: Header=BB101_11 Depth=1
	s_ashr_i32 s71, s70, 31
	s_sub_u32 s29, 0, s70
	v_writelane_b32 v36, s82, 22
	s_subb_u32 s30, 0, s71
	v_writelane_b32 v36, s83, 23
	s_add_u32 s82, s86, s70
	s_addc_u32 s83, s87, s71
	s_lshl_b64 s[84:85], s[82:83], 3
	s_add_u32 s88, s10, s84
	s_addc_u32 s89, s11, s85
	global_load_dwordx2 v[8:9], v2, s[88:89] offset:-8
	v_writelane_b32 v36, s74, 24
	v_writelane_b32 v36, s75, 25
	;; [unrolled: 1-line block ×4, first 2 shown]
	v_pk_mov_b32 v[10:11], 0, 0
	v_writelane_b32 v36, s92, 28
	v_writelane_b32 v36, s93, 29
	s_waitcnt vmcnt(0)
	v_cmp_eq_f64_e32 vcc, 0, v[8:9]
	s_cbranch_vccnz .LBB101_95
; %bb.92:                               ;   in Loop: Header=BB101_11 Depth=1
	v_cmp_eq_f64_e32 vcc, 0, v[6:7]
	v_pk_mov_b32 v[12:13], 0, 0
	s_cbranch_vccnz .LBB101_96
; %bb.93:                               ;   in Loop: Header=BB101_11 Depth=1
	v_cmp_gt_f64_e64 s[12:13], |v[8:9]|, |v[6:7]|
	s_and_b64 vcc, exec, s[12:13]
	s_cbranch_vccnz .LBB101_97
; %bb.94:                               ;   in Loop: Header=BB101_11 Depth=1
	v_div_scale_f64 v[10:11], s[12:13], v[6:7], v[6:7], -v[8:9]
	v_rcp_f64_e32 v[12:13], v[10:11]
	v_div_scale_f64 v[14:15], vcc, -v[8:9], v[6:7], -v[8:9]
	v_fma_f64 v[28:29], -v[10:11], v[12:13], 1.0
	v_fmac_f64_e32 v[12:13], v[12:13], v[28:29]
	v_fma_f64 v[28:29], -v[10:11], v[12:13], 1.0
	v_fmac_f64_e32 v[12:13], v[12:13], v[28:29]
	v_mul_f64 v[28:29], v[14:15], v[12:13]
	v_fma_f64 v[10:11], -v[10:11], v[28:29], v[14:15]
	v_div_fmas_f64 v[10:11], v[10:11], v[12:13], v[28:29]
	v_div_fixup_f64 v[10:11], v[10:11], v[6:7], -v[8:9]
	v_fma_f64 v[12:13], v[10:11], v[10:11], 1.0
	v_cmp_gt_f64_e32 vcc, s[40:41], v[12:13]
	v_cndmask_b32_e64 v3, 0, 1, vcc
	v_lshlrev_b32_e32 v3, 8, v3
	v_ldexp_f64 v[12:13], v[12:13], v3
	v_rsq_f64_e32 v[14:15], v[12:13]
	s_and_b64 s[12:13], vcc, exec
	s_cselect_b32 s12, 0xffffff80, 0
	v_cmp_class_f64_e32 vcc, v[12:13], v25
	v_mul_f64 v[28:29], v[12:13], v[14:15]
	v_mul_f64 v[14:15], v[14:15], 0.5
	v_fma_f64 v[30:31], -v[14:15], v[28:29], 0.5
	v_fmac_f64_e32 v[28:29], v[28:29], v[30:31]
	v_fmac_f64_e32 v[14:15], v[14:15], v[30:31]
	v_fma_f64 v[30:31], -v[28:29], v[28:29], v[12:13]
	v_fmac_f64_e32 v[28:29], v[30:31], v[14:15]
	v_fma_f64 v[30:31], -v[28:29], v[28:29], v[12:13]
	v_fmac_f64_e32 v[28:29], v[30:31], v[14:15]
	v_ldexp_f64 v[14:15], v[28:29], s12
	v_cndmask_b32_e32 v13, v15, v13, vcc
	v_cndmask_b32_e32 v12, v14, v12, vcc
	v_div_scale_f64 v[14:15], s[12:13], v[12:13], v[12:13], 1.0
	v_rcp_f64_e32 v[28:29], v[14:15]
	s_mov_b64 s[12:13], 0
	v_fma_f64 v[30:31], -v[14:15], v[28:29], 1.0
	v_fmac_f64_e32 v[28:29], v[28:29], v[30:31]
	v_fma_f64 v[30:31], -v[14:15], v[28:29], 1.0
	v_fmac_f64_e32 v[28:29], v[28:29], v[30:31]
	v_div_scale_f64 v[30:31], vcc, 1.0, v[12:13], 1.0
	v_mul_f64 v[32:33], v[30:31], v[28:29]
	v_fma_f64 v[14:15], -v[14:15], v[32:33], v[30:31]
	s_nop 1
	v_div_fmas_f64 v[14:15], v[14:15], v[28:29], v[32:33]
	v_div_fixup_f64 v[12:13], v[14:15], v[12:13], 1.0
	v_mul_f64 v[10:11], v[10:11], v[12:13]
	s_branch .LBB101_98
.LBB101_95:                             ;   in Loop: Header=BB101_11 Depth=1
	v_mov_b32_e32 v12, 0
	v_mov_b32_e32 v13, 0x3ff00000
	s_branch .LBB101_100
.LBB101_96:                             ;   in Loop: Header=BB101_11 Depth=1
	v_mov_b32_e32 v10, 0
	v_mov_b32_e32 v11, 0x3ff00000
	s_branch .LBB101_100
.LBB101_97:                             ;   in Loop: Header=BB101_11 Depth=1
	s_mov_b64 s[12:13], -1
                                        ; implicit-def: $vgpr10_vgpr11
                                        ; implicit-def: $vgpr12_vgpr13
.LBB101_98:                             ;   in Loop: Header=BB101_11 Depth=1
	s_andn2_b64 vcc, exec, s[12:13]
	s_cbranch_vccnz .LBB101_100
; %bb.99:                               ;   in Loop: Header=BB101_11 Depth=1
	v_div_scale_f64 v[10:11], s[12:13], v[8:9], v[8:9], -v[6:7]
	v_rcp_f64_e32 v[12:13], v[10:11]
	v_div_scale_f64 v[14:15], vcc, -v[6:7], v[8:9], -v[6:7]
	v_fma_f64 v[28:29], -v[10:11], v[12:13], 1.0
	v_fmac_f64_e32 v[12:13], v[12:13], v[28:29]
	v_fma_f64 v[28:29], -v[10:11], v[12:13], 1.0
	v_fmac_f64_e32 v[12:13], v[12:13], v[28:29]
	v_mul_f64 v[28:29], v[14:15], v[12:13]
	v_fma_f64 v[10:11], -v[10:11], v[28:29], v[14:15]
	v_div_fmas_f64 v[10:11], v[10:11], v[12:13], v[28:29]
	v_div_fixup_f64 v[6:7], v[10:11], v[8:9], -v[6:7]
	v_fma_f64 v[10:11], v[6:7], v[6:7], 1.0
	v_cmp_gt_f64_e32 vcc, s[40:41], v[10:11]
	v_cndmask_b32_e64 v3, 0, 1, vcc
	v_lshlrev_b32_e32 v3, 8, v3
	v_ldexp_f64 v[10:11], v[10:11], v3
	v_rsq_f64_e32 v[12:13], v[10:11]
	s_and_b64 s[12:13], vcc, exec
	s_cselect_b32 s12, 0xffffff80, 0
	v_cmp_class_f64_e32 vcc, v[10:11], v25
	v_mul_f64 v[14:15], v[10:11], v[12:13]
	v_mul_f64 v[12:13], v[12:13], 0.5
	v_fma_f64 v[28:29], -v[12:13], v[14:15], 0.5
	v_fmac_f64_e32 v[14:15], v[14:15], v[28:29]
	v_fmac_f64_e32 v[12:13], v[12:13], v[28:29]
	v_fma_f64 v[28:29], -v[14:15], v[14:15], v[10:11]
	v_fmac_f64_e32 v[14:15], v[28:29], v[12:13]
	v_fma_f64 v[28:29], -v[14:15], v[14:15], v[10:11]
	v_fmac_f64_e32 v[14:15], v[28:29], v[12:13]
	v_ldexp_f64 v[12:13], v[14:15], s12
	v_cndmask_b32_e32 v11, v13, v11, vcc
	v_cndmask_b32_e32 v10, v12, v10, vcc
	v_div_scale_f64 v[12:13], s[12:13], v[10:11], v[10:11], 1.0
	v_rcp_f64_e32 v[14:15], v[12:13]
	v_fma_f64 v[28:29], -v[12:13], v[14:15], 1.0
	v_fmac_f64_e32 v[14:15], v[14:15], v[28:29]
	v_fma_f64 v[28:29], -v[12:13], v[14:15], 1.0
	v_fmac_f64_e32 v[14:15], v[14:15], v[28:29]
	v_div_scale_f64 v[28:29], vcc, 1.0, v[10:11], 1.0
	v_mul_f64 v[30:31], v[28:29], v[14:15]
	v_fma_f64 v[12:13], -v[12:13], v[30:31], v[28:29]
	s_nop 1
	v_div_fmas_f64 v[12:13], v[12:13], v[14:15], v[30:31]
	v_div_fixup_f64 v[10:11], v[12:13], v[10:11], 1.0
	v_mul_f64 v[12:13], v[6:7], v[10:11]
.LBB101_100:                            ;   in Loop: Header=BB101_11 Depth=1
	s_lshl_b64 s[90:91], s[72:73], 3
	s_and_b64 s[38:39], s[36:37], s[76:77]
	s_add_u32 s12, s44, s90
	s_addc_u32 s13, s45, s91
	s_add_u32 s21, s12, 32
	s_addc_u32 s28, s13, 0
	s_sub_u32 s92, s70, s29
	s_subb_u32 s93, s71, s30
	v_mul_f64 v[6:7], v[4:5], v[10:11]
	s_lshl_b64 s[12:13], s[92:93], 3
	v_fmac_f64_e32 v[6:7], v[8:9], v[12:13]
	s_add_u32 s30, s14, s12
	global_store_dwordx2 v2, v[6:7], s[88:89] offset:-8
	s_addc_u32 s31, s15, s13
	global_load_dwordx2 v[14:15], v2, s[30:31] offset:-8
	v_cndmask_b32_e64 v3, 0, 1, s[38:39]
	v_writelane_b32 v36, s94, 30
	v_cmp_ne_u32_e64 s[12:13], 1, v3
	s_andn2_b64 vcc, exec, s[38:39]
	v_writelane_b32 v36, s95, 31
	s_waitcnt vmcnt(0)
	v_mul_f64 v[6:7], v[12:13], v[14:15]
	global_store_dwordx2 v2, v[6:7], s[30:31] offset:-8
	s_cbranch_vccnz .LBB101_102
; %bb.101:                              ;   in Loop: Header=BB101_11 Depth=1
	s_add_u32 s38, s21, s84
	s_addc_u32 s39, s28, s85
	s_ashr_i32 s81, s80, 31
	s_lshl_b64 s[42:43], s[80:81], 3
	s_add_u32 s42, s38, s42
	s_addc_u32 s43, s39, s43
	global_store_dwordx2 v2, v[12:13], s[38:39] offset:-8
	global_store_dwordx2 v2, v[10:11], s[42:43] offset:-8
.LBB101_102:                            ;   in Loop: Header=BB101_11 Depth=1
	s_cmp_lg_u32 s70, 1
	s_cselect_b64 s[38:39], -1, 0
	s_cmp_eq_u32 s70, 1
	v_readlane_b32 s56, v36, 2
	s_cselect_b64 s[42:43], -1, 0
	v_readlane_b32 s57, v36, 3
	s_or_b64 s[94:95], s[56:57], s[42:43]
	s_and_b64 vcc, exec, s[94:95]
	s_cbranch_vccnz .LBB101_104
; %bb.103:                              ;   in Loop: Header=BB101_11 Depth=1
	s_ashr_i32 s29, s63, 31
	s_add_u32 s42, s82, s63
	s_addc_u32 s43, s83, s29
	s_lshl_b64 s[42:43], s[42:43], 3
	s_add_u32 s42, s21, s42
	s_addc_u32 s43, s28, s43
	s_ashr_i32 s81, s80, 31
	s_lshl_b64 s[56:57], s[80:81], 3
	s_add_u32 s56, s42, s56
	s_addc_u32 s57, s43, s57
	global_store_dwordx2 v2, v[12:13], s[42:43] offset:-8
	global_store_dwordx2 v2, v[10:11], s[56:57] offset:-8
.LBB101_104:                            ;   in Loop: Header=BB101_11 Depth=1
	v_mul_f64 v[6:7], v[8:9], v[10:11]
	v_fma_f64 v[6:7], v[4:5], v[12:13], -v[6:7]
	v_mul_f64 v[4:5], v[14:15], -v[10:11]
	v_cmp_eq_f64_e32 vcc, 0, v[4:5]
	v_pk_mov_b32 v[8:9], 0, 0
	s_cbranch_vccnz .LBB101_108
; %bb.105:                              ;   in Loop: Header=BB101_11 Depth=1
	v_cmp_eq_f64_e32 vcc, 0, v[6:7]
	s_cbranch_vccnz .LBB101_109
; %bb.106:                              ;   in Loop: Header=BB101_11 Depth=1
	v_cmp_gt_f64_e64 s[42:43], |v[4:5]|, |v[6:7]|
	s_and_b64 vcc, exec, s[42:43]
	s_cbranch_vccnz .LBB101_110
; %bb.107:                              ;   in Loop: Header=BB101_11 Depth=1
	v_div_scale_f64 v[8:9], s[42:43], v[6:7], v[6:7], -v[4:5]
	v_rcp_f64_e32 v[10:11], v[8:9]
	v_div_scale_f64 v[12:13], vcc, -v[4:5], v[6:7], -v[4:5]
	v_fma_f64 v[14:15], -v[8:9], v[10:11], 1.0
	v_fmac_f64_e32 v[10:11], v[10:11], v[14:15]
	v_fma_f64 v[14:15], -v[8:9], v[10:11], 1.0
	v_fmac_f64_e32 v[10:11], v[10:11], v[14:15]
	v_mul_f64 v[14:15], v[12:13], v[10:11]
	v_fma_f64 v[8:9], -v[8:9], v[14:15], v[12:13]
	v_div_fmas_f64 v[8:9], v[8:9], v[10:11], v[14:15]
	v_div_fixup_f64 v[8:9], v[8:9], v[6:7], -v[4:5]
	v_fma_f64 v[10:11], v[8:9], v[8:9], 1.0
	v_cmp_gt_f64_e32 vcc, s[40:41], v[10:11]
	v_cndmask_b32_e64 v3, 0, 1, vcc
	v_lshlrev_b32_e32 v3, 8, v3
	v_ldexp_f64 v[10:11], v[10:11], v3
	v_rsq_f64_e32 v[12:13], v[10:11]
	s_and_b64 s[42:43], vcc, exec
	s_cselect_b32 s29, 0xffffff80, 0
	v_cmp_class_f64_e32 vcc, v[10:11], v25
	v_mul_f64 v[14:15], v[10:11], v[12:13]
	v_mul_f64 v[12:13], v[12:13], 0.5
	v_fma_f64 v[28:29], -v[12:13], v[14:15], 0.5
	v_fmac_f64_e32 v[14:15], v[14:15], v[28:29]
	v_fmac_f64_e32 v[12:13], v[12:13], v[28:29]
	v_fma_f64 v[28:29], -v[14:15], v[14:15], v[10:11]
	v_fmac_f64_e32 v[14:15], v[28:29], v[12:13]
	v_fma_f64 v[28:29], -v[14:15], v[14:15], v[10:11]
	v_fmac_f64_e32 v[14:15], v[28:29], v[12:13]
	v_ldexp_f64 v[12:13], v[14:15], s29
	v_cndmask_b32_e32 v11, v13, v11, vcc
	v_cndmask_b32_e32 v10, v12, v10, vcc
	v_div_scale_f64 v[12:13], s[42:43], v[10:11], v[10:11], 1.0
	v_rcp_f64_e32 v[14:15], v[12:13]
	v_fma_f64 v[28:29], -v[12:13], v[14:15], 1.0
	v_fmac_f64_e32 v[14:15], v[14:15], v[28:29]
	v_fma_f64 v[28:29], -v[12:13], v[14:15], 1.0
	v_fmac_f64_e32 v[14:15], v[14:15], v[28:29]
	v_div_scale_f64 v[28:29], vcc, 1.0, v[10:11], 1.0
	v_mul_f64 v[30:31], v[28:29], v[14:15]
	v_fma_f64 v[12:13], -v[12:13], v[30:31], v[28:29]
	s_nop 1
	v_div_fmas_f64 v[12:13], v[12:13], v[14:15], v[30:31]
	v_div_fixup_f64 v[10:11], v[12:13], v[10:11], 1.0
	v_mul_f64 v[8:9], v[8:9], v[10:11]
	s_mov_b64 vcc, 0
	s_branch .LBB101_111
.LBB101_108:                            ;   in Loop: Header=BB101_11 Depth=1
	v_mov_b32_e32 v10, 0
	v_mov_b32_e32 v11, 0x3ff00000
	s_branch .LBB101_115
.LBB101_109:                            ;   in Loop: Header=BB101_11 Depth=1
                                        ; implicit-def: $vgpr6_vgpr7
                                        ; implicit-def: $vgpr8_vgpr9
                                        ; implicit-def: $vgpr10_vgpr11
	s_cbranch_execnz .LBB101_114
	s_branch .LBB101_115
.LBB101_110:                            ;   in Loop: Header=BB101_11 Depth=1
	s_mov_b64 vcc, -1
                                        ; implicit-def: $vgpr8_vgpr9
                                        ; implicit-def: $vgpr10_vgpr11
.LBB101_111:                            ;   in Loop: Header=BB101_11 Depth=1
	s_andn2_b64 vcc, exec, vcc
	s_cbranch_vccnz .LBB101_113
; %bb.112:                              ;   in Loop: Header=BB101_11 Depth=1
	v_div_scale_f64 v[8:9], s[42:43], v[4:5], v[4:5], -v[6:7]
	v_rcp_f64_e32 v[10:11], v[8:9]
	v_div_scale_f64 v[12:13], vcc, -v[6:7], v[4:5], -v[6:7]
	v_fma_f64 v[14:15], -v[8:9], v[10:11], 1.0
	v_fmac_f64_e32 v[10:11], v[10:11], v[14:15]
	v_fma_f64 v[14:15], -v[8:9], v[10:11], 1.0
	v_fmac_f64_e32 v[10:11], v[10:11], v[14:15]
	v_mul_f64 v[14:15], v[12:13], v[10:11]
	v_fma_f64 v[8:9], -v[8:9], v[14:15], v[12:13]
	v_div_fmas_f64 v[8:9], v[8:9], v[10:11], v[14:15]
	v_div_fixup_f64 v[10:11], v[8:9], v[4:5], -v[6:7]
	v_fma_f64 v[8:9], v[10:11], v[10:11], 1.0
	v_cmp_gt_f64_e32 vcc, s[40:41], v[8:9]
	v_cndmask_b32_e64 v3, 0, 1, vcc
	v_lshlrev_b32_e32 v3, 8, v3
	v_ldexp_f64 v[8:9], v[8:9], v3
	v_rsq_f64_e32 v[12:13], v[8:9]
	s_and_b64 s[42:43], vcc, exec
	s_cselect_b32 s29, 0xffffff80, 0
	v_cmp_class_f64_e32 vcc, v[8:9], v25
	v_mul_f64 v[14:15], v[8:9], v[12:13]
	v_mul_f64 v[12:13], v[12:13], 0.5
	v_fma_f64 v[28:29], -v[12:13], v[14:15], 0.5
	v_fmac_f64_e32 v[14:15], v[14:15], v[28:29]
	v_fmac_f64_e32 v[12:13], v[12:13], v[28:29]
	v_fma_f64 v[28:29], -v[14:15], v[14:15], v[8:9]
	v_fmac_f64_e32 v[14:15], v[28:29], v[12:13]
	v_fma_f64 v[28:29], -v[14:15], v[14:15], v[8:9]
	v_fmac_f64_e32 v[14:15], v[28:29], v[12:13]
	v_ldexp_f64 v[12:13], v[14:15], s29
	v_cndmask_b32_e32 v9, v13, v9, vcc
	v_cndmask_b32_e32 v8, v12, v8, vcc
	v_div_scale_f64 v[12:13], s[42:43], v[8:9], v[8:9], 1.0
	v_rcp_f64_e32 v[14:15], v[12:13]
	v_fma_f64 v[28:29], -v[12:13], v[14:15], 1.0
	v_fmac_f64_e32 v[14:15], v[14:15], v[28:29]
	v_fma_f64 v[28:29], -v[12:13], v[14:15], 1.0
	v_fmac_f64_e32 v[14:15], v[14:15], v[28:29]
	v_div_scale_f64 v[28:29], vcc, 1.0, v[8:9], 1.0
	v_mul_f64 v[30:31], v[28:29], v[14:15]
	v_fma_f64 v[12:13], -v[12:13], v[30:31], v[28:29]
	s_nop 1
	v_div_fmas_f64 v[12:13], v[12:13], v[14:15], v[30:31]
	v_div_fixup_f64 v[8:9], v[12:13], v[8:9], 1.0
	v_mul_f64 v[10:11], v[10:11], v[8:9]
.LBB101_113:                            ;   in Loop: Header=BB101_11 Depth=1
	v_mul_f64 v[12:13], v[4:5], v[8:9]
	v_fma_f64 v[6:7], v[6:7], v[10:11], -v[12:13]
	s_branch .LBB101_115
.LBB101_114:                            ;   in Loop: Header=BB101_11 Depth=1
	v_mov_b32_e32 v8, 0
	v_xor_b32_e32 v7, 0x80000000, v5
	v_mov_b32_e32 v6, v4
	v_pk_mov_b32 v[10:11], 0, 0
	v_mov_b32_e32 v9, 0x3ff00000
.LBB101_115:                            ;   in Loop: Header=BB101_11 Depth=1
	global_store_dwordx2 v2, v[6:7], s[14:15]
	global_load_dwordx2 v[12:13], v2, s[30:31] offset:-8
	s_nop 0
	global_load_dwordx2 v[6:7], v2, s[88:89] offset:-8
	s_cmp_eq_u32 s80, 2
	s_waitcnt vmcnt(1)
	v_mul_f64 v[14:15], v[10:11], v[12:13]
	s_waitcnt vmcnt(0)
	v_fmac_f64_e32 v[14:15], v[8:9], v[6:7]
	global_store_dwordx2 v2, v[14:15], s[30:31] offset:-8
	s_cbranch_scc1 .LBB101_117
; %bb.116:                              ;   in Loop: Header=BB101_11 Depth=1
	s_ashr_i32 s75, s74, 31
	s_lshl_b64 s[14:15], s[74:75], 3
	s_add_u32 s14, s88, s14
	s_addc_u32 s15, s89, s15
	global_load_dwordx2 v[14:15], v2, s[14:15] offset:-8
	s_waitcnt vmcnt(0)
	v_mul_f64 v[4:5], v[14:15], -v[8:9]
	v_mul_f64 v[14:15], v[10:11], v[14:15]
	global_store_dwordx2 v2, v[14:15], s[14:15] offset:-8
.LBB101_117:                            ;   in Loop: Header=BB101_11 Depth=1
	s_and_b64 s[30:31], s[36:37], s[38:39]
	v_cndmask_b32_e64 v3, 0, 1, s[30:31]
	v_cmp_ne_u32_e64 s[14:15], 1, v3
	s_andn2_b64 vcc, exec, s[30:31]
	s_cbranch_vccnz .LBB101_119
; %bb.118:                              ;   in Loop: Header=BB101_11 Depth=1
	s_add_u32 s30, s21, s84
	s_addc_u32 s31, s28, s85
	s_ashr_i32 s81, s80, 31
	s_lshl_b64 s[38:39], s[80:81], 3
	s_add_u32 s38, s30, s38
	s_addc_u32 s39, s31, s39
	global_store_dwordx2 v2, v[10:11], s[30:31] offset:-8
	global_store_dwordx2 v2, v[8:9], s[38:39] offset:-8
.LBB101_119:                            ;   in Loop: Header=BB101_11 Depth=1
	v_readlane_b32 s38, v36, 2
	s_xor_b64 s[30:31], s[76:77], -1
	v_readlane_b32 s39, v36, 3
	s_or_b64 s[30:31], s[38:39], s[30:31]
	s_and_b64 vcc, exec, s[30:31]
	s_cbranch_vccnz .LBB101_121
; %bb.120:                              ;   in Loop: Header=BB101_11 Depth=1
	s_ashr_i32 s29, s63, 31
	s_add_u32 s38, s82, s63
	s_addc_u32 s39, s83, s29
	s_lshl_b64 s[38:39], s[38:39], 3
	s_add_u32 s38, s21, s38
	s_addc_u32 s39, s28, s39
	s_ashr_i32 s81, s80, 31
	s_lshl_b64 s[28:29], s[80:81], 3
	s_add_u32 s28, s38, s28
	s_addc_u32 s29, s39, s29
	global_store_dwordx2 v2, v[10:11], s[38:39] offset:-8
	global_store_dwordx2 v2, v[8:9], s[28:29] offset:-8
.LBB101_121:                            ;   in Loop: Header=BB101_11 Depth=1
	v_mul_f64 v[8:9], v[8:9], v[12:13]
	v_fma_f64 v[6:7], v[10:11], v[6:7], -v[8:9]
	s_cmp_eq_u32 s62, 1
	s_mov_b32 s65, 0
	s_cbranch_scc1 .LBB101_154
; %bb.122:                              ;   in Loop: Header=BB101_11 Depth=1
	s_xor_b64 s[82:83], s[94:95], -1
	s_xor_b64 s[84:85], s[30:31], -1
	s_add_i32 s30, s86, s74
	s_add_i32 s65, s62, -1
	s_sub_i32 s28, s86, s78
	s_ashr_i32 s21, s63, 31
	s_ashr_i32 s81, s80, 31
	s_add_u32 s31, s92, s63
	s_addc_u32 s21, s93, s21
	s_ashr_i32 s29, s28, 31
	s_add_u32 s38, s31, s28
	s_addc_u32 s39, s21, s29
	s_lshl_b64 s[38:39], s[38:39], 3
	s_add_u32 s21, s38, s90
	s_addc_u32 s31, s39, s91
	s_lshl_b64 s[38:39], s[80:81], 3
	v_writelane_b32 v36, s79, 32
	s_add_u32 s42, s21, s38
	s_addc_u32 s43, s31, s39
	v_readlane_b32 s58, v36, 6
	s_add_u32 s75, s58, s42
	v_readlane_b32 s59, v36, 7
	s_addc_u32 s92, s59, s43
	s_lshl_b32 s42, s70, 1
	s_add_i32 s42, s42, -2
	s_ashr_i32 s43, s42, 31
	s_lshl_b64 s[80:81], s[42:43], 3
	s_or_b32 s80, s80, 8
	s_add_u32 s94, s58, s21
	s_addc_u32 s95, s59, s31
	s_lshl_b64 s[42:43], s[70:71], 4
	s_add_u32 s21, s42, s90
	s_addc_u32 s31, s43, s91
	s_lshl_b64 s[56:57], s[28:29], 3
	s_add_u32 s21, s21, s56
	s_addc_u32 s31, s31, s57
	s_add_u32 s38, s21, s38
	s_addc_u32 s39, s31, s39
	;; [unrolled: 2-line block ×4, first 2 shown]
	v_readlane_b32 s58, v36, 0
	v_readlane_b32 s59, v36, 1
	s_add_u32 s39, s58, s66
	s_addc_u32 s58, s59, s67
	s_add_u32 s28, s39, s28
	s_addc_u32 s29, s58, s29
	s_mul_i32 s38, s70, 24
	s_lshl_b64 s[28:29], s[28:29], 3
	s_mul_hi_i32 s31, s70, 24
	s_add_u32 s38, s38, s28
	s_addc_u32 s31, s31, s29
	s_ashr_i32 s79, s78, 31
	s_lshl_b64 s[28:29], s[78:79], 3
	s_sub_u32 s28, s38, s28
	s_subb_u32 s29, s31, s29
	v_readlane_b32 s31, v36, 12
	s_add_u32 s67, s31, s28
	v_readlane_b32 s28, v36, 14
	s_addc_u32 s28, s28, s29
	s_add_u32 s38, s42, s68
	s_addc_u32 s39, s43, s69
	s_add_u32 s29, s38, s56
	s_addc_u32 s31, s39, s57
	v_readlane_b32 s42, v36, 13
	s_add_u32 s29, s42, s29
	v_readlane_b32 s42, v36, 15
	s_addc_u32 s42, s42, s31
	s_add_u32 s31, s68, s56
	s_addc_u32 s56, s69, s57
	s_add_u32 s43, s46, s31
	s_addc_u32 s58, s48, s56
	s_ashr_i32 s31, s30, 31
	s_lshl_b64 s[30:31], s[30:31], 3
	s_add_u32 s38, s38, s30
	s_addc_u32 s39, s39, s31
	v_readlane_b32 s56, v36, 16
	s_add_u32 s59, s56, s38
	v_readlane_b32 s38, v36, 17
	s_addc_u32 s60, s38, s39
	s_add_u32 s30, s68, s30
	s_addc_u32 s31, s69, s31
	s_add_u32 s61, s22, s30
	s_mov_b32 s93, 1
	s_addc_u32 s56, s33, s31
	s_mov_b64 s[78:79], 0
	s_branch .LBB101_124
.LBB101_123:                            ;   in Loop: Header=BB101_124 Depth=2
	s_add_i32 s93, s93, 1
	s_add_u32 s78, s78, s80
	v_mul_f64 v[10:11], v[10:11], v[12:13]
	s_addc_u32 s79, s79, s81
	s_cmp_eq_u32 s62, s93
	v_fma_f64 v[6:7], v[8:9], v[6:7], -v[10:11]
	s_cbranch_scc1 .LBB101_155
.LBB101_124:                            ;   Parent Loop BB101_11 Depth=1
                                        ; =>  This Inner Loop Header: Depth=2
	v_cmp_eq_f64_e32 vcc, 0, v[4:5]
	v_pk_mov_b32 v[8:9], 0, 0
	s_cbranch_vccnz .LBB101_128
; %bb.125:                              ;   in Loop: Header=BB101_124 Depth=2
	v_cmp_neq_f64_e32 vcc, 0, v[6:7]
	s_cbranch_vccz .LBB101_129
; %bb.126:                              ;   in Loop: Header=BB101_124 Depth=2
	v_cmp_ngt_f64_e64 s[30:31], |v[4:5]|, |v[6:7]|
	s_and_b64 vcc, exec, s[30:31]
	s_cbranch_vccz .LBB101_130
; %bb.127:                              ;   in Loop: Header=BB101_124 Depth=2
	v_div_scale_f64 v[8:9], s[30:31], v[6:7], v[6:7], -v[4:5]
	v_rcp_f64_e32 v[10:11], v[8:9]
	v_div_scale_f64 v[12:13], vcc, -v[4:5], v[6:7], -v[4:5]
	v_fma_f64 v[14:15], -v[8:9], v[10:11], 1.0
	v_fmac_f64_e32 v[10:11], v[10:11], v[14:15]
	v_fma_f64 v[14:15], -v[8:9], v[10:11], 1.0
	v_fmac_f64_e32 v[10:11], v[10:11], v[14:15]
	v_mul_f64 v[14:15], v[12:13], v[10:11]
	v_fma_f64 v[8:9], -v[8:9], v[14:15], v[12:13]
	v_div_fmas_f64 v[8:9], v[8:9], v[10:11], v[14:15]
	v_div_fixup_f64 v[8:9], v[8:9], v[6:7], -v[4:5]
	v_fma_f64 v[10:11], v[8:9], v[8:9], 1.0
	v_cmp_gt_f64_e32 vcc, s[40:41], v[10:11]
	v_cndmask_b32_e64 v3, 0, 1, vcc
	v_lshlrev_b32_e32 v3, 8, v3
	v_ldexp_f64 v[10:11], v[10:11], v3
	v_rsq_f64_e32 v[12:13], v[10:11]
	s_and_b64 s[30:31], vcc, exec
	s_cselect_b32 s30, 0xffffff80, 0
	v_cmp_class_f64_e32 vcc, v[10:11], v25
	v_mul_f64 v[14:15], v[10:11], v[12:13]
	v_mul_f64 v[12:13], v[12:13], 0.5
	v_fma_f64 v[28:29], -v[12:13], v[14:15], 0.5
	v_fmac_f64_e32 v[14:15], v[14:15], v[28:29]
	v_fmac_f64_e32 v[12:13], v[12:13], v[28:29]
	v_fma_f64 v[28:29], -v[14:15], v[14:15], v[10:11]
	v_fmac_f64_e32 v[14:15], v[28:29], v[12:13]
	v_fma_f64 v[28:29], -v[14:15], v[14:15], v[10:11]
	v_fmac_f64_e32 v[14:15], v[28:29], v[12:13]
	v_ldexp_f64 v[12:13], v[14:15], s30
	v_cndmask_b32_e32 v11, v13, v11, vcc
	v_cndmask_b32_e32 v10, v12, v10, vcc
	v_div_scale_f64 v[12:13], s[30:31], v[10:11], v[10:11], 1.0
	v_rcp_f64_e32 v[14:15], v[12:13]
	v_fma_f64 v[28:29], -v[12:13], v[14:15], 1.0
	v_fmac_f64_e32 v[14:15], v[14:15], v[28:29]
	v_fma_f64 v[28:29], -v[12:13], v[14:15], 1.0
	v_fmac_f64_e32 v[14:15], v[14:15], v[28:29]
	v_div_scale_f64 v[28:29], vcc, 1.0, v[10:11], 1.0
	v_mul_f64 v[30:31], v[28:29], v[14:15]
	v_fma_f64 v[12:13], -v[12:13], v[30:31], v[28:29]
	s_nop 1
	v_div_fmas_f64 v[12:13], v[12:13], v[14:15], v[30:31]
	v_div_fixup_f64 v[10:11], v[12:13], v[10:11], 1.0
	v_mul_f64 v[8:9], v[8:9], v[10:11]
	s_cbranch_execz .LBB101_131
	s_branch .LBB101_132
.LBB101_128:                            ;   in Loop: Header=BB101_124 Depth=2
	v_mov_b32_e32 v10, 0
	v_mov_b32_e32 v11, 0x3ff00000
	s_branch .LBB101_134
.LBB101_129:                            ;   in Loop: Header=BB101_124 Depth=2
                                        ; implicit-def: $vgpr6_vgpr7
                                        ; implicit-def: $vgpr8_vgpr9
                                        ; implicit-def: $vgpr10_vgpr11
	s_cbranch_execnz .LBB101_133
	s_branch .LBB101_134
.LBB101_130:                            ;   in Loop: Header=BB101_124 Depth=2
                                        ; implicit-def: $vgpr8_vgpr9
                                        ; implicit-def: $vgpr10_vgpr11
.LBB101_131:                            ;   in Loop: Header=BB101_124 Depth=2
	v_div_scale_f64 v[8:9], s[30:31], v[4:5], v[4:5], -v[6:7]
	v_rcp_f64_e32 v[10:11], v[8:9]
	v_div_scale_f64 v[12:13], vcc, -v[6:7], v[4:5], -v[6:7]
	v_fma_f64 v[14:15], -v[8:9], v[10:11], 1.0
	v_fmac_f64_e32 v[10:11], v[10:11], v[14:15]
	v_fma_f64 v[14:15], -v[8:9], v[10:11], 1.0
	v_fmac_f64_e32 v[10:11], v[10:11], v[14:15]
	v_mul_f64 v[14:15], v[12:13], v[10:11]
	v_fma_f64 v[8:9], -v[8:9], v[14:15], v[12:13]
	v_div_fmas_f64 v[8:9], v[8:9], v[10:11], v[14:15]
	v_div_fixup_f64 v[10:11], v[8:9], v[4:5], -v[6:7]
	v_fma_f64 v[8:9], v[10:11], v[10:11], 1.0
	v_cmp_gt_f64_e32 vcc, s[40:41], v[8:9]
	v_cndmask_b32_e64 v3, 0, 1, vcc
	v_lshlrev_b32_e32 v3, 8, v3
	v_ldexp_f64 v[8:9], v[8:9], v3
	v_rsq_f64_e32 v[12:13], v[8:9]
	s_and_b64 s[30:31], vcc, exec
	s_cselect_b32 s30, 0xffffff80, 0
	v_cmp_class_f64_e32 vcc, v[8:9], v25
	v_mul_f64 v[14:15], v[8:9], v[12:13]
	v_mul_f64 v[12:13], v[12:13], 0.5
	v_fma_f64 v[28:29], -v[12:13], v[14:15], 0.5
	v_fmac_f64_e32 v[14:15], v[14:15], v[28:29]
	v_fmac_f64_e32 v[12:13], v[12:13], v[28:29]
	v_fma_f64 v[28:29], -v[14:15], v[14:15], v[8:9]
	v_fmac_f64_e32 v[14:15], v[28:29], v[12:13]
	v_fma_f64 v[28:29], -v[14:15], v[14:15], v[8:9]
	v_fmac_f64_e32 v[14:15], v[28:29], v[12:13]
	v_ldexp_f64 v[12:13], v[14:15], s30
	v_cndmask_b32_e32 v9, v13, v9, vcc
	v_cndmask_b32_e32 v8, v12, v8, vcc
	v_div_scale_f64 v[12:13], s[30:31], v[8:9], v[8:9], 1.0
	v_rcp_f64_e32 v[14:15], v[12:13]
	v_fma_f64 v[28:29], -v[12:13], v[14:15], 1.0
	v_fmac_f64_e32 v[14:15], v[14:15], v[28:29]
	v_fma_f64 v[28:29], -v[12:13], v[14:15], 1.0
	v_fmac_f64_e32 v[14:15], v[14:15], v[28:29]
	v_div_scale_f64 v[28:29], vcc, 1.0, v[8:9], 1.0
	v_mul_f64 v[30:31], v[28:29], v[14:15]
	v_fma_f64 v[12:13], -v[12:13], v[30:31], v[28:29]
	s_nop 1
	v_div_fmas_f64 v[12:13], v[12:13], v[14:15], v[30:31]
	v_div_fixup_f64 v[8:9], v[12:13], v[8:9], 1.0
	v_mul_f64 v[10:11], v[10:11], v[8:9]
.LBB101_132:                            ;   in Loop: Header=BB101_124 Depth=2
	v_mul_f64 v[12:13], v[4:5], v[8:9]
	v_fma_f64 v[6:7], v[6:7], v[10:11], -v[12:13]
	s_branch .LBB101_134
.LBB101_133:                            ;   in Loop: Header=BB101_124 Depth=2
	v_xor_b32_e32 v5, 0x80000000, v5
	v_mov_b32_e32 v8, 0
	v_pk_mov_b32 v[10:11], 0, 0
	v_mov_b32_e32 v9, 0x3ff00000
	v_pk_mov_b32 v[6:7], v[4:5], v[4:5] op_sel:[0,1]
.LBB101_134:                            ;   in Loop: Header=BB101_124 Depth=2
	s_add_u32 s30, s43, s78
	s_addc_u32 s31, s58, s79
	global_store_dwordx2 v2, v[6:7], s[30:31]
	s_add_u32 s30, s61, s78
	s_addc_u32 s31, s56, s79
	s_add_u32 s38, s29, s78
	s_addc_u32 s39, s42, s79
	global_load_dwordx2 v[6:7], v2, s[38:39]
	global_load_dwordx2 v[4:5], v2, s[30:31]
	s_add_u32 s86, s59, s78
	s_addc_u32 s87, s60, s79
	s_and_b64 vcc, exec, s[12:13]
	s_waitcnt vmcnt(1)
	v_mul_f64 v[12:13], v[10:11], v[6:7]
	s_waitcnt vmcnt(0)
	v_fmac_f64_e32 v[12:13], v[8:9], v[4:5]
	global_store_dwordx2 v2, v[12:13], s[38:39]
	global_load_dwordx2 v[12:13], v2, s[86:87]
	s_waitcnt vmcnt(0)
	v_mul_f64 v[14:15], v[10:11], v[12:13]
	global_store_dwordx2 v2, v[14:15], s[86:87]
	s_cbranch_vccnz .LBB101_136
; %bb.135:                              ;   in Loop: Header=BB101_124 Depth=2
	s_add_u32 s88, s91, s78
	s_addc_u32 s89, s21, s79
	s_add_u32 vcc_lo, s71, s78
	s_addc_u32 vcc_hi, s90, s79
	global_store_dwordx2 v2, v[10:11], s[88:89]
	global_store_dwordx2 v2, v[8:9], vcc
.LBB101_136:                            ;   in Loop: Header=BB101_124 Depth=2
	s_andn2_b64 vcc, exec, s[82:83]
	s_cbranch_vccnz .LBB101_138
; %bb.137:                              ;   in Loop: Header=BB101_124 Depth=2
	s_add_u32 s88, s94, s78
	s_addc_u32 s89, s95, s79
	s_add_u32 vcc_lo, s75, s78
	s_addc_u32 vcc_hi, s92, s79
	global_store_dwordx2 v2, v[10:11], s[88:89]
	global_store_dwordx2 v2, v[8:9], vcc
.LBB101_138:                            ;   in Loop: Header=BB101_124 Depth=2
	v_mul_f64 v[6:7], v[8:9], v[6:7]
	v_fma_f64 v[6:7], v[10:11], v[4:5], -v[6:7]
	v_mul_f64 v[4:5], v[12:13], -v[8:9]
	v_cmp_eq_f64_e32 vcc, 0, v[4:5]
	v_pk_mov_b32 v[10:11], 0, 0
	s_cbranch_vccnz .LBB101_142
; %bb.139:                              ;   in Loop: Header=BB101_124 Depth=2
	v_cmp_neq_f64_e32 vcc, 0, v[6:7]
	s_cbranch_vccz .LBB101_143
; %bb.140:                              ;   in Loop: Header=BB101_124 Depth=2
	v_cmp_ngt_f64_e64 s[88:89], |v[4:5]|, |v[6:7]|
	s_and_b64 vcc, exec, s[88:89]
	s_cbranch_vccz .LBB101_144
; %bb.141:                              ;   in Loop: Header=BB101_124 Depth=2
	v_div_scale_f64 v[8:9], s[88:89], v[6:7], v[6:7], -v[4:5]
	v_rcp_f64_e32 v[10:11], v[8:9]
	v_div_scale_f64 v[12:13], vcc, -v[4:5], v[6:7], -v[4:5]
	v_fma_f64 v[14:15], -v[8:9], v[10:11], 1.0
	v_fmac_f64_e32 v[10:11], v[10:11], v[14:15]
	v_fma_f64 v[14:15], -v[8:9], v[10:11], 1.0
	v_fmac_f64_e32 v[10:11], v[10:11], v[14:15]
	v_mul_f64 v[14:15], v[12:13], v[10:11]
	v_fma_f64 v[8:9], -v[8:9], v[14:15], v[12:13]
	v_div_fmas_f64 v[8:9], v[8:9], v[10:11], v[14:15]
	v_div_fixup_f64 v[10:11], v[8:9], v[6:7], -v[4:5]
	v_fma_f64 v[8:9], v[10:11], v[10:11], 1.0
	v_cmp_gt_f64_e32 vcc, s[40:41], v[8:9]
	v_cndmask_b32_e64 v3, 0, 1, vcc
	v_lshlrev_b32_e32 v3, 8, v3
	v_ldexp_f64 v[8:9], v[8:9], v3
	v_rsq_f64_e32 v[12:13], v[8:9]
	s_and_b64 s[88:89], vcc, exec
	s_cselect_b32 s57, 0xffffff80, 0
	v_cmp_class_f64_e32 vcc, v[8:9], v25
	v_mul_f64 v[14:15], v[8:9], v[12:13]
	v_mul_f64 v[12:13], v[12:13], 0.5
	v_fma_f64 v[28:29], -v[12:13], v[14:15], 0.5
	v_fmac_f64_e32 v[14:15], v[14:15], v[28:29]
	v_fmac_f64_e32 v[12:13], v[12:13], v[28:29]
	v_fma_f64 v[28:29], -v[14:15], v[14:15], v[8:9]
	v_fmac_f64_e32 v[14:15], v[28:29], v[12:13]
	v_fma_f64 v[28:29], -v[14:15], v[14:15], v[8:9]
	v_fmac_f64_e32 v[14:15], v[28:29], v[12:13]
	v_ldexp_f64 v[12:13], v[14:15], s57
	v_cndmask_b32_e32 v9, v13, v9, vcc
	v_cndmask_b32_e32 v8, v12, v8, vcc
	v_div_scale_f64 v[12:13], s[88:89], v[8:9], v[8:9], 1.0
	v_rcp_f64_e32 v[14:15], v[12:13]
	v_fma_f64 v[28:29], -v[12:13], v[14:15], 1.0
	v_fmac_f64_e32 v[14:15], v[14:15], v[28:29]
	v_fma_f64 v[28:29], -v[12:13], v[14:15], 1.0
	v_fmac_f64_e32 v[14:15], v[14:15], v[28:29]
	v_div_scale_f64 v[28:29], vcc, 1.0, v[8:9], 1.0
	v_mul_f64 v[30:31], v[28:29], v[14:15]
	v_fma_f64 v[12:13], -v[12:13], v[30:31], v[28:29]
	s_nop 1
	v_div_fmas_f64 v[12:13], v[12:13], v[14:15], v[30:31]
	v_div_fixup_f64 v[8:9], v[12:13], v[8:9], 1.0
	v_mul_f64 v[10:11], v[10:11], v[8:9]
	s_cbranch_execz .LBB101_145
	s_branch .LBB101_146
.LBB101_142:                            ;   in Loop: Header=BB101_124 Depth=2
	v_mov_b32_e32 v8, 0
	v_mov_b32_e32 v9, 0x3ff00000
	s_branch .LBB101_148
.LBB101_143:                            ;   in Loop: Header=BB101_124 Depth=2
                                        ; implicit-def: $vgpr6_vgpr7
                                        ; implicit-def: $vgpr10_vgpr11
                                        ; implicit-def: $vgpr8_vgpr9
	s_cbranch_execnz .LBB101_147
	s_branch .LBB101_148
.LBB101_144:                            ;   in Loop: Header=BB101_124 Depth=2
                                        ; implicit-def: $vgpr10_vgpr11
                                        ; implicit-def: $vgpr8_vgpr9
.LBB101_145:                            ;   in Loop: Header=BB101_124 Depth=2
	v_div_scale_f64 v[8:9], s[88:89], v[4:5], v[4:5], -v[6:7]
	v_rcp_f64_e32 v[10:11], v[8:9]
	v_div_scale_f64 v[12:13], vcc, -v[6:7], v[4:5], -v[6:7]
	v_fma_f64 v[14:15], -v[8:9], v[10:11], 1.0
	v_fmac_f64_e32 v[10:11], v[10:11], v[14:15]
	v_fma_f64 v[14:15], -v[8:9], v[10:11], 1.0
	v_fmac_f64_e32 v[10:11], v[10:11], v[14:15]
	v_mul_f64 v[14:15], v[12:13], v[10:11]
	v_fma_f64 v[8:9], -v[8:9], v[14:15], v[12:13]
	v_div_fmas_f64 v[8:9], v[8:9], v[10:11], v[14:15]
	v_div_fixup_f64 v[8:9], v[8:9], v[4:5], -v[6:7]
	v_fma_f64 v[10:11], v[8:9], v[8:9], 1.0
	v_cmp_gt_f64_e32 vcc, s[40:41], v[10:11]
	v_cndmask_b32_e64 v3, 0, 1, vcc
	v_lshlrev_b32_e32 v3, 8, v3
	v_ldexp_f64 v[10:11], v[10:11], v3
	v_rsq_f64_e32 v[12:13], v[10:11]
	s_and_b64 s[88:89], vcc, exec
	s_cselect_b32 s57, 0xffffff80, 0
	v_cmp_class_f64_e32 vcc, v[10:11], v25
	v_mul_f64 v[14:15], v[10:11], v[12:13]
	v_mul_f64 v[12:13], v[12:13], 0.5
	v_fma_f64 v[28:29], -v[12:13], v[14:15], 0.5
	v_fmac_f64_e32 v[14:15], v[14:15], v[28:29]
	v_fmac_f64_e32 v[12:13], v[12:13], v[28:29]
	v_fma_f64 v[28:29], -v[14:15], v[14:15], v[10:11]
	v_fmac_f64_e32 v[14:15], v[28:29], v[12:13]
	v_fma_f64 v[28:29], -v[14:15], v[14:15], v[10:11]
	v_fmac_f64_e32 v[14:15], v[28:29], v[12:13]
	v_ldexp_f64 v[12:13], v[14:15], s57
	v_cndmask_b32_e32 v11, v13, v11, vcc
	v_cndmask_b32_e32 v10, v12, v10, vcc
	v_div_scale_f64 v[12:13], s[88:89], v[10:11], v[10:11], 1.0
	v_rcp_f64_e32 v[14:15], v[12:13]
	v_fma_f64 v[28:29], -v[12:13], v[14:15], 1.0
	v_fmac_f64_e32 v[14:15], v[14:15], v[28:29]
	v_fma_f64 v[28:29], -v[12:13], v[14:15], 1.0
	v_fmac_f64_e32 v[14:15], v[14:15], v[28:29]
	v_div_scale_f64 v[28:29], vcc, 1.0, v[10:11], 1.0
	v_mul_f64 v[30:31], v[28:29], v[14:15]
	v_fma_f64 v[12:13], -v[12:13], v[30:31], v[28:29]
	s_nop 1
	v_div_fmas_f64 v[12:13], v[12:13], v[14:15], v[30:31]
	v_div_fixup_f64 v[10:11], v[12:13], v[10:11], 1.0
	v_mul_f64 v[8:9], v[8:9], v[10:11]
.LBB101_146:                            ;   in Loop: Header=BB101_124 Depth=2
	v_mul_f64 v[12:13], v[4:5], v[10:11]
	v_fma_f64 v[6:7], v[6:7], v[8:9], -v[12:13]
	s_branch .LBB101_148
.LBB101_147:                            ;   in Loop: Header=BB101_124 Depth=2
	v_mov_b32_e32 v10, 0
	v_xor_b32_e32 v7, 0x80000000, v5
	v_mov_b32_e32 v6, v4
	v_pk_mov_b32 v[8:9], 0, 0
	v_mov_b32_e32 v11, 0x3ff00000
.LBB101_148:                            ;   in Loop: Header=BB101_124 Depth=2
	global_store_dwordx2 v2, v[6:7], s[30:31]
	global_load_dwordx2 v[12:13], v2, s[86:87]
	s_nop 0
	global_load_dwordx2 v[6:7], v2, s[38:39]
	s_cmp_ge_i32 s93, s65
	s_waitcnt vmcnt(1)
	v_mul_f64 v[14:15], v[8:9], v[12:13]
	s_waitcnt vmcnt(0)
	v_fmac_f64_e32 v[14:15], v[10:11], v[6:7]
	global_store_dwordx2 v2, v[14:15], s[86:87]
	s_cbranch_scc0 .LBB101_151
; %bb.149:                              ;   in Loop: Header=BB101_124 Depth=2
	s_and_b64 vcc, exec, s[14:15]
	s_cbranch_vccz .LBB101_152
.LBB101_150:                            ;   in Loop: Header=BB101_124 Depth=2
	s_andn2_b64 vcc, exec, s[84:85]
	s_cbranch_vccnz .LBB101_123
	s_branch .LBB101_153
.LBB101_151:                            ;   in Loop: Header=BB101_124 Depth=2
	s_add_u32 s30, s67, s78
	s_addc_u32 s31, s28, s79
	global_load_dwordx2 v[14:15], v2, s[30:31]
	s_waitcnt vmcnt(0)
	v_mul_f64 v[4:5], v[14:15], -v[10:11]
	v_mul_f64 v[14:15], v[8:9], v[14:15]
	global_store_dwordx2 v2, v[14:15], s[30:31]
	s_and_b64 vcc, exec, s[14:15]
	s_cbranch_vccnz .LBB101_150
.LBB101_152:                            ;   in Loop: Header=BB101_124 Depth=2
	s_add_u32 s30, s91, s78
	s_addc_u32 s31, s21, s79
	s_add_u32 s38, s71, s78
	s_addc_u32 s39, s90, s79
	global_store_dwordx2 v2, v[8:9], s[30:31]
	global_store_dwordx2 v2, v[10:11], s[38:39]
	s_andn2_b64 vcc, exec, s[84:85]
	s_cbranch_vccnz .LBB101_123
.LBB101_153:                            ;   in Loop: Header=BB101_124 Depth=2
	s_add_u32 s30, s94, s78
	s_addc_u32 s31, s95, s79
	s_add_u32 s38, s75, s78
	s_addc_u32 s39, s92, s79
	global_store_dwordx2 v2, v[8:9], s[30:31]
	global_store_dwordx2 v2, v[10:11], s[38:39]
	s_branch .LBB101_123
.LBB101_154:                            ;   in Loop: Header=BB101_11 Depth=1
	v_readlane_b32 s12, v36, 24
	v_readlane_b32 s13, v36, 25
	;; [unrolled: 1-line block ×3, first 2 shown]
	s_mov_b32 s75, s13
	v_readlane_b32 s83, v36, 23
	s_branch .LBB101_156
.LBB101_155:                            ;   in Loop: Header=BB101_11 Depth=1
	v_readlane_b32 s12, v36, 24
	v_readlane_b32 s13, v36, 25
	;; [unrolled: 1-line block ×3, first 2 shown]
	s_mov_b32 s75, s13
	v_readlane_b32 s83, v36, 23
	v_readlane_b32 s79, v36, 32
.LBB101_156:                            ;   in Loop: Header=BB101_11 Depth=1
	v_readlane_b32 s90, v36, 26
	v_readlane_b32 s92, v36, 28
	;; [unrolled: 1-line block ×6, first 2 shown]
.LBB101_157:                            ;   in Loop: Header=BB101_11 Depth=1
	s_and_b64 s[12:13], s[76:77], exec
	s_cselect_b32 s12, s65, 0
	s_ashr_i32 s13, s12, 31
	s_lshl_b64 s[12:13], s[12:13], 3
	s_add_u32 s10, s10, s12
	s_addc_u32 s11, s11, s13
	global_store_dwordx2 v2, v[6:7], s[10:11]
.LBB101_158:                            ;   in Loop: Header=BB101_11 Depth=1
	s_or_b64 exec, exec, s[4:5]
	s_andn2_b64 vcc, exec, s[82:83]
	s_barrier
	s_cbranch_vccnz .LBB101_166
; %bb.159:                              ;   in Loop: Header=BB101_11 Depth=1
	s_mov_b32 s59, s79
	s_and_saveexec_b64 s[12:13], s[90:91]
	s_cbranch_execz .LBB101_165
; %bb.160:                              ;   in Loop: Header=BB101_11 Depth=1
	s_load_dword s5, s[92:93], 0xc
	s_add_u32 s10, s52, s68
	s_addc_u32 s11, s53, s69
	s_add_i32 s4, s62, -1
	s_cmp_eq_u32 s70, 0
	s_cselect_b32 s21, s62, 0
	s_cselect_b32 s4, s4, 0
	s_cmp_gt_i32 s62, 0
	s_cselect_b64 s[14:15], -1, 0
	s_waitcnt lgkmcnt(0)
	s_and_b32 s28, s5, 0xffff
	s_ashr_i32 s5, s4, 31
	s_lshl_b64 s[4:5], s[4:5], 3
	s_lshl_b64 s[30:31], s[72:73], 3
	s_add_u32 s43, s4, s30
	s_addc_u32 s56, s5, s31
	s_add_u32 s29, s18, s43
	s_addc_u32 s42, s19, s56
	s_lshl_b32 s58, s70, 1
	s_add_i32 s30, s58, -2
	s_ashr_i32 s31, s30, 31
	s_lshl_b64 s[38:39], s[30:31], 3
	s_ashr_i32 s65, s64, 31
	s_or_b32 s38, s38, 8
	s_lshl_b64 s[4:5], s[64:65], 3
	s_add_u32 s4, s43, s4
	s_addc_u32 s5, s56, s5
	s_sub_u32 s4, s4, s68
	s_subb_u32 s5, s5, s69
	v_readlane_b32 s43, v36, 18
	s_add_u32 s43, s43, s4
	v_readlane_b32 s4, v36, 19
	s_addc_u32 s56, s4, s5
	s_add_i32 s58, s58, s21
	v_add_u32_e32 v4, s21, v21
	s_mul_i32 s57, s23, s28
	s_not_b64 s[76:77], s[30:31]
	v_add_u32_e32 v6, s58, v22
	s_or_b32 s30, s30, 1
	s_mov_b64 s[78:79], 0
	v_mov_b32_e32 v3, v0
	s_branch .LBB101_162
.LBB101_161:                            ;   in Loop: Header=BB101_162 Depth=2
	v_lshlrev_b64 v[10:11], 3, v[10:11]
	v_mov_b32_e32 v5, s11
	v_add_co_u32_e32 v10, vcc, s10, v10
	v_addc_co_u32_e32 v11, vcc, v5, v11, vcc
	v_add_u32_e32 v3, s28, v3
	v_cmp_le_i32_e32 vcc, s49, v3
	v_add_u32_e32 v4, s57, v4
	s_or_b64 s[78:79], vcc, s[78:79]
	v_add_u32_e32 v6, s57, v6
	s_waitcnt vmcnt(0) lgkmcnt(0)
	flat_store_dwordx2 v[10:11], v[8:9]
	s_andn2_b64 exec, exec, s[78:79]
	s_cbranch_execz .LBB101_165
.LBB101_162:                            ;   Parent Loop BB101_11 Depth=1
                                        ; =>  This Loop Header: Depth=2
                                        ;       Child Loop BB101_164 Depth 3
	v_mul_lo_u32 v5, v3, s23
	v_add_u32_e32 v10, s21, v5
	v_ashrrev_i32_e32 v11, 31, v10
	v_lshlrev_b64 v[8:9], 3, v[10:11]
	v_mov_b32_e32 v5, s11
	v_add_co_u32_e32 v8, vcc, s10, v8
	v_addc_co_u32_e32 v9, vcc, v5, v9, vcc
	flat_load_dwordx2 v[8:9], v[8:9]
	s_andn2_b64 vcc, exec, s[14:15]
	s_cbranch_vccnz .LBB101_161
; %bb.163:                              ;   in Loop: Header=BB101_162 Depth=2
	v_ashrrev_i32_e32 v5, 31, v4
	v_lshlrev_b64 v[10:11], 3, v[4:5]
	v_mov_b32_e32 v13, s11
	v_add_co_u32_e32 v5, vcc, s10, v10
	v_addc_co_u32_e32 v12, vcc, v13, v11, vcc
	v_ashrrev_i32_e32 v7, 31, v6
	v_mov_b32_e32 v11, s77
	v_add_co_u32_e32 v10, vcc, s76, v6
	v_addc_co_u32_e32 v11, vcc, v11, v7, vcc
	v_lshlrev_b64 v[14:15], 3, v[6:7]
	v_add_co_u32_e32 v7, vcc, s10, v14
	v_addc_co_u32_e32 v13, vcc, v13, v15, vcc
	s_mov_b64 s[80:81], 0
	s_mov_b32 s58, s62
.LBB101_164:                            ;   Parent Loop BB101_11 Depth=1
                                        ;     Parent Loop BB101_162 Depth=2
                                        ; =>    This Inner Loop Header: Depth=3
	s_add_u32 s4, s29, s80
	v_mov_b32_e32 v27, s81
	v_add_co_u32_e32 v14, vcc, s80, v7
	s_addc_u32 s5, s42, s81
	v_addc_co_u32_e32 v15, vcc, v13, v27, vcc
	s_add_u32 s60, s43, s80
	flat_load_dwordx2 v[14:15], v[14:15]
	s_addc_u32 s61, s56, s81
	global_load_dwordx2 v[28:29], v2, s[60:61]
	global_load_dwordx2 v[30:31], v2, s[4:5] offset:32
	v_mov_b32_e32 v34, s31
	v_add_co_u32_e32 v10, vcc, s30, v10
	s_add_i32 s58, s58, -1
	v_add_co_u32_e64 v32, s[4:5], s80, v5
	v_addc_co_u32_e32 v11, vcc, v11, v34, vcc
	s_add_u32 s80, s80, s38
	s_addc_u32 s81, s81, s39
	v_addc_co_u32_e64 v33, s[4:5], v12, v27, s[4:5]
	s_cmp_eq_u32 s58, 0
	s_waitcnt vmcnt(0) lgkmcnt(0)
	v_mul_f64 v[34:35], v[14:15], v[28:29]
	v_fma_f64 v[34:35], v[8:9], v[30:31], -v[34:35]
	v_mul_f64 v[8:9], v[8:9], v[28:29]
	v_fmac_f64_e32 v[8:9], v[14:15], v[30:31]
	flat_store_dwordx2 v[32:33], v[34:35]
	s_cbranch_scc0 .LBB101_164
	s_branch .LBB101_161
.LBB101_165:                            ;   in Loop: Header=BB101_11 Depth=1
	s_or_b64 exec, exec, s[12:13]
	s_mov_b32 s79, s59
.LBB101_166:                            ;   in Loop: Header=BB101_11 Depth=1
	s_andn2_b64 vcc, exec, s[94:95]
	s_cbranch_vccnz .LBB101_174
; %bb.167:                              ;   in Loop: Header=BB101_11 Depth=1
	s_mov_b64 s[4:5], exec
	v_readlane_b32 s10, v36, 8
	v_readlane_b32 s11, v36, 9
	s_and_b64 s[10:11], s[4:5], s[10:11]
	s_mov_b64 exec, s[10:11]
	s_cbranch_execz .LBB101_173
; %bb.168:                              ;   in Loop: Header=BB101_11 Depth=1
	s_mul_i32 s10, s66, s75
	s_ashr_i32 s11, s10, 31
	s_lshl_b64 s[10:11], s[10:11], 3
	s_add_u32 s10, s34, s10
	s_addc_u32 s11, s35, s11
	s_add_i32 s12, s62, -1
	s_load_dword s15, s[92:93], 0xc
	s_cmp_eq_u32 s70, 0
	s_cselect_b32 s12, s12, 0
	s_cselect_b32 s56, s62, 0
	s_add_i32 s14, s12, s63
	s_cmp_gt_i32 s62, 0
	s_cselect_b64 s[12:13], -1, 0
	s_waitcnt lgkmcnt(0)
	s_and_b32 s28, s15, 0xffff
	s_ashr_i32 s15, s14, 31
	s_lshl_b64 s[30:31], s[72:73], 3
	s_lshl_b64 s[14:15], s[14:15], 3
	s_add_u32 s14, s30, s14
	s_addc_u32 s15, s31, s15
	s_add_u32 s14, s18, s14
	s_addc_u32 s15, s19, s15
	s_lshl_b32 s57, s70, 1
	s_add_i32 s30, s57, -2
	s_ashr_i32 s31, s30, 31
	s_lshl_b64 s[30:31], s[30:31], 3
	s_ashr_i32 s65, s64, 31
	s_or_b32 s30, s30, 8
	s_lshl_b64 s[38:39], s[64:65], 3
	s_sub_u32 s29, s38, s68
	s_subb_u32 s38, s39, s69
	s_add_u32 s29, s29, 40
	s_addc_u32 s42, s38, 0
	s_add_i32 s38, s56, s57
	s_add_i32 s38, s38, -1
	s_mul_i32 s21, s56, s75
	s_mul_i32 s38, s75, s38
	v_add_u32_e32 v3, s21, v0
	s_mul_i32 s43, s75, s74
	v_add_u32_e32 v8, s38, v0
	s_mov_b64 s[38:39], 0
	v_mov_b32_e32 v9, v0
	s_branch .LBB101_170
.LBB101_169:                            ;   in Loop: Header=BB101_170 Depth=2
	v_lshlrev_b64 v[6:7], 3, v[6:7]
	v_mov_b32_e32 v10, s11
	v_add_co_u32_e32 v6, vcc, s10, v6
	v_addc_co_u32_e32 v7, vcc, v10, v7, vcc
	v_add_u32_e32 v9, s28, v9
	v_cmp_le_i32_e32 vcc, s50, v9
	v_add_u32_e32 v3, s28, v3
	s_or_b64 s[38:39], vcc, s[38:39]
	v_add_u32_e32 v8, s28, v8
	s_waitcnt vmcnt(0) lgkmcnt(0)
	flat_store_dwordx2 v[6:7], v[4:5]
	s_andn2_b64 exec, exec, s[38:39]
	s_cbranch_execz .LBB101_173
.LBB101_170:                            ;   Parent Loop BB101_11 Depth=1
                                        ; =>  This Loop Header: Depth=2
                                        ;       Child Loop BB101_172 Depth 3
	v_add_u32_e32 v6, s21, v9
	v_ashrrev_i32_e32 v7, 31, v6
	v_lshlrev_b64 v[4:5], 3, v[6:7]
	v_mov_b32_e32 v10, s11
	v_add_co_u32_e32 v4, vcc, s10, v4
	v_addc_co_u32_e32 v5, vcc, v10, v5, vcc
	flat_load_dwordx2 v[4:5], v[4:5]
	s_andn2_b64 vcc, exec, s[12:13]
	s_cbranch_vccnz .LBB101_169
; %bb.171:                              ;   in Loop: Header=BB101_170 Depth=2
	s_mov_b32 s56, 0
	s_mov_b64 s[66:67], s[14:15]
	s_mov_b32 s57, s62
.LBB101_172:                            ;   Parent Loop BB101_11 Depth=1
                                        ;     Parent Loop BB101_170 Depth=2
                                        ; =>    This Inner Loop Header: Depth=3
	v_add_u32_e32 v6, s56, v8
	v_ashrrev_i32_e32 v7, 31, v6
	s_add_u32 s58, s66, s29
	v_lshlrev_b64 v[10:11], 3, v[6:7]
	v_mov_b32_e32 v27, s11
	s_addc_u32 s59, s67, s42
	v_add_co_u32_e32 v10, vcc, s10, v10
	global_load_dwordx2 v[12:13], v2, s[58:59]
	v_addc_co_u32_e32 v11, vcc, v27, v11, vcc
	flat_load_dwordx2 v[10:11], v[10:11]
	s_nop 0
	global_load_dwordx2 v[14:15], v2, s[66:67] offset:32
	v_add_u32_e32 v28, s56, v3
	v_ashrrev_i32_e32 v29, 31, v28
	s_add_i32 s57, s57, -1
	v_lshlrev_b64 v[28:29], 3, v[28:29]
	s_add_u32 s66, s66, s30
	s_addc_u32 s67, s67, s31
	s_add_i32 s56, s56, s43
	v_add_co_u32_e32 v28, vcc, s10, v28
	v_addc_co_u32_e32 v29, vcc, v27, v29, vcc
	s_cmp_eq_u32 s57, 0
	s_waitcnt vmcnt(0) lgkmcnt(0)
	v_mul_f64 v[30:31], v[10:11], v[12:13]
	v_fma_f64 v[30:31], v[4:5], v[14:15], -v[30:31]
	v_mul_f64 v[4:5], v[4:5], v[12:13]
	v_fmac_f64_e32 v[4:5], v[10:11], v[14:15]
	flat_store_dwordx2 v[28:29], v[30:31]
	s_cbranch_scc0 .LBB101_172
	s_branch .LBB101_169
.LBB101_173:                            ;   in Loop: Header=BB101_11 Depth=1
	s_or_b64 exec, exec, s[4:5]
.LBB101_174:                            ;   in Loop: Header=BB101_11 Depth=1
	v_readlane_b32 s4, v36, 4
	v_readlane_b32 s5, v36, 5
	s_andn2_b64 vcc, exec, s[4:5]
	s_cbranch_vccnz .LBB101_10
; %bb.175:                              ;   in Loop: Header=BB101_11 Depth=1
	s_mov_b64 s[12:13], exec
	v_readlane_b32 s4, v36, 20
	v_readlane_b32 s5, v36, 21
	s_and_b64 s[4:5], s[12:13], s[4:5]
	s_mov_b64 exec, s[4:5]
	s_cbranch_execz .LBB101_9
; %bb.176:                              ;   in Loop: Header=BB101_11 Depth=1
	s_add_u32 s10, s54, s68
	s_addc_u32 s11, s55, s69
	s_add_i32 s4, s62, -1
	s_load_dword s5, s[92:93], 0xc
	s_cmp_eq_u32 s70, 0
	s_cselect_b32 s4, s4, 0
	s_cselect_b32 s21, s62, 0
	s_add_i32 s4, s4, s63
	s_cmp_gt_i32 s62, 0
	s_cselect_b64 s[14:15], -1, 0
	s_waitcnt lgkmcnt(0)
	s_and_b32 s28, s5, 0xffff
	s_ashr_i32 s5, s4, 31
	s_lshl_b64 s[30:31], s[72:73], 3
	s_lshl_b64 s[4:5], s[4:5], 3
	s_add_u32 s43, s30, s4
	s_addc_u32 s56, s31, s5
	s_add_u32 s29, s18, s43
	s_addc_u32 s42, s19, s56
	s_lshl_b32 s58, s70, 1
	s_add_i32 s30, s58, -2
	s_ashr_i32 s31, s30, 31
	s_lshl_b64 s[38:39], s[30:31], 3
	s_ashr_i32 s65, s64, 31
	s_or_b32 s38, s38, 8
	s_lshl_b64 s[4:5], s[64:65], 3
	s_add_u32 s4, s43, s4
	s_addc_u32 s5, s56, s5
	s_sub_u32 s4, s4, s68
	s_subb_u32 s5, s5, s69
	v_readlane_b32 s43, v36, 18
	s_add_u32 s43, s43, s4
	v_readlane_b32 s4, v36, 19
	s_addc_u32 s56, s4, s5
	s_add_i32 s58, s58, s21
	v_add_u32_e32 v4, s21, v23
	s_mul_i32 s57, s47, s28
	s_not_b64 s[64:65], s[30:31]
	v_add_u32_e32 v6, s58, v24
	s_or_b32 s30, s30, 1
	s_mov_b64 s[66:67], 0
	v_mov_b32_e32 v3, v0
	s_branch .LBB101_178
.LBB101_177:                            ;   in Loop: Header=BB101_178 Depth=2
	v_lshlrev_b64 v[10:11], 3, v[10:11]
	v_mov_b32_e32 v5, s11
	v_add_co_u32_e32 v10, vcc, s10, v10
	v_addc_co_u32_e32 v11, vcc, v5, v11, vcc
	v_add_u32_e32 v3, s28, v3
	v_cmp_le_i32_e32 vcc, s51, v3
	v_add_u32_e32 v4, s57, v4
	s_or_b64 s[66:67], vcc, s[66:67]
	v_add_u32_e32 v6, s57, v6
	s_waitcnt vmcnt(0) lgkmcnt(0)
	flat_store_dwordx2 v[10:11], v[8:9]
	s_andn2_b64 exec, exec, s[66:67]
	s_cbranch_execz .LBB101_9
.LBB101_178:                            ;   Parent Loop BB101_11 Depth=1
                                        ; =>  This Loop Header: Depth=2
                                        ;       Child Loop BB101_180 Depth 3
	v_mul_lo_u32 v5, v3, s47
	v_add_u32_e32 v10, s21, v5
	v_ashrrev_i32_e32 v11, 31, v10
	v_lshlrev_b64 v[8:9], 3, v[10:11]
	v_mov_b32_e32 v5, s11
	v_add_co_u32_e32 v8, vcc, s10, v8
	v_addc_co_u32_e32 v9, vcc, v5, v9, vcc
	flat_load_dwordx2 v[8:9], v[8:9]
	s_andn2_b64 vcc, exec, s[14:15]
	s_cbranch_vccnz .LBB101_177
; %bb.179:                              ;   in Loop: Header=BB101_178 Depth=2
	v_ashrrev_i32_e32 v5, 31, v4
	v_lshlrev_b64 v[10:11], 3, v[4:5]
	v_mov_b32_e32 v13, s11
	v_add_co_u32_e32 v5, vcc, s10, v10
	v_addc_co_u32_e32 v12, vcc, v13, v11, vcc
	v_ashrrev_i32_e32 v7, 31, v6
	v_mov_b32_e32 v11, s65
	v_add_co_u32_e32 v10, vcc, s64, v6
	v_addc_co_u32_e32 v11, vcc, v11, v7, vcc
	v_lshlrev_b64 v[14:15], 3, v[6:7]
	v_add_co_u32_e32 v7, vcc, s10, v14
	v_addc_co_u32_e32 v13, vcc, v13, v15, vcc
	s_mov_b64 s[68:69], 0
	s_mov_b32 s58, s62
.LBB101_180:                            ;   Parent Loop BB101_11 Depth=1
                                        ;     Parent Loop BB101_178 Depth=2
                                        ; =>    This Inner Loop Header: Depth=3
	s_add_u32 s4, s29, s68
	s_addc_u32 s5, s42, s69
	v_mov_b32_e32 v27, s69
	v_add_co_u32_e32 v14, vcc, s68, v7
	s_add_u32 s60, s43, s68
	v_addc_co_u32_e32 v15, vcc, v13, v27, vcc
	s_addc_u32 s61, s56, s69
	flat_load_dwordx2 v[14:15], v[14:15]
	v_mov_b32_e32 v34, s31
	global_load_dwordx2 v[28:29], v2, s[4:5] offset:32
	global_load_dwordx2 v[30:31], v2, s[60:61]
	v_add_co_u32_e32 v10, vcc, s30, v10
	s_add_i32 s58, s58, -1
	v_add_co_u32_e64 v32, s[4:5], s68, v5
	v_addc_co_u32_e32 v11, vcc, v11, v34, vcc
	s_add_u32 s68, s68, s38
	s_addc_u32 s69, s69, s39
	v_addc_co_u32_e64 v33, s[4:5], v12, v27, s[4:5]
	s_cmp_eq_u32 s58, 0
	s_waitcnt vmcnt(0) lgkmcnt(0)
	v_mul_f64 v[34:35], v[14:15], v[30:31]
	v_fma_f64 v[34:35], v[8:9], v[28:29], -v[34:35]
	v_mul_f64 v[8:9], v[8:9], v[30:31]
	v_fmac_f64_e32 v[8:9], v[14:15], v[28:29]
	flat_store_dwordx2 v[32:33], v[34:35]
	s_cbranch_scc0 .LBB101_180
	s_branch .LBB101_177
.LBB101_181:
	s_endpgm
	.section	.rodata,"a",@progbits
	.p2align	6, 0x0
	.amdhsa_kernel _ZN9rocsolver6v33100L13bdsqr_computeILi256EddPdPKS2_S4_EEviiiiPT1_lS6_lT2_iilT3_iilT4_iiliS5_S5_S5_S5_PiS6_ilSA_
		.amdhsa_group_segment_fixed_size 2072
		.amdhsa_private_segment_fixed_size 0
		.amdhsa_kernarg_size 456
		.amdhsa_user_sgpr_count 6
		.amdhsa_user_sgpr_private_segment_buffer 1
		.amdhsa_user_sgpr_dispatch_ptr 0
		.amdhsa_user_sgpr_queue_ptr 0
		.amdhsa_user_sgpr_kernarg_segment_ptr 1
		.amdhsa_user_sgpr_dispatch_id 0
		.amdhsa_user_sgpr_flat_scratch_init 0
		.amdhsa_user_sgpr_kernarg_preload_length 0
		.amdhsa_user_sgpr_kernarg_preload_offset 0
		.amdhsa_user_sgpr_private_segment_size 0
		.amdhsa_uses_dynamic_stack 0
		.amdhsa_system_sgpr_private_segment_wavefront_offset 0
		.amdhsa_system_sgpr_workgroup_id_x 1
		.amdhsa_system_sgpr_workgroup_id_y 1
		.amdhsa_system_sgpr_workgroup_id_z 1
		.amdhsa_system_sgpr_workgroup_info 0
		.amdhsa_system_vgpr_workitem_id 0
		.amdhsa_next_free_vgpr 37
		.amdhsa_next_free_sgpr 96
		.amdhsa_accum_offset 40
		.amdhsa_reserve_vcc 1
		.amdhsa_reserve_flat_scratch 0
		.amdhsa_float_round_mode_32 0
		.amdhsa_float_round_mode_16_64 0
		.amdhsa_float_denorm_mode_32 3
		.amdhsa_float_denorm_mode_16_64 3
		.amdhsa_dx10_clamp 1
		.amdhsa_ieee_mode 1
		.amdhsa_fp16_overflow 0
		.amdhsa_tg_split 0
		.amdhsa_exception_fp_ieee_invalid_op 0
		.amdhsa_exception_fp_denorm_src 0
		.amdhsa_exception_fp_ieee_div_zero 0
		.amdhsa_exception_fp_ieee_overflow 0
		.amdhsa_exception_fp_ieee_underflow 0
		.amdhsa_exception_fp_ieee_inexact 0
		.amdhsa_exception_int_div_zero 0
	.end_amdhsa_kernel
	.section	.text._ZN9rocsolver6v33100L13bdsqr_computeILi256EddPdPKS2_S4_EEviiiiPT1_lS6_lT2_iilT3_iilT4_iiliS5_S5_S5_S5_PiS6_ilSA_,"axG",@progbits,_ZN9rocsolver6v33100L13bdsqr_computeILi256EddPdPKS2_S4_EEviiiiPT1_lS6_lT2_iilT3_iilT4_iiliS5_S5_S5_S5_PiS6_ilSA_,comdat
.Lfunc_end101:
	.size	_ZN9rocsolver6v33100L13bdsqr_computeILi256EddPdPKS2_S4_EEviiiiPT1_lS6_lT2_iilT3_iilT4_iiliS5_S5_S5_S5_PiS6_ilSA_, .Lfunc_end101-_ZN9rocsolver6v33100L13bdsqr_computeILi256EddPdPKS2_S4_EEviiiiPT1_lS6_lT2_iilT3_iilT4_iiliS5_S5_S5_S5_PiS6_ilSA_
                                        ; -- End function
	.section	.AMDGPU.csdata,"",@progbits
; Kernel info:
; codeLenInByte = 9416
; NumSgprs: 100
; NumVgprs: 37
; NumAgprs: 0
; TotalNumVgprs: 37
; ScratchSize: 0
; MemoryBound: 0
; FloatMode: 240
; IeeeMode: 1
; LDSByteSize: 2072 bytes/workgroup (compile time only)
; SGPRBlocks: 12
; VGPRBlocks: 4
; NumSGPRsForWavesPerEU: 100
; NumVGPRsForWavesPerEU: 37
; AccumOffset: 40
; Occupancy: 8
; WaveLimiterHint : 1
; COMPUTE_PGM_RSRC2:SCRATCH_EN: 0
; COMPUTE_PGM_RSRC2:USER_SGPR: 6
; COMPUTE_PGM_RSRC2:TRAP_HANDLER: 0
; COMPUTE_PGM_RSRC2:TGID_X_EN: 1
; COMPUTE_PGM_RSRC2:TGID_Y_EN: 1
; COMPUTE_PGM_RSRC2:TGID_Z_EN: 1
; COMPUTE_PGM_RSRC2:TIDIG_COMP_CNT: 0
; COMPUTE_PGM_RSRC3_GFX90A:ACCUM_OFFSET: 9
; COMPUTE_PGM_RSRC3_GFX90A:TG_SPLIT: 0
	.section	.text._ZN9rocsolver6v33100L12bdsqr_rotateIddPdPKS2_S4_EEviiiiT1_iilT2_iilT3_iiliPiPT0_ilS8_,"axG",@progbits,_ZN9rocsolver6v33100L12bdsqr_rotateIddPdPKS2_S4_EEviiiiT1_iilT2_iilT3_iiliPiPT0_ilS8_,comdat
	.globl	_ZN9rocsolver6v33100L12bdsqr_rotateIddPdPKS2_S4_EEviiiiT1_iilT2_iilT3_iiliPiPT0_ilS8_ ; -- Begin function _ZN9rocsolver6v33100L12bdsqr_rotateIddPdPKS2_S4_EEviiiiT1_iilT2_iilT3_iiliPiPT0_ilS8_
	.p2align	8
	.type	_ZN9rocsolver6v33100L12bdsqr_rotateIddPdPKS2_S4_EEviiiiT1_iilT2_iilT3_iiliPiPT0_ilS8_,@function
_ZN9rocsolver6v33100L12bdsqr_rotateIddPdPKS2_S4_EEviiiiT1_iilT2_iilT3_iiliPiPT0_ilS8_: ; @_ZN9rocsolver6v33100L12bdsqr_rotateIddPdPKS2_S4_EEviiiiT1_iilT2_iilT3_iiliPiPT0_ilS8_
; %bb.0:
	s_load_dwordx4 s[0:3], s[4:5], 0x78
	s_ashr_i32 s9, s8, 31
	s_lshl_b64 s[10:11], s[8:9], 2
	s_waitcnt lgkmcnt(0)
	s_add_u32 s2, s2, s10
	s_addc_u32 s3, s3, s11
	s_load_dword s2, s[2:3], 0x8
	s_waitcnt lgkmcnt(0)
	s_cmp_lg_u32 s2, 0
	s_cbranch_scc1 .LBB102_25
; %bb.1:
	s_load_dwordx8 s[12:19], s[4:5], 0x10
	s_add_u32 s26, s4, 0x88
	s_addc_u32 s27, s5, 0
	s_mov_b64 s[2:3], 0
	s_mov_b64 s[10:11], 0
	s_waitcnt lgkmcnt(0)
	s_cmp_eq_u64 s[12:13], 0
	s_cbranch_scc1 .LBB102_3
; %bb.2:
	s_ashr_i32 s11, s14, 31
	s_mov_b32 s10, s14
	s_mul_i32 s14, s8, s17
	s_mul_hi_u32 s17, s8, s16
	s_add_i32 s14, s17, s14
	s_mul_i32 s17, s9, s16
	s_add_i32 s17, s14, s17
	s_mul_i32 s16, s8, s16
	s_lshl_b64 s[16:17], s[16:17], 3
	s_add_u32 s12, s12, s16
	s_addc_u32 s13, s13, s17
	s_lshl_b64 s[10:11], s[10:11], 3
	s_add_u32 s10, s12, s10
	s_addc_u32 s11, s13, s11
.LBB102_3:
	s_load_dwordx2 s[12:13], s[4:5], 0x30
	s_cmp_eq_u64 s[18:19], 0
	s_cbranch_scc1 .LBB102_5
; %bb.4:
	s_lshl_b64 s[2:3], s[8:9], 3
	s_add_u32 s2, s18, s2
	s_addc_u32 s3, s19, s3
	s_load_dwordx2 s[2:3], s[2:3], 0x0
	s_waitcnt lgkmcnt(0)
	s_ashr_i32 s17, s12, 31
	s_mov_b32 s16, s12
	s_lshl_b64 s[16:17], s[16:17], 3
	s_add_u32 s2, s2, s16
	s_addc_u32 s3, s3, s17
.LBB102_5:
	s_load_dwordx4 s[16:19], s[4:5], 0x40
	s_mov_b64 s[24:25], 0
	s_waitcnt lgkmcnt(0)
	s_cmp_eq_u64 s[16:17], 0
	s_cbranch_scc1 .LBB102_7
; %bb.6:
	s_lshl_b64 s[20:21], s[8:9], 3
	s_add_u32 s16, s16, s20
	s_addc_u32 s17, s17, s21
	s_load_dwordx2 s[16:17], s[16:17], 0x0
	s_ashr_i32 s21, s18, 31
	s_mov_b32 s20, s18
	s_lshl_b64 s[20:21], s[20:21], 3
	s_waitcnt lgkmcnt(0)
	s_add_u32 s24, s16, s20
	s_addc_u32 s25, s17, s21
.LBB102_7:
	s_load_dwordx4 s[20:23], s[4:5], 0x60
	s_mul_i32 s1, s8, s1
	s_mul_hi_u32 s12, s8, s0
	s_add_i32 s1, s12, s1
	s_mul_i32 s9, s9, s0
	s_add_i32 s1, s1, s9
	s_mul_i32 s0, s8, s0
	s_lshl_b64 s[16:17], s[0:1], 3
	s_waitcnt lgkmcnt(0)
	s_add_u32 s0, s22, s16
	s_addc_u32 s1, s23, s17
	s_load_dwordx2 s[0:1], s[0:1], 0x10
	s_waitcnt lgkmcnt(0)
	v_cvt_i32_f64_e32 v6, s[0:1]
	v_cmp_ge_i32_e32 vcc, s7, v6
	s_cbranch_vccnz .LBB102_25
; %bb.8:
	s_load_dwordx4 s[28:31], s[4:5], 0x0
	s_load_dword s12, s[4:5], 0x58
	s_load_dword s9, s[4:5], 0x94
	;; [unrolled: 1-line block ×3, first 2 shown]
	v_mov_b32_e32 v10, 0
	s_waitcnt lgkmcnt(0)
	s_mul_i32 s0, s8, s28
	s_lshl_b32 s0, s0, 1
	s_ashr_i32 s1, s0, 31
	s_lshl_b64 s[0:1], s[0:1], 2
	s_add_u32 s36, s20, s0
	s_addc_u32 s37, s21, s1
	s_and_b32 s0, 0xffff, s9
	s_mul_i32 s6, s6, s0
	s_cmp_eq_u32 s29, 0
	v_add_u32_e32 v7, s6, v0
	s_cselect_b64 s[0:1], -1, 0
	s_cmp_lg_u64 s[10:11], 0
	s_cselect_b64 s[4:5], -1, 0
	v_cmp_gt_i32_e32 vcc, s29, v7
	s_and_b64 s[4:5], vcc, s[4:5]
	s_cmp_lg_u64 s[2:3], 0
	s_cselect_b64 s[8:9], -1, 0
	v_cmp_gt_i32_e32 vcc, s30, v7
	s_and_b64 s[8:9], vcc, s[8:9]
	s_cmp_lg_u64 s[24:25], 0
	v_mul_lo_u32 v8, v7, s15
	s_cselect_b64 s[14:15], -1, 0
	v_cmp_gt_i32_e32 vcc, s31, v7
	s_and_b64 s[14:15], vcc, s[14:15]
	s_load_dword s6, s[26:27], 0x4
	s_add_u32 s38, s22, s16
	s_addc_u32 s39, s23, s17
	s_add_u32 s40, s38, 40
	v_mul_lo_u32 v9, v7, s19
	s_addc_u32 s41, s39, 0
	s_branch .LBB102_12
.LBB102_9:                              ;   in Loop: Header=BB102_12 Depth=1
	v_mov_b32_e32 v2, s21
	v_subrev_co_u32_e32 v3, vcc, s20, v4
	s_add_u32 s16, s18, s24
	v_subb_co_u32_e32 v4, vcc, v5, v2, vcc
	s_addc_u32 s17, s19, s25
	v_mov_b32_e32 v5, s17
	v_add_co_u32_e32 v2, vcc, s16, v3
	v_addc_co_u32_e32 v3, vcc, v5, v4, vcc
	flat_store_dwordx2 v[2:3], v[0:1]
.LBB102_10:                             ;   in Loop: Header=BB102_12 Depth=1
	s_or_b64 exec, exec, s[28:29]
.LBB102_11:                             ;   in Loop: Header=BB102_12 Depth=1
	s_add_i32 s7, s6, s7
	v_cmp_lt_i32_e32 vcc, s7, v6
	s_cbranch_vccz .LBB102_25
.LBB102_12:                             ; =>This Loop Header: Depth=1
                                        ;     Child Loop BB102_16 Depth 2
                                        ;     Child Loop BB102_20 Depth 2
	;; [unrolled: 1-line block ×3, first 2 shown]
	s_lshl_b32 s16, s7, 2
	s_ashr_i32 s17, s16, 31
	s_lshl_b64 s[16:17], s[16:17], 2
	s_add_u32 s16, s36, s16
	s_addc_u32 s17, s37, s17
	s_load_dwordx2 s[18:19], s[16:17], 0x0
	s_load_dword s22, s[16:17], 0x8
	s_waitcnt lgkmcnt(0)
	s_cmp_le_i32 s22, s19
	s_cbranch_scc1 .LBB102_11
; %bb.13:                               ;   in Loop: Header=BB102_12 Depth=1
	s_load_dword s16, s[16:17], 0xc
	s_waitcnt lgkmcnt(0)
	s_cmp_lt_i32 s16, s12
	s_cselect_b64 s[16:17], -1, 0
	s_cmp_lg_u32 s18, 0
	s_cselect_b64 s[20:21], -1, 0
	s_and_b64 s[16:17], s[16:17], s[20:21]
	s_andn2_b64 vcc, exec, s[16:17]
	s_cbranch_vccnz .LBB102_11
; %bb.14:                               ;   in Loop: Header=BB102_12 Depth=1
	s_mul_i32 s20, s19, s33
	s_ashr_i32 s21, s20, 31
	s_cmp_gt_i32 s18, 0
	s_cselect_b64 s[26:27], -1, 0
	s_sub_i32 s16, s22, s19
	s_and_saveexec_b64 s[28:29], s[4:5]
	s_cbranch_execz .LBB102_18
; %bb.15:                               ;   in Loop: Header=BB102_12 Depth=1
	s_and_b64 s[30:31], s[26:27], exec
	s_cselect_b32 s17, s19, s22
	v_add_u32_e32 v4, s17, v8
	v_ashrrev_i32_e32 v5, 31, v4
	v_lshlrev_b64 v[0:1], 3, v[4:5]
	v_mov_b32_e32 v12, s11
	v_add_co_u32_e32 v2, vcc, s10, v0
	v_addc_co_u32_e32 v3, vcc, v12, v1, vcc
	flat_load_dwordx2 v[0:1], v[2:3]
	s_add_i32 s17, s16, -1
	s_and_b64 s[30:31], s[26:27], exec
	s_cselect_b32 s30, 0, s17
	s_ashr_i32 s31, s30, 31
	s_lshl_b64 s[30:31], s[30:31], 3
	s_lshl_b64 s[34:35], s[20:21], 3
	s_add_u32 s43, s30, s34
	s_addc_u32 s44, s31, s35
	s_add_u32 s17, s38, s43
	s_addc_u32 s42, s39, s44
	s_ashr_i32 s31, s18, 31
	s_mov_b32 s30, s18
	s_ashr_i32 s23, s22, 31
	s_lshl_b64 s[30:31], s[30:31], 3
	s_lshl_b64 s[34:35], s[22:23], 3
	s_add_u32 s23, s43, s34
	s_addc_u32 s43, s44, s35
	s_ashr_i32 s35, s19, 31
	s_mov_b32 s34, s19
	s_lshl_b64 s[34:35], s[34:35], 3
	v_add_u32_e32 v4, s18, v4
	s_sub_u32 s23, s23, s34
	v_ashrrev_i32_e32 v5, 31, v4
	s_subb_u32 s34, s43, s35
	v_lshlrev_b64 v[4:5], 3, v[4:5]
	s_add_u32 s23, s40, s23
	v_add_co_u32_e32 v11, vcc, s10, v4
	s_addc_u32 s43, s41, s34
	v_addc_co_u32_e32 v12, vcc, v12, v5, vcc
	s_mov_b64 s[34:35], 0
	s_mov_b32 s44, s16
.LBB102_16:                             ;   Parent Loop BB102_12 Depth=1
                                        ; =>  This Inner Loop Header: Depth=2
	s_add_u32 s46, s17, s34
	s_addc_u32 s47, s42, s35
	v_mov_b32_e32 v13, s35
	v_add_co_u32_e32 v14, vcc, s34, v11
	s_add_u32 s48, s23, s34
	v_addc_co_u32_e32 v15, vcc, v12, v13, vcc
	s_addc_u32 s49, s43, s35
	flat_load_dwordx2 v[14:15], v[14:15]
	s_add_i32 s44, s44, -1
	global_load_dwordx2 v[16:17], v10, s[46:47] offset:32
	global_load_dwordx2 v[18:19], v10, s[48:49]
	v_add_co_u32_e32 v20, vcc, s34, v2
	s_add_u32 s34, s34, s30
	s_addc_u32 s35, s35, s31
	v_addc_co_u32_e32 v21, vcc, v3, v13, vcc
	s_cmp_eq_u32 s44, 0
	s_waitcnt vmcnt(0) lgkmcnt(0)
	v_mul_f64 v[22:23], v[14:15], v[18:19]
	v_fma_f64 v[22:23], v[0:1], v[16:17], -v[22:23]
	v_mul_f64 v[0:1], v[0:1], v[18:19]
	v_fmac_f64_e32 v[0:1], v[14:15], v[16:17]
	flat_store_dwordx2 v[20:21], v[22:23]
	s_cbranch_scc0 .LBB102_16
; %bb.17:                               ;   in Loop: Header=BB102_12 Depth=1
	v_mov_b32_e32 v2, s31
	v_subrev_co_u32_e32 v3, vcc, s30, v4
	s_add_u32 s17, s34, s10
	v_subb_co_u32_e32 v4, vcc, v5, v2, vcc
	s_addc_u32 s23, s35, s11
	v_mov_b32_e32 v5, s23
	v_add_co_u32_e32 v2, vcc, s17, v3
	v_addc_co_u32_e32 v3, vcc, v5, v4, vcc
	flat_store_dwordx2 v[2:3], v[0:1]
.LBB102_18:                             ;   in Loop: Header=BB102_12 Depth=1
	s_or_b64 exec, exec, s[28:29]
	s_lshl_b32 s17, s16, 1
	s_add_i32 s17, s17, 2
	s_and_b64 s[28:29], s[0:1], exec
	s_cselect_b32 s23, 0, s17
	s_and_saveexec_b64 s[28:29], s[8:9]
	s_cbranch_execz .LBB102_22
; %bb.19:                               ;   in Loop: Header=BB102_12 Depth=1
	s_and_b64 s[30:31], s[26:27], exec
	s_cselect_b32 s46, s19, s22
	s_mul_i32 s42, s46, s13
	v_add_u32_e32 v0, s42, v7
	v_ashrrev_i32_e32 v1, 31, v0
	v_lshlrev_b64 v[0:1], 3, v[0:1]
	v_mov_b32_e32 v2, s3
	v_add_co_u32_e32 v0, vcc, s2, v0
	v_addc_co_u32_e32 v1, vcc, v2, v1, vcc
	flat_load_dwordx2 v[0:1], v[0:1]
	s_add_i32 s17, s16, -1
	s_and_b64 s[30:31], s[26:27], exec
	s_cselect_b32 s17, 0, s17
	s_add_i32 s30, s23, s17
	s_ashr_i32 s31, s30, 31
	s_ashr_i32 s17, s16, 31
	s_lshl_b64 s[34:35], s[20:21], 3
	s_lshl_b64 s[30:31], s[30:31], 3
	s_add_u32 s30, s34, s30
	s_addc_u32 s31, s35, s31
	s_add_u32 s30, s38, s30
	s_addc_u32 s31, s39, s31
	s_ashr_i32 s35, s18, 31
	s_mov_b32 s34, s18
	s_lshl_b64 s[34:35], s[34:35], 3
	s_lshl_b64 s[44:45], s[16:17], 3
	s_add_u32 s17, s44, 40
	s_addc_u32 s43, s45, 0
	s_add_i32 s46, s46, s18
	s_mul_i32 s44, s13, s46
	s_mul_i32 s45, s13, s18
	v_mov_b32_e32 v4, v7
	s_mov_b32 s46, s16
.LBB102_20:                             ;   Parent Loop BB102_12 Depth=1
                                        ; =>  This Inner Loop Header: Depth=2
	v_add_u32_e32 v2, s44, v4
	v_ashrrev_i32_e32 v3, 31, v2
	v_lshlrev_b64 v[2:3], 3, v[2:3]
	v_mov_b32_e32 v5, s3
	s_add_u32 s48, s30, s17
	v_add_co_u32_e32 v2, vcc, s2, v2
	s_addc_u32 s49, s31, s43
	v_addc_co_u32_e32 v3, vcc, v5, v3, vcc
	global_load_dwordx2 v[12:13], v10, s[30:31] offset:32
	global_load_dwordx2 v[14:15], v10, s[48:49]
	flat_load_dwordx2 v[16:17], v[2:3]
	v_add_u32_e32 v18, s42, v4
	v_ashrrev_i32_e32 v19, 31, v18
	s_add_i32 s46, s46, -1
	v_lshlrev_b64 v[18:19], 3, v[18:19]
	s_add_u32 s30, s30, s34
	v_add_co_u32_e32 v18, vcc, s2, v18
	s_addc_u32 s31, s31, s35
	v_add_u32_e32 v4, s45, v4
	v_addc_co_u32_e32 v19, vcc, v5, v19, vcc
	s_cmp_eq_u32 s46, 0
	s_waitcnt vmcnt(0) lgkmcnt(0)
	v_mul_f64 v[20:21], v[16:17], v[14:15]
	v_fma_f64 v[20:21], v[0:1], v[12:13], -v[20:21]
	v_mul_f64 v[0:1], v[0:1], v[14:15]
	v_fmac_f64_e32 v[0:1], v[16:17], v[12:13]
	flat_store_dwordx2 v[18:19], v[20:21]
	s_cbranch_scc0 .LBB102_20
; %bb.21:                               ;   in Loop: Header=BB102_12 Depth=1
	flat_store_dwordx2 v[2:3], v[0:1]
.LBB102_22:                             ;   in Loop: Header=BB102_12 Depth=1
	s_or_b64 exec, exec, s[28:29]
	s_and_saveexec_b64 s[28:29], s[14:15]
	s_cbranch_execz .LBB102_10
; %bb.23:                               ;   in Loop: Header=BB102_12 Depth=1
	s_and_b64 s[30:31], s[26:27], exec
	s_cselect_b32 s17, s19, s22
	v_add_u32_e32 v4, s17, v9
	v_ashrrev_i32_e32 v5, 31, v4
	v_lshlrev_b64 v[0:1], 3, v[4:5]
	v_mov_b32_e32 v12, s25
	v_add_co_u32_e32 v2, vcc, s24, v0
	v_addc_co_u32_e32 v3, vcc, v12, v1, vcc
	flat_load_dwordx2 v[0:1], v[2:3]
	s_add_i32 s17, s16, -1
	s_and_b64 s[26:27], s[26:27], exec
	s_cselect_b32 s17, 0, s17
	s_add_i32 s22, s23, s17
	s_ashr_i32 s23, s22, 31
	s_ashr_i32 s17, s16, 31
	s_lshl_b64 s[20:21], s[20:21], 3
	s_lshl_b64 s[22:23], s[22:23], 3
	s_add_u32 s30, s20, s22
	s_addc_u32 s31, s21, s23
	s_add_u32 s22, s38, s30
	s_addc_u32 s23, s39, s31
	s_ashr_i32 s19, s18, 31
	s_lshl_b64 s[20:21], s[18:19], 3
	s_lshl_b64 s[26:27], s[16:17], 3
	v_add_u32_e32 v4, s18, v4
	s_add_u32 s17, s30, s26
	v_ashrrev_i32_e32 v5, 31, v4
	s_addc_u32 s19, s31, s27
	v_lshlrev_b64 v[4:5], 3, v[4:5]
	s_add_u32 s17, s40, s17
	v_add_co_u32_e32 v11, vcc, s24, v4
	s_addc_u32 s26, s41, s19
	v_addc_co_u32_e32 v12, vcc, v12, v5, vcc
	s_mov_b64 s[18:19], 0
.LBB102_24:                             ;   Parent Loop BB102_12 Depth=1
                                        ; =>  This Inner Loop Header: Depth=2
	s_add_u32 s30, s22, s18
	s_addc_u32 s31, s23, s19
	v_mov_b32_e32 v13, s19
	v_add_co_u32_e32 v14, vcc, s18, v11
	s_add_u32 s34, s17, s18
	v_addc_co_u32_e32 v15, vcc, v12, v13, vcc
	s_addc_u32 s35, s26, s19
	flat_load_dwordx2 v[14:15], v[14:15]
	s_add_i32 s16, s16, -1
	global_load_dwordx2 v[16:17], v10, s[30:31] offset:32
	global_load_dwordx2 v[18:19], v10, s[34:35]
	v_add_co_u32_e32 v20, vcc, s18, v2
	s_add_u32 s18, s18, s20
	s_addc_u32 s19, s19, s21
	v_addc_co_u32_e32 v21, vcc, v3, v13, vcc
	s_cmp_eq_u32 s16, 0
	s_waitcnt vmcnt(0) lgkmcnt(0)
	v_mul_f64 v[22:23], v[14:15], v[18:19]
	v_fma_f64 v[22:23], v[0:1], v[16:17], -v[22:23]
	v_mul_f64 v[0:1], v[0:1], v[18:19]
	v_fmac_f64_e32 v[0:1], v[14:15], v[16:17]
	flat_store_dwordx2 v[20:21], v[22:23]
	s_cbranch_scc0 .LBB102_24
	s_branch .LBB102_9
.LBB102_25:
	s_endpgm
	.section	.rodata,"a",@progbits
	.p2align	6, 0x0
	.amdhsa_kernel _ZN9rocsolver6v33100L12bdsqr_rotateIddPdPKS2_S4_EEviiiiT1_iilT2_iilT3_iiliPiPT0_ilS8_
		.amdhsa_group_segment_fixed_size 0
		.amdhsa_private_segment_fixed_size 0
		.amdhsa_kernarg_size 392
		.amdhsa_user_sgpr_count 6
		.amdhsa_user_sgpr_private_segment_buffer 1
		.amdhsa_user_sgpr_dispatch_ptr 0
		.amdhsa_user_sgpr_queue_ptr 0
		.amdhsa_user_sgpr_kernarg_segment_ptr 1
		.amdhsa_user_sgpr_dispatch_id 0
		.amdhsa_user_sgpr_flat_scratch_init 0
		.amdhsa_user_sgpr_kernarg_preload_length 0
		.amdhsa_user_sgpr_kernarg_preload_offset 0
		.amdhsa_user_sgpr_private_segment_size 0
		.amdhsa_uses_dynamic_stack 0
		.amdhsa_system_sgpr_private_segment_wavefront_offset 0
		.amdhsa_system_sgpr_workgroup_id_x 1
		.amdhsa_system_sgpr_workgroup_id_y 1
		.amdhsa_system_sgpr_workgroup_id_z 1
		.amdhsa_system_sgpr_workgroup_info 0
		.amdhsa_system_vgpr_workitem_id 0
		.amdhsa_next_free_vgpr 24
		.amdhsa_next_free_sgpr 50
		.amdhsa_accum_offset 24
		.amdhsa_reserve_vcc 1
		.amdhsa_reserve_flat_scratch 0
		.amdhsa_float_round_mode_32 0
		.amdhsa_float_round_mode_16_64 0
		.amdhsa_float_denorm_mode_32 3
		.amdhsa_float_denorm_mode_16_64 3
		.amdhsa_dx10_clamp 1
		.amdhsa_ieee_mode 1
		.amdhsa_fp16_overflow 0
		.amdhsa_tg_split 0
		.amdhsa_exception_fp_ieee_invalid_op 0
		.amdhsa_exception_fp_denorm_src 0
		.amdhsa_exception_fp_ieee_div_zero 0
		.amdhsa_exception_fp_ieee_overflow 0
		.amdhsa_exception_fp_ieee_underflow 0
		.amdhsa_exception_fp_ieee_inexact 0
		.amdhsa_exception_int_div_zero 0
	.end_amdhsa_kernel
	.section	.text._ZN9rocsolver6v33100L12bdsqr_rotateIddPdPKS2_S4_EEviiiiT1_iilT2_iilT3_iiliPiPT0_ilS8_,"axG",@progbits,_ZN9rocsolver6v33100L12bdsqr_rotateIddPdPKS2_S4_EEviiiiT1_iilT2_iilT3_iiliPiPT0_ilS8_,comdat
.Lfunc_end102:
	.size	_ZN9rocsolver6v33100L12bdsqr_rotateIddPdPKS2_S4_EEviiiiT1_iilT2_iilT3_iiliPiPT0_ilS8_, .Lfunc_end102-_ZN9rocsolver6v33100L12bdsqr_rotateIddPdPKS2_S4_EEviiiiT1_iilT2_iilT3_iiliPiPT0_ilS8_
                                        ; -- End function
	.section	.AMDGPU.csdata,"",@progbits
; Kernel info:
; codeLenInByte = 1640
; NumSgprs: 54
; NumVgprs: 24
; NumAgprs: 0
; TotalNumVgprs: 24
; ScratchSize: 0
; MemoryBound: 0
; FloatMode: 240
; IeeeMode: 1
; LDSByteSize: 0 bytes/workgroup (compile time only)
; SGPRBlocks: 6
; VGPRBlocks: 2
; NumSGPRsForWavesPerEU: 54
; NumVGPRsForWavesPerEU: 24
; AccumOffset: 24
; Occupancy: 8
; WaveLimiterHint : 1
; COMPUTE_PGM_RSRC2:SCRATCH_EN: 0
; COMPUTE_PGM_RSRC2:USER_SGPR: 6
; COMPUTE_PGM_RSRC2:TRAP_HANDLER: 0
; COMPUTE_PGM_RSRC2:TGID_X_EN: 1
; COMPUTE_PGM_RSRC2:TGID_Y_EN: 1
; COMPUTE_PGM_RSRC2:TGID_Z_EN: 1
; COMPUTE_PGM_RSRC2:TIDIG_COMP_CNT: 0
; COMPUTE_PGM_RSRC3_GFX90A:ACCUM_OFFSET: 5
; COMPUTE_PGM_RSRC3_GFX90A:TG_SPLIT: 0
	.section	.text._ZN9rocsolver6v33100L14bdsqr_finalizeIddPdPKS2_S4_EEviiiiPT0_lS6_lT1_iilT2_iilT3_iilPiSA_SA_,"axG",@progbits,_ZN9rocsolver6v33100L14bdsqr_finalizeIddPdPKS2_S4_EEviiiiPT0_lS6_lT1_iilT2_iilT3_iilPiSA_SA_,comdat
	.globl	_ZN9rocsolver6v33100L14bdsqr_finalizeIddPdPKS2_S4_EEviiiiPT0_lS6_lT1_iilT2_iilT3_iilPiSA_SA_ ; -- Begin function _ZN9rocsolver6v33100L14bdsqr_finalizeIddPdPKS2_S4_EEviiiiPT0_lS6_lT1_iilT2_iilT3_iilPiSA_SA_
	.p2align	8
	.type	_ZN9rocsolver6v33100L14bdsqr_finalizeIddPdPKS2_S4_EEviiiiPT0_lS6_lT1_iilT2_iilT3_iilPiSA_SA_,@function
_ZN9rocsolver6v33100L14bdsqr_finalizeIddPdPKS2_S4_EEviiiiPT0_lS6_lT1_iilT2_iilT3_iilPiSA_SA_: ; @_ZN9rocsolver6v33100L14bdsqr_finalizeIddPdPKS2_S4_EEviiiiPT0_lS6_lT1_iilT2_iilT3_iilPiSA_SA_
; %bb.0:
	s_add_u32 flat_scratch_lo, s6, s10
	s_addc_u32 flat_scratch_hi, s7, 0
	s_load_dwordx2 s[6:7], s[4:5], 0x88
	s_add_u32 s0, s0, s10
	s_addc_u32 s1, s1, 0
	s_mov_b32 s12, s9
	s_ashr_i32 s13, s9, 31
	s_lshl_b64 s[26:27], s[12:13], 2
	s_waitcnt lgkmcnt(0)
	s_add_u32 s6, s6, s26
	s_addc_u32 s7, s7, s27
	s_load_dword s6, s[6:7], 0x8
	s_mov_b32 s32, 0
	s_waitcnt lgkmcnt(0)
	s_cmp_gt_i32 s6, 1
	s_cbranch_scc1 .LBB103_260
; %bb.1:
	s_load_dwordx2 s[6:7], s[4:5], 0x9c
	s_load_dwordx8 s[36:43], s[4:5], 0x30
	s_load_dwordx8 s[44:51], s[4:5], 0x10
	s_mov_b64 s[28:29], 0
	s_mov_b64 s[34:35], 0
	s_waitcnt lgkmcnt(0)
	s_and_b32 s7, s7, 0xffff
	s_cmp_eq_u64 s[36:37], 0
	s_cbranch_scc1 .LBB103_3
; %bb.2:
	s_mul_i32 s10, s12, s41
	s_mul_hi_u32 s11, s12, s40
	s_add_i32 s10, s11, s10
	s_mul_i32 s11, s13, s40
	s_add_i32 s11, s10, s11
	s_mul_i32 s10, s12, s40
	s_ashr_i32 s9, s38, 31
	s_lshl_b64 s[10:11], s[10:11], 3
	s_mov_b32 s8, s38
	s_add_u32 s10, s36, s10
	s_addc_u32 s11, s37, s11
	s_lshl_b64 s[8:9], s[8:9], 3
	s_add_u32 s34, s10, s8
	s_addc_u32 s35, s11, s9
.LBB103_3:
	s_load_dwordx2 s[36:37], s[4:5], 0x50
	s_cmp_eq_u64 s[42:43], 0
	s_cbranch_scc1 .LBB103_5
; %bb.4:
	s_lshl_b64 s[8:9], s[12:13], 3
	s_add_u32 s8, s42, s8
	s_addc_u32 s9, s43, s9
	s_load_dwordx2 s[8:9], s[8:9], 0x0
	s_waitcnt lgkmcnt(0)
	s_ashr_i32 s11, s36, 31
	s_mov_b32 s10, s36
	s_lshl_b64 s[10:11], s[10:11], 3
	s_add_u32 s28, s8, s10
	s_addc_u32 s29, s9, s11
.LBB103_5:
	s_load_dwordx4 s[56:59], s[4:5], 0x60
	s_load_dwordx4 s[40:43], s[4:5], 0x78
	s_mov_b64 s[60:61], 0
	s_waitcnt lgkmcnt(0)
	s_cmp_eq_u64 s[56:57], 0
	s_cbranch_scc1 .LBB103_7
; %bb.6:
	s_lshl_b64 s[8:9], s[12:13], 3
	s_add_u32 s8, s56, s8
	s_addc_u32 s9, s57, s9
	s_load_dwordx2 s[8:9], s[8:9], 0x0
	s_ashr_i32 s11, s58, 31
	s_mov_b32 s10, s58
	s_lshl_b64 s[10:11], s[10:11], 3
	s_waitcnt lgkmcnt(0)
	s_add_u32 s60, s8, s10
	s_addc_u32 s61, s9, s11
.LBB103_7:
	s_mul_i32 s8, s12, s47
	s_mul_hi_u32 s9, s12, s46
	s_add_i32 s8, s9, s8
	s_mul_i32 s9, s13, s46
	s_add_i32 s9, s8, s9
	s_mul_i32 s8, s12, s46
	s_lshl_b64 s[56:57], s[8:9], 3
	s_add_u32 s46, s44, s56
	s_load_dwordx4 s[52:55], s[4:5], 0x0
	s_addc_u32 s47, s45, s57
	s_lshr_b32 s8, s6, 16
	s_and_b32 s36, s6, 0xffff
	v_bfe_u32 v43, v0, 10, 10
	v_bfe_u32 v44, v0, 20, 10
	s_mul_i32 s58, s8, s36
	v_and_b32_e32 v42, 0x3ff, v0
	v_mul_u32_u24_e32 v1, s36, v43
	v_mul_lo_u32 v0, s58, v44
	v_add3_u32 v41, v1, v42, v0
	s_and_b32 s6, s7, 0xffff
	s_mul_i32 s58, s58, s6
	s_waitcnt lgkmcnt(0)
	s_cmp_lt_i32 s52, 1
	v_cmp_eq_u32_e64 s[6:7], 0, v41
	s_cbranch_scc1 .LBB103_22
; %bb.8:
	s_mul_i32 s8, s12, s51
	s_mul_hi_u32 s9, s12, s50
	s_add_i32 s8, s9, s8
	s_mul_i32 s9, s13, s50
	s_add_i32 s9, s8, s9
	s_mul_i32 s8, s12, s50
	s_lshl_b64 s[8:9], s[8:9], 3
	s_add_u32 s13, s48, s8
	s_addc_u32 s22, s49, s9
	s_add_i32 s23, s52, -1
	s_cmp_lg_u32 s53, 0
	s_cselect_b64 s[10:11], -1, 0
	s_mov_b32 s15, 0
	v_cndmask_b32_e64 v0, 0, 1, s[10:11]
	v_cmp_gt_u32_e64 s[8:9], s53, v41
	s_ashr_i32 s24, s39, 31
	s_mov_b32 s25, s39
	v_mov_b32_e32 v2, 0
	v_cmp_ne_u32_e64 s[10:11], 1, v0
	v_mov_b32_e32 v3, s35
	s_mov_b32 s14, s15
	s_mov_b32 s38, s15
	s_branch .LBB103_11
.LBB103_9:                              ;   in Loop: Header=BB103_11 Depth=1
	s_or_b64 exec, exec, s[18:19]
.LBB103_10:                             ;   in Loop: Header=BB103_11 Depth=1
	s_add_i32 s14, s14, 1
	s_cmp_eq_u32 s14, s52
	s_cbranch_scc1 .LBB103_23
.LBB103_11:                             ; =>This Loop Header: Depth=1
                                        ;     Child Loop BB103_18 Depth 2
	s_cmp_ge_i32 s14, s23
	s_cbranch_scc1 .LBB103_14
; %bb.12:                               ;   in Loop: Header=BB103_11 Depth=1
	s_lshl_b64 s[16:17], s[14:15], 3
	s_add_u32 s16, s13, s16
	s_addc_u32 s17, s22, s17
	global_load_dwordx2 v[0:1], v2, s[16:17]
	s_waitcnt vmcnt(0)
	v_cmp_eq_f64_e32 vcc, 0, v[0:1]
	s_cbranch_vccnz .LBB103_14
; %bb.13:                               ;   in Loop: Header=BB103_11 Depth=1
	s_add_i32 s38, s38, 1
.LBB103_14:                             ;   in Loop: Header=BB103_11 Depth=1
	s_lshl_b64 s[16:17], s[14:15], 3
	s_add_u32 s16, s46, s16
	s_addc_u32 s17, s47, s17
	global_load_dwordx2 v[0:1], v2, s[16:17]
	s_waitcnt vmcnt(0)
	v_cmp_ngt_f64_e32 vcc, 0, v[0:1]
	s_cbranch_vccnz .LBB103_10
; %bb.15:                               ;   in Loop: Header=BB103_11 Depth=1
	s_and_b64 vcc, exec, s[10:11]
	s_cbranch_vccnz .LBB103_20
; %bb.16:                               ;   in Loop: Header=BB103_11 Depth=1
	s_and_saveexec_b64 s[18:19], s[8:9]
	s_cbranch_execz .LBB103_19
; %bb.17:                               ;   in Loop: Header=BB103_11 Depth=1
	s_mov_b64 s[20:21], 0
	v_pk_mov_b32 v[0:1], s[14:15], s[14:15] op_sel:[0,1]
	v_mov_b32_e32 v4, v41
.LBB103_18:                             ;   Parent Loop BB103_11 Depth=1
                                        ; =>  This Inner Loop Header: Depth=2
	v_mad_u64_u32 v[6:7], s[30:31], v4, s25, v[0:1]
	v_mov_b32_e32 v8, v7
	v_mad_u64_u32 v[8:9], s[30:31], v4, s24, v[8:9]
	v_mov_b32_e32 v7, v8
	v_lshlrev_b64 v[6:7], 3, v[6:7]
	v_add_co_u32_e32 v6, vcc, s34, v6
	v_addc_co_u32_e32 v7, vcc, v3, v7, vcc
	flat_load_dwordx2 v[8:9], v[6:7]
	v_add_u32_e32 v4, s58, v4
	v_cmp_le_u32_e32 vcc, s53, v4
	s_or_b64 s[20:21], vcc, s[20:21]
	s_waitcnt vmcnt(0) lgkmcnt(0)
	v_xor_b32_e32 v9, 0x80000000, v9
	flat_store_dwordx2 v[6:7], v[8:9]
	s_andn2_b64 exec, exec, s[20:21]
	s_cbranch_execnz .LBB103_18
.LBB103_19:                             ;   in Loop: Header=BB103_11 Depth=1
	s_or_b64 exec, exec, s[18:19]
	s_waitcnt lgkmcnt(0)
	s_barrier
.LBB103_20:                             ;   in Loop: Header=BB103_11 Depth=1
	s_and_saveexec_b64 s[18:19], s[6:7]
	s_cbranch_execz .LBB103_9
; %bb.21:                               ;   in Loop: Header=BB103_11 Depth=1
	global_load_dwordx2 v[0:1], v2, s[16:17]
	s_waitcnt vmcnt(0)
	v_xor_b32_e32 v1, 0x80000000, v1
	global_store_dwordx2 v2, v[0:1], s[16:17]
	s_branch .LBB103_9
.LBB103_22:
	s_mov_b32 s38, 0
.LBB103_23:
	s_cmp_lt_i32 s38, 1
	s_mov_b64 s[6:7], -1
	s_cbranch_scc0 .LBB103_257
; %bb.24:
	s_mul_i32 s6, s12, s52
	s_lshl_b32 s6, s6, 1
	s_ashr_i32 s7, s6, 31
	s_lshl_b64 s[6:7], s[6:7], 2
	s_add_u32 s6, s42, s6
	s_addc_u32 s7, s43, s7
	s_cmp_lg_u64 s[42:43], 0
	s_cselect_b32 s49, s7, 0
	s_cselect_b32 s48, s6, 0
	s_mov_b64 s[64:65], 0
	s_cmp_lg_u64 s[48:49], 0
	s_barrier
	s_cbranch_scc0 .LBB103_38
; %bb.25:
	s_or_b32 s6, s54, s53
	s_or_b32 s8, s6, s55
	s_cmp_gt_i32 s52, 0
	s_cselect_b64 s[62:63], -1, 0
	s_cmp_lg_u64 s[44:45], 0
	s_cselect_b64 s[6:7], -1, 0
	s_and_b64 s[42:43], s[62:63], s[6:7]
	s_cmp_eq_u32 s8, 0
	s_cbranch_scc1 .LBB103_39
; %bb.26:
	s_mov_b64 s[66:67], -1
	s_mov_b64 s[50:51], 0
	s_and_b64 vcc, exec, s[42:43]
	s_cbranch_vccz .LBB103_117
; %bb.27:
	v_cmp_gt_u32_e32 vcc, s52, v41
	s_barrier
	s_and_saveexec_b64 s[6:7], vcc
	s_cbranch_execz .LBB103_30
; %bb.28:
	s_mov_b64 s[8:9], 0
	v_mov_b32_e32 v1, 0
	v_mov_b32_e32 v2, s49
	;; [unrolled: 1-line block ×3, first 2 shown]
.LBB103_29:                             ; =>This Inner Loop Header: Depth=1
	v_lshlrev_b64 v[4:5], 2, v[0:1]
	v_add_co_u32_e32 v4, vcc, s48, v4
	v_addc_co_u32_e32 v5, vcc, v2, v5, vcc
	global_store_dword v[4:5], v0, off
	v_add_u32_e32 v0, s58, v0
	v_cmp_le_u32_e32 vcc, s52, v0
	s_or_b64 s[8:9], vcc, s[8:9]
	s_andn2_b64 exec, exec, s[8:9]
	s_cbranch_execnz .LBB103_29
.LBB103_30:
	s_or_b64 exec, exec, s[6:7]
	v_or3_b32 v0, v43, v44, v42
	v_cmp_eq_u32_e32 vcc, 0, v0
	s_barrier
	s_and_saveexec_b64 s[6:7], vcc
	s_cbranch_execz .LBB103_101
; %bb.31:
	s_cmpk_lt_i32 s52, 0x2be
	s_cbranch_scc1 .LBB103_40
; %bb.32:
	s_add_u32 s8, s48, 0xaf4
	s_addc_u32 s9, s49, 0
	s_mov_b64 s[10:11], 0x2bd
	s_mov_b32 s13, 0
	v_mov_b32_e32 v4, 0
	v_mov_b32_e32 v5, 0x1000
	s_mov_b64 s[14:15], s[46:47]
	s_branch .LBB103_34
.LBB103_33:                             ;   in Loop: Header=BB103_34 Depth=1
	s_lshl_b64 s[16:17], s[22:23], 3
	s_add_u32 s16, s46, s16
	s_addc_u32 s17, s47, s17
	global_store_dwordx2 v4, v[0:1], s[16:17]
	s_lshl_b64 s[16:17], s[22:23], 2
	s_add_u32 s16, s48, s16
	s_addc_u32 s17, s49, s17
	s_add_u32 s10, s10, 1
	s_addc_u32 s11, s11, 0
	;; [unrolled: 2-line block ×4, first 2 shown]
	s_cmp_eq_u32 s10, s52
	global_store_dword v4, v6, s[16:17]
	s_cbranch_scc1 .LBB103_40
.LBB103_34:                             ; =>This Loop Header: Depth=1
                                        ;     Child Loop BB103_36 Depth 2
	s_mov_b32 s12, s10
	s_lshl_b64 s[16:17], s[12:13], 3
	s_add_u32 s16, s46, s16
	s_addc_u32 s17, s47, s17
	s_lshl_b64 s[18:19], s[12:13], 2
	s_add_u32 s18, s48, s18
	s_addc_u32 s19, s49, s19
	global_load_dwordx2 v[0:1], v4, s[16:17]
	global_load_dword v6, v4, s[18:19]
	s_mov_b64 s[20:21], s[8:9]
	s_mov_b64 s[16:17], s[14:15]
	;; [unrolled: 1-line block ×3, first 2 shown]
	s_branch .LBB103_36
.LBB103_35:                             ;   in Loop: Header=BB103_36 Depth=2
	global_load_dword v7, v4, s[20:21] offset:-2804
	s_add_u32 s30, s20, 0xfffff50c
	s_addc_u32 s31, s21, -1
	s_add_u32 s22, s18, 0xfffffd43
	s_addc_u32 s23, s19, -1
	global_store_dwordx2 v5, v[2:3], s[16:17] offset:1512
	s_add_u32 s16, s16, 0xffffea18
	s_addc_u32 s17, s17, -1
	s_cmpk_lt_i32 s18, 0x57a
	s_mov_b64 s[18:19], s[22:23]
	s_cselect_b64 s[24:25], -1, 0
	s_waitcnt vmcnt(1)
	global_store_dword v4, v7, s[20:21]
	s_mov_b64 s[20:21], s[30:31]
	s_andn2_b64 vcc, exec, s[24:25]
	s_cbranch_vccz .LBB103_33
.LBB103_36:                             ;   Parent Loop BB103_34 Depth=1
                                        ; =>  This Inner Loop Header: Depth=2
	global_load_dwordx2 v[2:3], v4, s[16:17]
	s_mov_b64 s[24:25], -1
	s_waitcnt vmcnt(0)
	v_cmp_nlt_f64_e32 vcc, v[2:3], v[0:1]
	s_cbranch_vccz .LBB103_35
; %bb.37:                               ;   in Loop: Header=BB103_36 Depth=2
                                        ; implicit-def: $sgpr16_sgpr17
                                        ; implicit-def: $sgpr20_sgpr21
	s_mov_b64 s[22:23], s[18:19]
	s_andn2_b64 vcc, exec, s[24:25]
	s_cbranch_vccnz .LBB103_36
	s_branch .LBB103_33
.LBB103_38:
	s_branch .LBB103_233
.LBB103_39:
	s_mov_b64 s[50:51], 0
	s_cbranch_execnz .LBB103_142
	s_branch .LBB103_228
.LBB103_40:
	s_cmpk_lt_i32 s52, 0x12e
	s_cbranch_scc1 .LBB103_49
; %bb.41:
	s_add_u32 s8, s48, 0x4b4
	s_addc_u32 s9, s49, 0
	s_mov_b64 s[10:11], 0x12d
	s_mov_b32 s13, 0
	v_mov_b32_e32 v4, 0
	s_mov_b64 s[14:15], s[46:47]
	s_branch .LBB103_43
.LBB103_42:                             ;   in Loop: Header=BB103_43 Depth=1
	s_lshl_b64 s[18:19], s[16:17], 3
	s_add_u32 s18, s46, s18
	s_addc_u32 s19, s47, s19
	s_lshl_b64 s[16:17], s[16:17], 2
	s_add_u32 s16, s48, s16
	s_addc_u32 s17, s49, s17
	s_add_u32 s10, s10, 1
	s_addc_u32 s11, s11, 0
	;; [unrolled: 2-line block ×4, first 2 shown]
	s_cmp_lg_u32 s10, s52
	global_store_dwordx2 v4, v[0:1], s[18:19]
	global_store_dword v4, v5, s[16:17]
	s_cbranch_scc0 .LBB103_49
.LBB103_43:                             ; =>This Loop Header: Depth=1
                                        ;     Child Loop BB103_45 Depth 2
	s_mov_b32 s12, s10
	s_lshl_b64 s[16:17], s[12:13], 3
	s_add_u32 s16, s46, s16
	s_addc_u32 s17, s47, s17
	s_lshl_b64 s[18:19], s[12:13], 2
	s_add_u32 s18, s48, s18
	s_addc_u32 s19, s49, s19
	global_load_dwordx2 v[0:1], v4, s[16:17]
	global_load_dword v5, v4, s[18:19]
	s_mov_b64 s[18:19], s[14:15]
	s_mov_b64 s[20:21], s[8:9]
	;; [unrolled: 1-line block ×3, first 2 shown]
	s_branch .LBB103_45
.LBB103_44:                             ;   in Loop: Header=BB103_45 Depth=2
	global_load_dword v6, v4, s[20:21] offset:-1204
	s_add_u32 s64, s20, 0xfffffb4c
	s_addc_u32 s65, s21, -1
	s_add_u32 s24, s16, 0xfffffed3
	s_addc_u32 s25, s17, -1
	global_store_dwordx2 v4, v[2:3], s[18:19] offset:2408
	s_add_u32 s18, s18, 0xfffff698
	s_addc_u32 s19, s19, -1
	s_cmpk_lt_i32 s16, 0x25a
	s_mov_b64 s[22:23], 0
	s_mov_b64 s[16:17], s[24:25]
	s_cselect_b64 s[30:31], -1, 0
	s_waitcnt vmcnt(1)
	global_store_dword v4, v6, s[20:21]
	s_mov_b64 s[20:21], s[64:65]
	s_andn2_b64 vcc, exec, s[30:31]
	s_cbranch_vccz .LBB103_47
.LBB103_45:                             ;   Parent Loop BB103_43 Depth=1
                                        ; =>  This Inner Loop Header: Depth=2
	global_load_dwordx2 v[2:3], v4, s[18:19]
	s_mov_b64 s[22:23], -1
	s_waitcnt vmcnt(0)
	v_cmp_nlt_f64_e32 vcc, v[2:3], v[0:1]
	s_cbranch_vccz .LBB103_44
; %bb.46:                               ;   in Loop: Header=BB103_43 Depth=1
                                        ; implicit-def: $sgpr20_sgpr21
                                        ; implicit-def: $sgpr18_sgpr19
                                        ; implicit-def: $sgpr24_sgpr25
.LBB103_47:                             ;   in Loop: Header=BB103_43 Depth=1
	s_andn2_b64 vcc, exec, s[22:23]
	s_cbranch_vccz .LBB103_42
; %bb.48:                               ;   in Loop: Header=BB103_43 Depth=1
	s_bfe_i64 s[16:17], s[24:25], 0x200000
	s_branch .LBB103_42
.LBB103_49:
	s_cmpk_lt_i32 s52, 0x85
	s_cbranch_scc1 .LBB103_58
; %bb.50:
	s_add_u32 s8, s48, 0x210
	s_addc_u32 s9, s49, 0
	s_mov_b64 s[10:11], 0x84
	s_mov_b32 s13, 0
	v_mov_b32_e32 v4, 0
	s_mov_b64 s[14:15], s[46:47]
	s_branch .LBB103_52
.LBB103_51:                             ;   in Loop: Header=BB103_52 Depth=1
	s_lshl_b64 s[18:19], s[16:17], 3
	s_add_u32 s18, s46, s18
	s_addc_u32 s19, s47, s19
	s_lshl_b64 s[16:17], s[16:17], 2
	s_add_u32 s16, s48, s16
	s_addc_u32 s17, s49, s17
	s_add_u32 s10, s10, 1
	s_addc_u32 s11, s11, 0
	;; [unrolled: 2-line block ×4, first 2 shown]
	s_cmp_lg_u32 s10, s52
	global_store_dwordx2 v4, v[0:1], s[18:19]
	global_store_dword v4, v5, s[16:17]
	s_cbranch_scc0 .LBB103_58
.LBB103_52:                             ; =>This Loop Header: Depth=1
                                        ;     Child Loop BB103_54 Depth 2
	s_mov_b32 s12, s10
	s_lshl_b64 s[16:17], s[12:13], 3
	s_add_u32 s16, s46, s16
	s_addc_u32 s17, s47, s17
	s_lshl_b64 s[18:19], s[12:13], 2
	s_add_u32 s18, s48, s18
	s_addc_u32 s19, s49, s19
	global_load_dwordx2 v[0:1], v4, s[16:17]
	global_load_dword v5, v4, s[18:19]
	s_mov_b64 s[18:19], s[14:15]
	s_mov_b64 s[20:21], s[8:9]
	;; [unrolled: 1-line block ×3, first 2 shown]
	s_branch .LBB103_54
.LBB103_53:                             ;   in Loop: Header=BB103_54 Depth=2
	global_load_dword v6, v4, s[20:21] offset:-528
	s_add_u32 s64, s20, 0xfffffdf0
	s_addc_u32 s65, s21, -1
	s_add_u32 s24, s16, 0xffffff7c
	s_addc_u32 s25, s17, -1
	global_store_dwordx2 v4, v[2:3], s[18:19] offset:1056
	s_add_u32 s18, s18, 0xfffffbe0
	s_addc_u32 s19, s19, -1
	s_cmpk_lt_i32 s16, 0x108
	s_mov_b64 s[22:23], 0
	s_mov_b64 s[16:17], s[24:25]
	s_cselect_b64 s[30:31], -1, 0
	s_waitcnt vmcnt(1)
	global_store_dword v4, v6, s[20:21]
	s_mov_b64 s[20:21], s[64:65]
	s_andn2_b64 vcc, exec, s[30:31]
	s_cbranch_vccz .LBB103_56
.LBB103_54:                             ;   Parent Loop BB103_52 Depth=1
                                        ; =>  This Inner Loop Header: Depth=2
	global_load_dwordx2 v[2:3], v4, s[18:19]
	s_mov_b64 s[22:23], -1
	s_waitcnt vmcnt(0)
	v_cmp_nlt_f64_e32 vcc, v[2:3], v[0:1]
	s_cbranch_vccz .LBB103_53
; %bb.55:                               ;   in Loop: Header=BB103_52 Depth=1
                                        ; implicit-def: $sgpr20_sgpr21
                                        ; implicit-def: $sgpr18_sgpr19
                                        ; implicit-def: $sgpr24_sgpr25
.LBB103_56:                             ;   in Loop: Header=BB103_52 Depth=1
	s_andn2_b64 vcc, exec, s[22:23]
	s_cbranch_vccz .LBB103_51
; %bb.57:                               ;   in Loop: Header=BB103_52 Depth=1
	s_bfe_i64 s[16:17], s[24:25], 0x200000
	s_branch .LBB103_51
.LBB103_58:
	s_cmp_lt_i32 s52, 58
	s_cbranch_scc1 .LBB103_67
; %bb.59:
	s_add_u32 s8, s48, 0xe4
	s_addc_u32 s9, s49, 0
	s_mov_b64 s[10:11], 57
	s_mov_b32 s13, 0
	v_mov_b32_e32 v4, 0
	s_mov_b64 s[14:15], s[46:47]
	s_branch .LBB103_61
.LBB103_60:                             ;   in Loop: Header=BB103_61 Depth=1
	s_lshl_b64 s[18:19], s[16:17], 3
	s_add_u32 s18, s46, s18
	s_addc_u32 s19, s47, s19
	s_lshl_b64 s[16:17], s[16:17], 2
	s_add_u32 s16, s48, s16
	s_addc_u32 s17, s49, s17
	s_add_u32 s10, s10, 1
	s_addc_u32 s11, s11, 0
	s_add_u32 s8, s8, 4
	s_addc_u32 s9, s9, 0
	s_add_u32 s14, s14, 8
	s_addc_u32 s15, s15, 0
	s_cmp_lg_u32 s10, s52
	global_store_dwordx2 v4, v[0:1], s[18:19]
	global_store_dword v4, v5, s[16:17]
	s_cbranch_scc0 .LBB103_67
.LBB103_61:                             ; =>This Loop Header: Depth=1
                                        ;     Child Loop BB103_63 Depth 2
	s_mov_b32 s12, s10
	s_lshl_b64 s[16:17], s[12:13], 3
	s_add_u32 s16, s46, s16
	s_addc_u32 s17, s47, s17
	s_lshl_b64 s[18:19], s[12:13], 2
	s_add_u32 s18, s48, s18
	s_addc_u32 s19, s49, s19
	global_load_dwordx2 v[0:1], v4, s[16:17]
	global_load_dword v5, v4, s[18:19]
	s_mov_b64 s[18:19], s[14:15]
	s_mov_b64 s[20:21], s[8:9]
	;; [unrolled: 1-line block ×3, first 2 shown]
	s_branch .LBB103_63
.LBB103_62:                             ;   in Loop: Header=BB103_63 Depth=2
	global_load_dword v6, v4, s[20:21] offset:-228
	s_add_u32 s64, s20, 0xffffff1c
	s_addc_u32 s65, s21, -1
	s_add_u32 s24, s16, 0xffffffc7
	s_addc_u32 s25, s17, -1
	global_store_dwordx2 v4, v[2:3], s[18:19] offset:456
	s_add_u32 s18, s18, 0xfffffe38
	s_addc_u32 s19, s19, -1
	s_cmpk_lt_i32 s16, 0x72
	s_mov_b64 s[22:23], 0
	s_mov_b64 s[16:17], s[24:25]
	s_cselect_b64 s[30:31], -1, 0
	s_waitcnt vmcnt(1)
	global_store_dword v4, v6, s[20:21]
	s_mov_b64 s[20:21], s[64:65]
	s_andn2_b64 vcc, exec, s[30:31]
	s_cbranch_vccz .LBB103_65
.LBB103_63:                             ;   Parent Loop BB103_61 Depth=1
                                        ; =>  This Inner Loop Header: Depth=2
	global_load_dwordx2 v[2:3], v4, s[18:19]
	s_mov_b64 s[22:23], -1
	s_waitcnt vmcnt(0)
	v_cmp_nlt_f64_e32 vcc, v[2:3], v[0:1]
	s_cbranch_vccz .LBB103_62
; %bb.64:                               ;   in Loop: Header=BB103_61 Depth=1
                                        ; implicit-def: $sgpr20_sgpr21
                                        ; implicit-def: $sgpr18_sgpr19
                                        ; implicit-def: $sgpr24_sgpr25
.LBB103_65:                             ;   in Loop: Header=BB103_61 Depth=1
	s_andn2_b64 vcc, exec, s[22:23]
	s_cbranch_vccz .LBB103_60
; %bb.66:                               ;   in Loop: Header=BB103_61 Depth=1
	s_bfe_i64 s[16:17], s[24:25], 0x200000
	s_branch .LBB103_60
.LBB103_67:
	s_cmp_lt_i32 s52, 24
	s_cbranch_scc1 .LBB103_76
; %bb.68:
	s_add_u32 s8, s48, 0x5c
	s_addc_u32 s9, s49, 0
	s_mov_b64 s[10:11], 23
	s_mov_b32 s13, 0
	v_mov_b32_e32 v4, 0
	s_mov_b64 s[14:15], s[46:47]
	s_branch .LBB103_70
.LBB103_69:                             ;   in Loop: Header=BB103_70 Depth=1
	s_lshl_b64 s[18:19], s[16:17], 3
	s_add_u32 s18, s46, s18
	s_addc_u32 s19, s47, s19
	s_lshl_b64 s[16:17], s[16:17], 2
	s_add_u32 s16, s48, s16
	s_addc_u32 s17, s49, s17
	s_add_u32 s10, s10, 1
	s_addc_u32 s11, s11, 0
	;; [unrolled: 2-line block ×4, first 2 shown]
	s_cmp_lg_u32 s10, s52
	global_store_dwordx2 v4, v[0:1], s[18:19]
	global_store_dword v4, v5, s[16:17]
	s_cbranch_scc0 .LBB103_76
.LBB103_70:                             ; =>This Loop Header: Depth=1
                                        ;     Child Loop BB103_72 Depth 2
	s_mov_b32 s12, s10
	s_lshl_b64 s[16:17], s[12:13], 3
	s_add_u32 s16, s46, s16
	s_addc_u32 s17, s47, s17
	s_lshl_b64 s[18:19], s[12:13], 2
	s_add_u32 s18, s48, s18
	s_addc_u32 s19, s49, s19
	global_load_dwordx2 v[0:1], v4, s[16:17]
	global_load_dword v5, v4, s[18:19]
	s_mov_b64 s[18:19], s[14:15]
	s_mov_b64 s[20:21], s[8:9]
	;; [unrolled: 1-line block ×3, first 2 shown]
	s_branch .LBB103_72
.LBB103_71:                             ;   in Loop: Header=BB103_72 Depth=2
	global_load_dword v6, v4, s[20:21] offset:-92
	s_add_u32 s64, s20, 0xffffffa4
	s_addc_u32 s65, s21, -1
	s_add_u32 s24, s16, 0xffffffe9
	s_addc_u32 s25, s17, -1
	global_store_dwordx2 v4, v[2:3], s[18:19] offset:184
	s_add_u32 s18, s18, 0xffffff48
	s_addc_u32 s19, s19, -1
	s_cmp_lt_i32 s16, 46
	s_mov_b64 s[22:23], 0
	s_mov_b64 s[16:17], s[24:25]
	s_cselect_b64 s[30:31], -1, 0
	s_waitcnt vmcnt(1)
	global_store_dword v4, v6, s[20:21]
	s_mov_b64 s[20:21], s[64:65]
	s_andn2_b64 vcc, exec, s[30:31]
	s_cbranch_vccz .LBB103_74
.LBB103_72:                             ;   Parent Loop BB103_70 Depth=1
                                        ; =>  This Inner Loop Header: Depth=2
	global_load_dwordx2 v[2:3], v4, s[18:19]
	s_mov_b64 s[22:23], -1
	s_waitcnt vmcnt(0)
	v_cmp_nlt_f64_e32 vcc, v[2:3], v[0:1]
	s_cbranch_vccz .LBB103_71
; %bb.73:                               ;   in Loop: Header=BB103_70 Depth=1
                                        ; implicit-def: $sgpr20_sgpr21
                                        ; implicit-def: $sgpr18_sgpr19
                                        ; implicit-def: $sgpr24_sgpr25
.LBB103_74:                             ;   in Loop: Header=BB103_70 Depth=1
	s_andn2_b64 vcc, exec, s[22:23]
	s_cbranch_vccz .LBB103_69
; %bb.75:                               ;   in Loop: Header=BB103_70 Depth=1
	s_bfe_i64 s[16:17], s[24:25], 0x200000
	s_branch .LBB103_69
.LBB103_76:
	s_cmp_lt_i32 s52, 11
	s_cbranch_scc1 .LBB103_85
; %bb.77:
	s_add_u32 s8, s48, 40
	s_addc_u32 s9, s49, 0
	s_mov_b64 s[10:11], 10
	s_mov_b32 s13, 0
	v_mov_b32_e32 v4, 0
	s_mov_b64 s[14:15], s[46:47]
	s_branch .LBB103_79
.LBB103_78:                             ;   in Loop: Header=BB103_79 Depth=1
	s_lshl_b64 s[18:19], s[16:17], 3
	s_add_u32 s18, s46, s18
	s_addc_u32 s19, s47, s19
	s_lshl_b64 s[16:17], s[16:17], 2
	s_add_u32 s16, s48, s16
	s_addc_u32 s17, s49, s17
	s_add_u32 s10, s10, 1
	s_addc_u32 s11, s11, 0
	;; [unrolled: 2-line block ×4, first 2 shown]
	s_cmp_lg_u32 s10, s52
	global_store_dwordx2 v4, v[0:1], s[18:19]
	global_store_dword v4, v5, s[16:17]
	s_cbranch_scc0 .LBB103_85
.LBB103_79:                             ; =>This Loop Header: Depth=1
                                        ;     Child Loop BB103_81 Depth 2
	s_mov_b32 s12, s10
	s_lshl_b64 s[16:17], s[12:13], 3
	s_add_u32 s16, s46, s16
	s_addc_u32 s17, s47, s17
	s_lshl_b64 s[18:19], s[12:13], 2
	s_add_u32 s18, s48, s18
	s_addc_u32 s19, s49, s19
	global_load_dwordx2 v[0:1], v4, s[16:17]
	global_load_dword v5, v4, s[18:19]
	s_mov_b64 s[18:19], s[14:15]
	s_mov_b64 s[20:21], s[8:9]
	;; [unrolled: 1-line block ×3, first 2 shown]
	s_branch .LBB103_81
.LBB103_80:                             ;   in Loop: Header=BB103_81 Depth=2
	global_load_dword v6, v4, s[20:21] offset:-40
	s_add_u32 s64, s20, 0xffffffd8
	s_addc_u32 s65, s21, -1
	s_add_u32 s24, s16, -10
	s_addc_u32 s25, s17, -1
	global_store_dwordx2 v4, v[2:3], s[18:19] offset:80
	s_add_u32 s18, s18, 0xffffffb0
	s_addc_u32 s19, s19, -1
	s_cmp_lt_i32 s16, 20
	s_mov_b64 s[22:23], 0
	s_mov_b64 s[16:17], s[24:25]
	s_cselect_b64 s[30:31], -1, 0
	s_waitcnt vmcnt(1)
	global_store_dword v4, v6, s[20:21]
	s_mov_b64 s[20:21], s[64:65]
	s_andn2_b64 vcc, exec, s[30:31]
	s_cbranch_vccz .LBB103_83
.LBB103_81:                             ;   Parent Loop BB103_79 Depth=1
                                        ; =>  This Inner Loop Header: Depth=2
	global_load_dwordx2 v[2:3], v4, s[18:19]
	s_mov_b64 s[22:23], -1
	s_waitcnt vmcnt(0)
	v_cmp_nlt_f64_e32 vcc, v[2:3], v[0:1]
	s_cbranch_vccz .LBB103_80
; %bb.82:                               ;   in Loop: Header=BB103_79 Depth=1
                                        ; implicit-def: $sgpr20_sgpr21
                                        ; implicit-def: $sgpr18_sgpr19
                                        ; implicit-def: $sgpr24_sgpr25
.LBB103_83:                             ;   in Loop: Header=BB103_79 Depth=1
	s_andn2_b64 vcc, exec, s[22:23]
	s_cbranch_vccz .LBB103_78
; %bb.84:                               ;   in Loop: Header=BB103_79 Depth=1
	s_bfe_i64 s[16:17], s[24:25], 0x200000
	s_branch .LBB103_78
.LBB103_85:
	s_cmp_lt_i32 s52, 5
	s_cbranch_scc1 .LBB103_94
; %bb.86:
	s_add_u32 s8, s48, 16
	s_addc_u32 s9, s49, 0
	s_add_u32 s10, s56, s44
	s_addc_u32 s11, s57, s45
	;; [unrolled: 2-line block ×3, first 2 shown]
	s_mov_b64 s[12:13], 4
	s_mov_b32 s15, 0
	v_mov_b32_e32 v4, 0
	s_branch .LBB103_88
.LBB103_87:                             ;   in Loop: Header=BB103_88 Depth=1
	s_lshl_b64 s[18:19], s[16:17], 3
	s_add_u32 s18, s46, s18
	s_addc_u32 s19, s47, s19
	s_lshl_b64 s[16:17], s[16:17], 2
	s_add_u32 s16, s48, s16
	s_addc_u32 s17, s49, s17
	s_add_u32 s12, s12, 1
	s_addc_u32 s13, s13, 0
	;; [unrolled: 2-line block ×4, first 2 shown]
	s_cmp_lg_u32 s12, s52
	global_store_dwordx2 v4, v[0:1], s[18:19]
	global_store_dword v4, v5, s[16:17]
	s_cbranch_scc0 .LBB103_94
.LBB103_88:                             ; =>This Loop Header: Depth=1
                                        ;     Child Loop BB103_90 Depth 2
	s_mov_b32 s14, s12
	s_lshl_b64 s[16:17], s[14:15], 3
	s_add_u32 s16, s46, s16
	s_addc_u32 s17, s47, s17
	s_lshl_b64 s[18:19], s[14:15], 2
	s_add_u32 s18, s48, s18
	s_addc_u32 s19, s49, s19
	global_load_dwordx2 v[0:1], v4, s[16:17]
	global_load_dword v5, v4, s[18:19]
	s_mov_b64 s[20:21], s[10:11]
	s_mov_b64 s[18:19], s[8:9]
	;; [unrolled: 1-line block ×3, first 2 shown]
	s_branch .LBB103_90
.LBB103_89:                             ;   in Loop: Header=BB103_90 Depth=2
	global_load_dword v6, v4, s[18:19] offset:-16
	s_mov_b64 s[22:23], 0
	global_store_dwordx2 v4, v[2:3], s[20:21]
	s_add_u32 s20, s18, -16
	s_addc_u32 s21, s19, -1
	s_add_u32 s24, s16, -4
	s_addc_u32 s25, s17, -1
	s_cmp_lt_i32 s16, 8
	s_mov_b64 s[16:17], s[24:25]
	s_cselect_b64 s[64:65], -1, 0
	s_waitcnt vmcnt(1)
	global_store_dword v4, v6, s[18:19]
	s_mov_b64 s[18:19], s[20:21]
	s_mov_b64 s[20:21], s[30:31]
	s_andn2_b64 vcc, exec, s[64:65]
	s_cbranch_vccz .LBB103_92
.LBB103_90:                             ;   Parent Loop BB103_88 Depth=1
                                        ; =>  This Inner Loop Header: Depth=2
	global_load_dwordx2 v[2:3], v4, s[20:21] offset:-32
	s_add_u32 s30, s20, 0xffffffe0
	s_addc_u32 s31, s21, -1
	s_mov_b64 s[22:23], -1
	s_waitcnt vmcnt(0)
	v_cmp_nlt_f64_e32 vcc, v[2:3], v[0:1]
	s_cbranch_vccz .LBB103_89
; %bb.91:                               ;   in Loop: Header=BB103_88 Depth=1
                                        ; implicit-def: $sgpr18_sgpr19
                                        ; implicit-def: $sgpr20_sgpr21
                                        ; implicit-def: $sgpr24_sgpr25
.LBB103_92:                             ;   in Loop: Header=BB103_88 Depth=1
	s_andn2_b64 vcc, exec, s[22:23]
	s_cbranch_vccz .LBB103_87
; %bb.93:                               ;   in Loop: Header=BB103_88 Depth=1
	s_bfe_i64 s[16:17], s[24:25], 0x200000
	s_branch .LBB103_87
.LBB103_94:
	s_cmp_lt_i32 s52, 2
	s_cbranch_scc1 .LBB103_101
; %bb.95:
	s_add_u32 s8, s48, 4
	s_addc_u32 s9, s49, 0
	s_add_u32 s10, s56, s44
	s_addc_u32 s11, s57, s45
	;; [unrolled: 2-line block ×3, first 2 shown]
	s_mov_b64 s[12:13], 1
	s_mov_b32 s15, 0
	v_mov_b32_e32 v4, 0
	s_branch .LBB103_97
.LBB103_96:                             ;   in Loop: Header=BB103_97 Depth=1
	s_lshl_b64 s[16:17], s[22:23], 3
	s_add_u32 s16, s46, s16
	s_addc_u32 s17, s47, s17
	global_store_dwordx2 v4, v[0:1], s[16:17]
	s_lshl_b64 s[16:17], s[22:23], 2
	s_add_u32 s16, s48, s16
	s_addc_u32 s17, s49, s17
	s_add_u32 s12, s12, 1
	s_addc_u32 s13, s13, 0
	;; [unrolled: 2-line block ×4, first 2 shown]
	s_cmp_eq_u32 s12, s52
	global_store_dword v4, v5, s[16:17]
	s_cbranch_scc1 .LBB103_101
.LBB103_97:                             ; =>This Loop Header: Depth=1
                                        ;     Child Loop BB103_99 Depth 2
	s_mov_b32 s14, s12
	s_lshl_b64 s[16:17], s[14:15], 3
	s_add_u32 s16, s46, s16
	s_addc_u32 s17, s47, s17
	s_lshl_b64 s[18:19], s[14:15], 2
	s_add_u32 s18, s48, s18
	s_addc_u32 s19, s49, s19
	global_load_dwordx2 v[0:1], v4, s[16:17]
	global_load_dword v5, v4, s[18:19]
	s_mov_b64 s[20:21], s[10:11]
	s_mov_b64 s[16:17], s[8:9]
	;; [unrolled: 1-line block ×3, first 2 shown]
	s_branch .LBB103_99
.LBB103_98:                             ;   in Loop: Header=BB103_99 Depth=2
	global_load_dword v6, v4, s[16:17] offset:-4
	s_mov_b64 s[22:23], 0
	global_store_dwordx2 v4, v[2:3], s[20:21]
	s_add_u32 s20, s16, -4
	s_addc_u32 s21, s17, -1
	s_add_u32 s30, s18, -1
	s_addc_u32 s31, s19, -1
	s_cmp_lt_i32 s18, 2
	s_mov_b64 s[18:19], s[30:31]
	s_cselect_b64 s[30:31], -1, 0
	s_waitcnt vmcnt(1)
	global_store_dword v4, v6, s[16:17]
	s_mov_b64 s[16:17], s[20:21]
	s_mov_b64 s[20:21], s[24:25]
	s_andn2_b64 vcc, exec, s[30:31]
	s_cbranch_vccz .LBB103_96
.LBB103_99:                             ;   Parent Loop BB103_97 Depth=1
                                        ; =>  This Inner Loop Header: Depth=2
	global_load_dwordx2 v[2:3], v4, s[20:21] offset:-8
	s_add_u32 s24, s20, -8
	s_addc_u32 s25, s21, -1
	s_mov_b64 s[30:31], -1
	s_waitcnt vmcnt(0)
	v_cmp_nlt_f64_e32 vcc, v[2:3], v[0:1]
	s_cbranch_vccz .LBB103_98
; %bb.100:                              ;   in Loop: Header=BB103_99 Depth=2
                                        ; implicit-def: $sgpr16_sgpr17
                                        ; implicit-def: $sgpr20_sgpr21
	s_mov_b64 s[22:23], s[18:19]
	s_andn2_b64 vcc, exec, s[30:31]
	s_cbranch_vccnz .LBB103_99
	s_branch .LBB103_96
.LBB103_101:
	s_or_b64 exec, exec, s[6:7]
	s_cmp_lt_i32 s52, 2
	s_cselect_b64 s[10:11], -1, 0
	s_mov_b64 s[66:67], 0
	s_and_b64 vcc, exec, s[10:11]
	s_barrier
	s_cbranch_vccnz .LBB103_109
; %bb.102:
	s_add_i32 s20, s52, -1
	v_cmp_gt_u32_e32 vcc, s20, v41
	s_mov_b64 s[10:11], -1
	s_mov_b64 s[6:7], 0
	s_and_saveexec_b64 s[8:9], vcc
	s_cbranch_execz .LBB103_111
; %bb.103:
	s_add_u32 s21, s46, 8
	s_addc_u32 s22, s47, 0
	s_mov_b64 s[10:11], 0
	v_mov_b32_e32 v1, 0
	v_mov_b32_e32 v4, s47
	;; [unrolled: 1-line block ×3, first 2 shown]
                                        ; implicit-def: $sgpr12_sgpr13
	s_branch .LBB103_105
.LBB103_104:                            ;   in Loop: Header=BB103_105 Depth=1
	s_or_b64 exec, exec, s[18:19]
	s_xor_b64 s[14:15], s[14:15], -1
	s_and_b64 s[6:7], exec, s[6:7]
	s_or_b64 s[10:11], s[6:7], s[10:11]
	s_andn2_b64 s[6:7], s[12:13], exec
	s_and_b64 s[12:13], s[14:15], exec
	s_or_b64 s[12:13], s[6:7], s[12:13]
	s_andn2_b64 exec, exec, s[10:11]
	s_cbranch_execz .LBB103_110
.LBB103_105:                            ; =>This Inner Loop Header: Depth=1
	v_lshlrev_b64 v[2:3], 3, v[0:1]
	v_add_co_u32_e32 v2, vcc, s46, v2
	v_addc_co_u32_e32 v3, vcc, v4, v3, vcc
	global_load_dwordx2 v[2:3], v[2:3], off
                                        ; implicit-def: $sgpr14_sgpr15
	s_waitcnt vmcnt(0)
	v_cmp_u_f64_e64 s[16:17], v[2:3], v[2:3]
	v_cmp_o_f64_e32 vcc, v[2:3], v[2:3]
	s_and_saveexec_b64 s[18:19], vcc
	s_cbranch_execz .LBB103_107
; %bb.106:                              ;   in Loop: Header=BB103_105 Depth=1
	v_ashrrev_i32_e32 v7, 31, v0
	v_mov_b32_e32 v6, v0
	v_lshlrev_b64 v[6:7], 3, v[6:7]
	v_mov_b32_e32 v5, s22
	v_add_co_u32_e32 v6, vcc, s21, v6
	v_addc_co_u32_e32 v7, vcc, v5, v7, vcc
	global_load_dwordx2 v[6:7], v[6:7], off
	s_andn2_b64 s[16:17], s[16:17], exec
	s_mov_b64 s[14:15], -1
	s_waitcnt vmcnt(0)
	v_cmp_u_f64_e32 vcc, v[6:7], v[6:7]
	v_cmp_ge_f64_e64 s[6:7], v[2:3], v[6:7]
	s_or_b64 s[6:7], vcc, s[6:7]
	s_and_b64 s[6:7], s[6:7], exec
	s_or_b64 s[16:17], s[16:17], s[6:7]
.LBB103_107:                            ;   in Loop: Header=BB103_105 Depth=1
	s_or_b64 exec, exec, s[18:19]
	s_mov_b64 s[6:7], -1
	s_and_saveexec_b64 s[18:19], s[16:17]
	s_cbranch_execz .LBB103_104
; %bb.108:                              ;   in Loop: Header=BB103_105 Depth=1
	v_add_u32_e32 v0, s58, v0
	v_cmp_le_u32_e32 vcc, s20, v0
	s_andn2_b64 s[14:15], s[14:15], exec
	s_orn2_b64 s[6:7], vcc, exec
	s_branch .LBB103_104
.LBB103_109:
	s_mov_b64 s[6:7], 0
	s_branch .LBB103_112
.LBB103_110:
	s_or_b64 exec, exec, s[10:11]
	s_mov_b64 s[6:7], exec
	s_orn2_b64 s[10:11], s[12:13], exec
.LBB103_111:
	s_or_b64 exec, exec, s[8:9]
.LBB103_112:
	s_and_saveexec_b64 s[8:9], s[10:11]
	s_cbranch_execz .LBB103_114
; %bb.113:
	s_mov_b64 s[66:67], exec
	s_barrier
	s_andn2_b64 s[6:7], s[6:7], exec
.LBB103_114:
	s_or_b64 exec, exec, s[8:9]
	s_mov_b64 s[64:65], 0
	s_and_saveexec_b64 s[68:69], s[6:7]
	s_cbranch_execz .LBB103_116
; %bb.115:
	s_add_u32 s8, s4, 0x90
	s_addc_u32 s9, s5, 0
	s_getpc_b64 s[6:7]
	s_add_u32 s6, s6, __PRETTY_FUNCTION__._ZN9rocsolver6v33100L21shell_sort_descendingIdiEEvT0_PT_PS2_@rel32@lo+4
	s_addc_u32 s7, s7, __PRETTY_FUNCTION__._ZN9rocsolver6v33100L21shell_sort_descendingIdiEEvT0_PT_PS2_@rel32@hi+12
	v_mov_b32_e32 v0, s6
	v_mov_b32_e32 v1, s7
	s_getpc_b64 s[10:11]
	s_add_u32 s10, s10, __assert_fail@rel32@lo+4
	s_addc_u32 s11, s11, __assert_fail@rel32@hi+12
	s_mov_b64 s[64:65], s[4:5]
	s_swappc_b64 s[30:31], s[10:11]
	s_mov_b64 s[4:5], s[64:65]
	s_mov_b64 s[64:65], exec
.LBB103_116:
	s_or_b64 exec, exec, s[68:69]
.LBB103_117:
	s_and_saveexec_b64 s[20:21], s[66:67]
	s_cbranch_execz .LBB103_141
; %bb.118:
	s_andn2_b64 vcc, exec, s[62:63]
	s_barrier
	s_cbranch_vccnz .LBB103_140
; %bb.119:
	s_cmp_gt_i32 s53, 0
	s_cselect_b64 s[14:15], -1, 0
	s_ashr_i32 s33, s39, 31
	s_cmp_gt_i32 s54, 0
	s_cselect_b64 s[16:17], -1, 0
	s_cmp_gt_i32 s55, 0
	v_cndmask_b32_e64 v0, 0, 1, s[14:15]
	s_cselect_b64 s[18:19], -1, 0
	v_cmp_ne_u32_e64 s[14:15], 1, v0
	v_cndmask_b32_e64 v0, 0, 1, s[16:17]
	s_mov_b32 s23, 0
	v_cmp_ne_u32_e64 s[16:17], 1, v0
	v_cndmask_b32_e64 v0, 0, 1, s[18:19]
	v_cmp_eq_u32_e64 s[6:7], 0, v41
	v_cmp_gt_u32_e64 s[8:9], s53, v41
	s_mov_b32 s72, s39
	v_cmp_gt_u32_e64 s[10:11], s54, v41
	s_mov_b32 s73, s37
	v_cmp_gt_u32_e64 s[12:13], s55, v41
	s_ashr_i32 s74, s59, 31
	s_mov_b32 s75, s59
	v_mov_b32_e32 v1, 0
	v_cmp_ne_u32_e64 s[18:19], 1, v0
	s_mov_b32 s22, s23
	s_branch .LBB103_121
.LBB103_120:                            ;   in Loop: Header=BB103_121 Depth=1
	s_add_i32 s22, s22, 1
	s_cmp_eq_u32 s22, s52
	s_cbranch_scc1 .LBB103_140
.LBB103_121:                            ; =>This Loop Header: Depth=1
                                        ;     Child Loop BB103_124 Depth 2
                                        ;       Child Loop BB103_129 Depth 3
                                        ;       Child Loop BB103_134 Depth 3
	;; [unrolled: 1-line block ×3, first 2 shown]
	s_lshl_b64 s[24:25], s[22:23], 2
	s_add_u32 s24, s48, s24
	s_addc_u32 s25, s49, s25
	global_load_dword v0, v1, s[24:25]
	s_waitcnt vmcnt(0)
	v_cmp_eq_u32_e32 vcc, s22, v0
	v_readfirstlane_b32 s30, v0
	s_cbranch_vccz .LBB103_124
	s_branch .LBB103_120
.LBB103_122:                            ;   in Loop: Header=BB103_124 Depth=2
	s_or_b64 exec, exec, s[62:63]
	s_waitcnt lgkmcnt(0)
	s_barrier
.LBB103_123:                            ;   in Loop: Header=BB103_124 Depth=2
	global_load_dword v0, v1, s[24:25]
	s_waitcnt vmcnt(0)
	v_cmp_ne_u32_e32 vcc, s22, v0
	v_readfirstlane_b32 s30, v0
	s_cbranch_vccz .LBB103_120
.LBB103_124:                            ;   Parent Loop BB103_121 Depth=1
                                        ; =>  This Loop Header: Depth=2
                                        ;       Child Loop BB103_129 Depth 3
                                        ;       Child Loop BB103_134 Depth 3
	;; [unrolled: 1-line block ×3, first 2 shown]
	s_ashr_i32 s31, s30, 31
	s_lshl_b64 s[50:51], s[30:31], 2
	s_add_u32 s62, s48, s50
	s_addc_u32 s63, s49, s51
	global_load_dword v0, v1, s[62:63]
	s_barrier
	s_waitcnt vmcnt(0)
	v_readfirstlane_b32 s50, v0
	s_and_saveexec_b64 s[66:67], s[6:7]
	s_cbranch_execz .LBB103_126
; %bb.125:                              ;   in Loop: Header=BB103_124 Depth=2
	v_mov_b32_e32 v0, s30
	global_store_dword v1, v0, s[62:63]
	v_mov_b32_e32 v0, s50
	global_store_dword v1, v0, s[24:25]
.LBB103_126:                            ;   in Loop: Header=BB103_124 Depth=2
	s_or_b64 exec, exec, s[66:67]
	s_and_b64 vcc, exec, s[14:15]
	s_barrier
	s_cbranch_vccnz .LBB103_131
; %bb.127:                              ;   in Loop: Header=BB103_124 Depth=2
	s_and_saveexec_b64 s[62:63], s[8:9]
	s_cbranch_execz .LBB103_130
; %bb.128:                              ;   in Loop: Header=BB103_124 Depth=2
	s_ashr_i32 s51, s50, 31
	s_mov_b64 s[66:67], 0
	s_lshl_b64 s[68:69], s[30:31], 3
	s_lshl_b64 s[70:71], s[50:51], 3
	v_mov_b32_e32 v0, v41
.LBB103_129:                            ;   Parent Loop BB103_121 Depth=1
                                        ;     Parent Loop BB103_124 Depth=2
                                        ; =>    This Inner Loop Header: Depth=3
	v_mad_u64_u32 v[2:3], s[76:77], v0, s72, 0
	v_mov_b32_e32 v4, v3
	v_mad_u64_u32 v[4:5], s[76:77], v0, s33, v[4:5]
	v_mov_b32_e32 v3, v4
	v_lshlrev_b64 v[2:3], 3, v[2:3]
	v_mov_b32_e32 v6, s35
	v_add_co_u32_e32 v4, vcc, s34, v2
	v_addc_co_u32_e32 v5, vcc, v6, v3, vcc
	v_mov_b32_e32 v7, s69
	v_add_co_u32_e32 v2, vcc, s68, v4
	v_addc_co_u32_e32 v3, vcc, v5, v7, vcc
	;; [unrolled: 3-line block ×3, first 2 shown]
	flat_load_dwordx2 v[6:7], v[4:5]
	flat_load_dwordx2 v[8:9], v[2:3]
	v_add_u32_e32 v0, s58, v0
	v_cmp_le_u32_e32 vcc, s53, v0
	s_or_b64 s[66:67], vcc, s[66:67]
	s_waitcnt vmcnt(0) lgkmcnt(0)
	flat_store_dwordx2 v[2:3], v[6:7]
	flat_store_dwordx2 v[4:5], v[8:9]
	s_andn2_b64 exec, exec, s[66:67]
	s_cbranch_execnz .LBB103_129
.LBB103_130:                            ;   in Loop: Header=BB103_124 Depth=2
	s_or_b64 exec, exec, s[62:63]
	s_waitcnt lgkmcnt(0)
	s_barrier
.LBB103_131:                            ;   in Loop: Header=BB103_124 Depth=2
	s_and_b64 vcc, exec, s[16:17]
	s_cbranch_vccnz .LBB103_136
; %bb.132:                              ;   in Loop: Header=BB103_124 Depth=2
	s_and_saveexec_b64 s[62:63], s[10:11]
	s_cbranch_execz .LBB103_135
; %bb.133:                              ;   in Loop: Header=BB103_124 Depth=2
	s_mul_hi_i32 s67, s30, s73
	s_mul_i32 s66, s30, s73
	s_lshl_b64 s[66:67], s[66:67], 3
	s_add_u32 s51, s28, s66
	s_addc_u32 s69, s29, s67
	s_mul_hi_i32 s67, s50, s73
	s_mul_i32 s66, s50, s73
	s_lshl_b64 s[66:67], s[66:67], 3
	s_add_u32 s68, s28, s66
	s_addc_u32 s70, s29, s67
	s_mov_b64 s[66:67], 0
	v_mov_b32_e32 v2, s69
	v_mov_b32_e32 v3, s70
	;; [unrolled: 1-line block ×3, first 2 shown]
.LBB103_134:                            ;   Parent Loop BB103_121 Depth=1
                                        ;     Parent Loop BB103_124 Depth=2
                                        ; =>    This Inner Loop Header: Depth=3
	v_lshlrev_b64 v[4:5], 3, v[0:1]
	v_add_co_u32_e32 v6, vcc, s51, v4
	v_addc_co_u32_e32 v7, vcc, v2, v5, vcc
	v_add_co_u32_e32 v4, vcc, s68, v4
	v_addc_co_u32_e32 v5, vcc, v3, v5, vcc
	flat_load_dwordx2 v[8:9], v[4:5]
	flat_load_dwordx2 v[10:11], v[6:7]
	v_add_u32_e32 v0, s58, v0
	v_cmp_le_u32_e32 vcc, s54, v0
	s_or_b64 s[66:67], vcc, s[66:67]
	s_waitcnt vmcnt(0) lgkmcnt(0)
	flat_store_dwordx2 v[6:7], v[8:9]
	flat_store_dwordx2 v[4:5], v[10:11]
	s_andn2_b64 exec, exec, s[66:67]
	s_cbranch_execnz .LBB103_134
.LBB103_135:                            ;   in Loop: Header=BB103_124 Depth=2
	s_or_b64 exec, exec, s[62:63]
	s_waitcnt lgkmcnt(0)
	s_barrier
.LBB103_136:                            ;   in Loop: Header=BB103_124 Depth=2
	s_and_b64 vcc, exec, s[18:19]
	s_cbranch_vccnz .LBB103_123
; %bb.137:                              ;   in Loop: Header=BB103_124 Depth=2
	s_and_saveexec_b64 s[62:63], s[12:13]
	s_cbranch_execz .LBB103_122
; %bb.138:                              ;   in Loop: Header=BB103_124 Depth=2
	s_ashr_i32 s51, s50, 31
	s_mov_b64 s[66:67], 0
	s_lshl_b64 s[50:51], s[50:51], 3
	v_mov_b32_e32 v0, v41
.LBB103_139:                            ;   Parent Loop BB103_121 Depth=1
                                        ;     Parent Loop BB103_124 Depth=2
                                        ; =>    This Inner Loop Header: Depth=3
	v_mad_u64_u32 v[2:3], s[68:69], v0, s75, 0
	v_mov_b32_e32 v4, v3
	v_mad_u64_u32 v[4:5], s[70:71], v0, s74, v[4:5]
	v_mov_b32_e32 v3, v4
	v_lshlrev_b64 v[2:3], 3, v[2:3]
	v_mov_b32_e32 v6, s61
	v_add_co_u32_e32 v4, vcc, s60, v2
	s_lshl_b64 s[68:69], s[30:31], 3
	v_addc_co_u32_e32 v5, vcc, v6, v3, vcc
	v_mov_b32_e32 v8, s69
	v_add_co_u32_e32 v2, vcc, s68, v4
	v_addc_co_u32_e32 v3, vcc, v5, v8, vcc
	v_mov_b32_e32 v7, s51
	v_add_co_u32_e32 v4, vcc, s50, v4
	v_addc_co_u32_e32 v5, vcc, v5, v7, vcc
	flat_load_dwordx2 v[6:7], v[4:5]
	flat_load_dwordx2 v[8:9], v[2:3]
	v_add_u32_e32 v0, s58, v0
	v_cmp_le_u32_e32 vcc, s55, v0
	s_or_b64 s[66:67], vcc, s[66:67]
	s_waitcnt vmcnt(0) lgkmcnt(0)
	flat_store_dwordx2 v[2:3], v[6:7]
	flat_store_dwordx2 v[4:5], v[8:9]
	s_andn2_b64 exec, exec, s[66:67]
	s_cbranch_execnz .LBB103_139
	s_branch .LBB103_122
.LBB103_140:
	s_mov_b64 s[50:51], exec
.LBB103_141:
	s_or_b64 exec, exec, s[20:21]
	s_branch .LBB103_228
.LBB103_142:
	s_mov_b64 s[50:51], -1
	s_and_b64 vcc, exec, s[42:43]
	s_cbranch_vccz .LBB103_228
; %bb.143:
	v_or3_b32 v0, v43, v44, v42
	v_cmp_eq_u32_e32 vcc, 0, v0
	s_barrier
	s_barrier
	s_and_saveexec_b64 s[6:7], vcc
	s_cbranch_execz .LBB103_212
; %bb.144:
	s_cmpk_lt_u32 s52, 0x2be
	s_cbranch_scc1 .LBB103_151
; %bb.145:
	s_mov_b64 s[8:9], 0x2bd
	s_mov_b32 s11, 0
	v_mov_b32_e32 v4, 0
	v_mov_b32_e32 v5, 0x1000
	s_mov_b64 s[12:13], s[46:47]
	s_branch .LBB103_147
.LBB103_146:                            ;   in Loop: Header=BB103_147 Depth=1
	s_lshl_b64 s[14:15], s[18:19], 3
	s_add_u32 s14, s46, s14
	s_addc_u32 s15, s47, s15
	s_add_u32 s8, s8, 1
	s_addc_u32 s9, s9, 0
	s_add_u32 s12, s12, 8
	s_addc_u32 s13, s13, 0
	s_cmp_eq_u32 s8, s52
	global_store_dwordx2 v4, v[0:1], s[14:15]
	s_cbranch_scc1 .LBB103_151
.LBB103_147:                            ; =>This Loop Header: Depth=1
                                        ;     Child Loop BB103_149 Depth 2
	s_mov_b32 s10, s8
	s_lshl_b64 s[14:15], s[10:11], 3
	s_add_u32 s14, s46, s14
	s_addc_u32 s15, s47, s15
	global_load_dwordx2 v[0:1], v4, s[14:15]
	s_mov_b64 s[14:15], s[12:13]
	s_mov_b64 s[16:17], s[8:9]
	s_branch .LBB103_149
.LBB103_148:                            ;   in Loop: Header=BB103_149 Depth=2
	s_add_u32 s18, s16, 0xfffffd43
	s_addc_u32 s19, s17, -1
	global_store_dwordx2 v5, v[2:3], s[14:15] offset:1512
	s_add_u32 s14, s14, 0xffffea18
	s_addc_u32 s15, s15, -1
	s_cmpk_lt_i32 s16, 0x57a
	s_cselect_b64 s[20:21], -1, 0
	s_mov_b64 s[16:17], s[18:19]
	s_andn2_b64 vcc, exec, s[20:21]
	s_cbranch_vccz .LBB103_146
.LBB103_149:                            ;   Parent Loop BB103_147 Depth=1
                                        ; =>  This Inner Loop Header: Depth=2
	global_load_dwordx2 v[2:3], v4, s[14:15]
	s_mov_b64 s[20:21], -1
	s_waitcnt vmcnt(0)
	v_cmp_nlt_f64_e32 vcc, v[2:3], v[0:1]
	s_cbranch_vccz .LBB103_148
; %bb.150:                              ;   in Loop: Header=BB103_149 Depth=2
                                        ; implicit-def: $sgpr14_sgpr15
	s_mov_b64 s[18:19], s[16:17]
	s_andn2_b64 vcc, exec, s[20:21]
	s_cbranch_vccnz .LBB103_149
	s_branch .LBB103_146
.LBB103_151:
	s_cmpk_lt_i32 s52, 0x12e
	s_cbranch_scc1 .LBB103_160
; %bb.152:
	s_mov_b64 s[8:9], 0x12d
	s_mov_b32 s11, 0
	v_mov_b32_e32 v4, 0
	s_mov_b64 s[12:13], s[46:47]
	s_branch .LBB103_154
.LBB103_153:                            ;   in Loop: Header=BB103_154 Depth=1
	s_lshl_b64 s[14:15], s[14:15], 3
	s_add_u32 s14, s46, s14
	s_addc_u32 s15, s47, s15
	s_add_u32 s8, s8, 1
	s_addc_u32 s9, s9, 0
	;; [unrolled: 2-line block ×3, first 2 shown]
	s_cmp_lg_u32 s8, s52
	global_store_dwordx2 v4, v[0:1], s[14:15]
	s_cbranch_scc0 .LBB103_160
.LBB103_154:                            ; =>This Loop Header: Depth=1
                                        ;     Child Loop BB103_156 Depth 2
	s_mov_b32 s10, s8
	s_lshl_b64 s[14:15], s[10:11], 3
	s_add_u32 s14, s46, s14
	s_addc_u32 s15, s47, s15
	global_load_dwordx2 v[0:1], v4, s[14:15]
	s_mov_b64 s[16:17], s[12:13]
	s_mov_b64 s[14:15], s[8:9]
	s_branch .LBB103_156
.LBB103_155:                            ;   in Loop: Header=BB103_156 Depth=2
	s_add_u32 s18, s14, 0xfffffed3
	s_addc_u32 s19, s15, -1
	global_store_dwordx2 v4, v[2:3], s[16:17] offset:2408
	s_add_u32 s16, s16, 0xfffff698
	s_addc_u32 s17, s17, -1
	s_cmpk_lt_i32 s14, 0x25a
	s_mov_b64 s[20:21], 0
	s_cselect_b64 s[22:23], -1, 0
	s_mov_b64 s[14:15], s[18:19]
	s_andn2_b64 vcc, exec, s[22:23]
	s_cbranch_vccz .LBB103_158
.LBB103_156:                            ;   Parent Loop BB103_154 Depth=1
                                        ; =>  This Inner Loop Header: Depth=2
	global_load_dwordx2 v[2:3], v4, s[16:17]
	s_mov_b64 s[20:21], -1
	s_waitcnt vmcnt(0)
	v_cmp_nlt_f64_e32 vcc, v[2:3], v[0:1]
	s_cbranch_vccz .LBB103_155
; %bb.157:                              ;   in Loop: Header=BB103_154 Depth=1
                                        ; implicit-def: $sgpr16_sgpr17
                                        ; implicit-def: $sgpr18_sgpr19
.LBB103_158:                            ;   in Loop: Header=BB103_154 Depth=1
	s_andn2_b64 vcc, exec, s[20:21]
	s_cbranch_vccz .LBB103_153
; %bb.159:                              ;   in Loop: Header=BB103_154 Depth=1
	s_bfe_i64 s[14:15], s[18:19], 0x200000
	s_branch .LBB103_153
.LBB103_160:
	s_cmpk_lt_i32 s52, 0x85
	s_cbranch_scc1 .LBB103_169
; %bb.161:
	s_mov_b64 s[8:9], 0x84
	s_mov_b32 s11, 0
	v_mov_b32_e32 v4, 0
	s_mov_b64 s[12:13], s[46:47]
	s_branch .LBB103_163
.LBB103_162:                            ;   in Loop: Header=BB103_163 Depth=1
	s_lshl_b64 s[14:15], s[14:15], 3
	s_add_u32 s14, s46, s14
	s_addc_u32 s15, s47, s15
	s_add_u32 s8, s8, 1
	s_addc_u32 s9, s9, 0
	;; [unrolled: 2-line block ×3, first 2 shown]
	s_cmp_lg_u32 s8, s52
	global_store_dwordx2 v4, v[0:1], s[14:15]
	s_cbranch_scc0 .LBB103_169
.LBB103_163:                            ; =>This Loop Header: Depth=1
                                        ;     Child Loop BB103_165 Depth 2
	s_mov_b32 s10, s8
	s_lshl_b64 s[14:15], s[10:11], 3
	s_add_u32 s14, s46, s14
	s_addc_u32 s15, s47, s15
	global_load_dwordx2 v[0:1], v4, s[14:15]
	s_mov_b64 s[16:17], s[12:13]
	s_mov_b64 s[14:15], s[8:9]
	s_branch .LBB103_165
.LBB103_164:                            ;   in Loop: Header=BB103_165 Depth=2
	s_add_u32 s18, s14, 0xffffff7c
	s_addc_u32 s19, s15, -1
	global_store_dwordx2 v4, v[2:3], s[16:17] offset:1056
	s_add_u32 s16, s16, 0xfffffbe0
	s_addc_u32 s17, s17, -1
	s_cmpk_lt_i32 s14, 0x108
	s_mov_b64 s[20:21], 0
	s_cselect_b64 s[22:23], -1, 0
	s_mov_b64 s[14:15], s[18:19]
	s_andn2_b64 vcc, exec, s[22:23]
	s_cbranch_vccz .LBB103_167
.LBB103_165:                            ;   Parent Loop BB103_163 Depth=1
                                        ; =>  This Inner Loop Header: Depth=2
	global_load_dwordx2 v[2:3], v4, s[16:17]
	s_mov_b64 s[20:21], -1
	s_waitcnt vmcnt(0)
	v_cmp_nlt_f64_e32 vcc, v[2:3], v[0:1]
	s_cbranch_vccz .LBB103_164
; %bb.166:                              ;   in Loop: Header=BB103_163 Depth=1
                                        ; implicit-def: $sgpr16_sgpr17
                                        ; implicit-def: $sgpr18_sgpr19
.LBB103_167:                            ;   in Loop: Header=BB103_163 Depth=1
	s_andn2_b64 vcc, exec, s[20:21]
	s_cbranch_vccz .LBB103_162
; %bb.168:                              ;   in Loop: Header=BB103_163 Depth=1
	s_bfe_i64 s[14:15], s[18:19], 0x200000
	s_branch .LBB103_162
.LBB103_169:
	s_cmp_lt_i32 s52, 58
	s_cbranch_scc1 .LBB103_178
; %bb.170:
	s_mov_b64 s[8:9], 57
	s_mov_b32 s11, 0
	v_mov_b32_e32 v4, 0
	s_mov_b64 s[12:13], s[46:47]
	s_branch .LBB103_172
.LBB103_171:                            ;   in Loop: Header=BB103_172 Depth=1
	s_lshl_b64 s[14:15], s[14:15], 3
	s_add_u32 s14, s46, s14
	s_addc_u32 s15, s47, s15
	s_add_u32 s8, s8, 1
	s_addc_u32 s9, s9, 0
	;; [unrolled: 2-line block ×3, first 2 shown]
	s_cmp_lg_u32 s8, s52
	global_store_dwordx2 v4, v[0:1], s[14:15]
	s_cbranch_scc0 .LBB103_178
.LBB103_172:                            ; =>This Loop Header: Depth=1
                                        ;     Child Loop BB103_174 Depth 2
	s_mov_b32 s10, s8
	s_lshl_b64 s[14:15], s[10:11], 3
	s_add_u32 s14, s46, s14
	s_addc_u32 s15, s47, s15
	global_load_dwordx2 v[0:1], v4, s[14:15]
	s_mov_b64 s[16:17], s[12:13]
	s_mov_b64 s[14:15], s[8:9]
	s_branch .LBB103_174
.LBB103_173:                            ;   in Loop: Header=BB103_174 Depth=2
	s_add_u32 s18, s14, 0xffffffc7
	s_addc_u32 s19, s15, -1
	global_store_dwordx2 v4, v[2:3], s[16:17] offset:456
	s_add_u32 s16, s16, 0xfffffe38
	s_addc_u32 s17, s17, -1
	s_cmpk_lt_i32 s14, 0x72
	s_mov_b64 s[20:21], 0
	s_cselect_b64 s[22:23], -1, 0
	s_mov_b64 s[14:15], s[18:19]
	s_andn2_b64 vcc, exec, s[22:23]
	s_cbranch_vccz .LBB103_176
.LBB103_174:                            ;   Parent Loop BB103_172 Depth=1
                                        ; =>  This Inner Loop Header: Depth=2
	global_load_dwordx2 v[2:3], v4, s[16:17]
	s_mov_b64 s[20:21], -1
	s_waitcnt vmcnt(0)
	v_cmp_nlt_f64_e32 vcc, v[2:3], v[0:1]
	s_cbranch_vccz .LBB103_173
; %bb.175:                              ;   in Loop: Header=BB103_172 Depth=1
                                        ; implicit-def: $sgpr16_sgpr17
                                        ; implicit-def: $sgpr18_sgpr19
.LBB103_176:                            ;   in Loop: Header=BB103_172 Depth=1
	s_andn2_b64 vcc, exec, s[20:21]
	s_cbranch_vccz .LBB103_171
; %bb.177:                              ;   in Loop: Header=BB103_172 Depth=1
	s_bfe_i64 s[14:15], s[18:19], 0x200000
	s_branch .LBB103_171
.LBB103_178:
	s_cmp_lt_i32 s52, 24
	s_cbranch_scc1 .LBB103_187
; %bb.179:
	s_mov_b64 s[8:9], 23
	s_mov_b32 s11, 0
	v_mov_b32_e32 v4, 0
	s_mov_b64 s[12:13], s[46:47]
	s_branch .LBB103_181
.LBB103_180:                            ;   in Loop: Header=BB103_181 Depth=1
	s_lshl_b64 s[14:15], s[14:15], 3
	s_add_u32 s14, s46, s14
	s_addc_u32 s15, s47, s15
	s_add_u32 s8, s8, 1
	s_addc_u32 s9, s9, 0
	;; [unrolled: 2-line block ×3, first 2 shown]
	s_cmp_lg_u32 s8, s52
	global_store_dwordx2 v4, v[0:1], s[14:15]
	s_cbranch_scc0 .LBB103_187
.LBB103_181:                            ; =>This Loop Header: Depth=1
                                        ;     Child Loop BB103_183 Depth 2
	s_mov_b32 s10, s8
	s_lshl_b64 s[14:15], s[10:11], 3
	s_add_u32 s14, s46, s14
	s_addc_u32 s15, s47, s15
	global_load_dwordx2 v[0:1], v4, s[14:15]
	s_mov_b64 s[16:17], s[12:13]
	s_mov_b64 s[14:15], s[8:9]
	s_branch .LBB103_183
.LBB103_182:                            ;   in Loop: Header=BB103_183 Depth=2
	s_add_u32 s18, s14, 0xffffffe9
	s_addc_u32 s19, s15, -1
	global_store_dwordx2 v4, v[2:3], s[16:17] offset:184
	s_add_u32 s16, s16, 0xffffff48
	s_addc_u32 s17, s17, -1
	s_cmp_lt_i32 s14, 46
	s_mov_b64 s[20:21], 0
	s_cselect_b64 s[22:23], -1, 0
	s_mov_b64 s[14:15], s[18:19]
	s_andn2_b64 vcc, exec, s[22:23]
	s_cbranch_vccz .LBB103_185
.LBB103_183:                            ;   Parent Loop BB103_181 Depth=1
                                        ; =>  This Inner Loop Header: Depth=2
	global_load_dwordx2 v[2:3], v4, s[16:17]
	s_mov_b64 s[20:21], -1
	s_waitcnt vmcnt(0)
	v_cmp_nlt_f64_e32 vcc, v[2:3], v[0:1]
	s_cbranch_vccz .LBB103_182
; %bb.184:                              ;   in Loop: Header=BB103_181 Depth=1
                                        ; implicit-def: $sgpr16_sgpr17
                                        ; implicit-def: $sgpr18_sgpr19
.LBB103_185:                            ;   in Loop: Header=BB103_181 Depth=1
	s_andn2_b64 vcc, exec, s[20:21]
	s_cbranch_vccz .LBB103_180
; %bb.186:                              ;   in Loop: Header=BB103_181 Depth=1
	s_bfe_i64 s[14:15], s[18:19], 0x200000
	s_branch .LBB103_180
.LBB103_187:
	s_cmp_lt_i32 s52, 11
	s_cbranch_scc1 .LBB103_196
; %bb.188:
	s_mov_b64 s[8:9], 10
	s_mov_b32 s11, 0
	v_mov_b32_e32 v4, 0
	s_mov_b64 s[12:13], s[46:47]
	s_branch .LBB103_190
.LBB103_189:                            ;   in Loop: Header=BB103_190 Depth=1
	s_lshl_b64 s[14:15], s[14:15], 3
	s_add_u32 s14, s46, s14
	s_addc_u32 s15, s47, s15
	s_add_u32 s8, s8, 1
	s_addc_u32 s9, s9, 0
	;; [unrolled: 2-line block ×3, first 2 shown]
	s_cmp_lg_u32 s8, s52
	global_store_dwordx2 v4, v[0:1], s[14:15]
	s_cbranch_scc0 .LBB103_196
.LBB103_190:                            ; =>This Loop Header: Depth=1
                                        ;     Child Loop BB103_192 Depth 2
	s_mov_b32 s10, s8
	s_lshl_b64 s[14:15], s[10:11], 3
	s_add_u32 s14, s46, s14
	s_addc_u32 s15, s47, s15
	global_load_dwordx2 v[0:1], v4, s[14:15]
	s_mov_b64 s[16:17], s[12:13]
	s_mov_b64 s[14:15], s[8:9]
	s_branch .LBB103_192
.LBB103_191:                            ;   in Loop: Header=BB103_192 Depth=2
	s_add_u32 s18, s14, -10
	s_addc_u32 s19, s15, -1
	global_store_dwordx2 v4, v[2:3], s[16:17] offset:80
	s_add_u32 s16, s16, 0xffffffb0
	s_addc_u32 s17, s17, -1
	s_cmp_lt_i32 s14, 20
	s_mov_b64 s[20:21], 0
	s_cselect_b64 s[22:23], -1, 0
	s_mov_b64 s[14:15], s[18:19]
	s_andn2_b64 vcc, exec, s[22:23]
	s_cbranch_vccz .LBB103_194
.LBB103_192:                            ;   Parent Loop BB103_190 Depth=1
                                        ; =>  This Inner Loop Header: Depth=2
	global_load_dwordx2 v[2:3], v4, s[16:17]
	s_mov_b64 s[20:21], -1
	s_waitcnt vmcnt(0)
	v_cmp_nlt_f64_e32 vcc, v[2:3], v[0:1]
	s_cbranch_vccz .LBB103_191
; %bb.193:                              ;   in Loop: Header=BB103_190 Depth=1
                                        ; implicit-def: $sgpr16_sgpr17
                                        ; implicit-def: $sgpr18_sgpr19
.LBB103_194:                            ;   in Loop: Header=BB103_190 Depth=1
	s_andn2_b64 vcc, exec, s[20:21]
	s_cbranch_vccz .LBB103_189
; %bb.195:                              ;   in Loop: Header=BB103_190 Depth=1
	s_bfe_i64 s[14:15], s[18:19], 0x200000
	s_branch .LBB103_189
.LBB103_196:
	s_cmp_lt_i32 s52, 5
	s_cbranch_scc1 .LBB103_205
; %bb.197:
	s_add_u32 s8, s56, s44
	s_addc_u32 s9, s57, s45
	s_add_u32 s8, s8, 32
	s_addc_u32 s9, s9, 0
	s_mov_b64 s[10:11], 4
	s_mov_b32 s13, 0
	v_mov_b32_e32 v4, 0
	s_branch .LBB103_199
.LBB103_198:                            ;   in Loop: Header=BB103_199 Depth=1
	s_lshl_b64 s[14:15], s[14:15], 3
	s_add_u32 s14, s46, s14
	s_addc_u32 s15, s47, s15
	s_add_u32 s10, s10, 1
	s_addc_u32 s11, s11, 0
	;; [unrolled: 2-line block ×3, first 2 shown]
	s_cmp_lg_u32 s10, s52
	global_store_dwordx2 v4, v[0:1], s[14:15]
	s_cbranch_scc0 .LBB103_205
.LBB103_199:                            ; =>This Loop Header: Depth=1
                                        ;     Child Loop BB103_201 Depth 2
	s_mov_b32 s12, s10
	s_lshl_b64 s[14:15], s[12:13], 3
	s_add_u32 s14, s46, s14
	s_addc_u32 s15, s47, s15
	global_load_dwordx2 v[0:1], v4, s[14:15]
	s_mov_b64 s[16:17], s[8:9]
	s_mov_b64 s[14:15], s[10:11]
	s_branch .LBB103_201
.LBB103_200:                            ;   in Loop: Header=BB103_201 Depth=2
	s_add_u32 s20, s14, -4
	s_addc_u32 s21, s15, -1
	s_cmp_lt_i32 s14, 8
	global_store_dwordx2 v4, v[2:3], s[16:17]
	s_mov_b64 s[18:19], 0
	s_cselect_b64 s[24:25], -1, 0
	s_mov_b64 s[14:15], s[20:21]
	s_mov_b64 s[16:17], s[22:23]
	s_andn2_b64 vcc, exec, s[24:25]
	s_cbranch_vccz .LBB103_203
.LBB103_201:                            ;   Parent Loop BB103_199 Depth=1
                                        ; =>  This Inner Loop Header: Depth=2
	global_load_dwordx2 v[2:3], v4, s[16:17] offset:-32
	s_add_u32 s22, s16, 0xffffffe0
	s_addc_u32 s23, s17, -1
	s_mov_b64 s[18:19], -1
	s_waitcnt vmcnt(0)
	v_cmp_nlt_f64_e32 vcc, v[2:3], v[0:1]
	s_cbranch_vccz .LBB103_200
; %bb.202:                              ;   in Loop: Header=BB103_199 Depth=1
                                        ; implicit-def: $sgpr16_sgpr17
                                        ; implicit-def: $sgpr20_sgpr21
.LBB103_203:                            ;   in Loop: Header=BB103_199 Depth=1
	s_andn2_b64 vcc, exec, s[18:19]
	s_cbranch_vccz .LBB103_198
; %bb.204:                              ;   in Loop: Header=BB103_199 Depth=1
	s_bfe_i64 s[14:15], s[20:21], 0x200000
	s_branch .LBB103_198
.LBB103_205:
	s_cmp_lt_i32 s52, 2
	s_cbranch_scc1 .LBB103_212
; %bb.206:
	s_add_u32 s8, s56, s44
	s_addc_u32 s9, s57, s45
	s_add_u32 s8, s8, 8
	s_addc_u32 s9, s9, 0
	s_mov_b64 s[10:11], 1
	s_mov_b32 s13, 0
	v_mov_b32_e32 v4, 0
	s_branch .LBB103_208
.LBB103_207:                            ;   in Loop: Header=BB103_208 Depth=1
	s_lshl_b64 s[14:15], s[18:19], 3
	s_add_u32 s14, s46, s14
	s_addc_u32 s15, s47, s15
	s_add_u32 s10, s10, 1
	s_addc_u32 s11, s11, 0
	;; [unrolled: 2-line block ×3, first 2 shown]
	s_cmp_eq_u32 s10, s52
	global_store_dwordx2 v4, v[0:1], s[14:15]
	s_cbranch_scc1 .LBB103_212
.LBB103_208:                            ; =>This Loop Header: Depth=1
                                        ;     Child Loop BB103_210 Depth 2
	s_mov_b32 s12, s10
	s_lshl_b64 s[14:15], s[12:13], 3
	s_add_u32 s14, s46, s14
	s_addc_u32 s15, s47, s15
	global_load_dwordx2 v[0:1], v4, s[14:15]
	s_mov_b64 s[16:17], s[8:9]
	s_mov_b64 s[14:15], s[10:11]
	s_branch .LBB103_210
.LBB103_209:                            ;   in Loop: Header=BB103_210 Depth=2
	global_store_dwordx2 v4, v[2:3], s[16:17]
	s_add_u32 s16, s14, -1
	s_addc_u32 s17, s15, -1
	s_cmp_lt_i32 s14, 2
	s_mov_b64 s[18:19], 0
	s_cselect_b64 s[20:21], -1, 0
	s_mov_b64 s[14:15], s[16:17]
	s_mov_b64 s[16:17], s[22:23]
	s_andn2_b64 vcc, exec, s[20:21]
	s_cbranch_vccz .LBB103_207
.LBB103_210:                            ;   Parent Loop BB103_208 Depth=1
                                        ; =>  This Inner Loop Header: Depth=2
	global_load_dwordx2 v[2:3], v4, s[16:17] offset:-8
	s_add_u32 s22, s16, -8
	s_addc_u32 s23, s17, -1
	s_mov_b64 s[20:21], -1
	s_waitcnt vmcnt(0)
	v_cmp_nlt_f64_e32 vcc, v[2:3], v[0:1]
	s_cbranch_vccz .LBB103_209
; %bb.211:                              ;   in Loop: Header=BB103_210 Depth=2
                                        ; implicit-def: $sgpr16_sgpr17
	s_mov_b64 s[18:19], s[14:15]
	s_andn2_b64 vcc, exec, s[20:21]
	s_cbranch_vccnz .LBB103_210
	s_branch .LBB103_207
.LBB103_212:
	s_or_b64 exec, exec, s[6:7]
	s_cmp_lt_i32 s52, 2
	s_cselect_b64 s[10:11], -1, 0
	s_mov_b64 s[50:51], 0
	s_and_b64 vcc, exec, s[10:11]
	s_barrier
	s_cbranch_vccnz .LBB103_220
; %bb.213:
	s_add_i32 s20, s52, -1
	v_cmp_gt_u32_e32 vcc, s20, v41
	s_mov_b64 s[10:11], -1
	s_mov_b64 s[6:7], 0
	s_and_saveexec_b64 s[8:9], vcc
	s_cbranch_execz .LBB103_222
; %bb.214:
	s_add_u32 s21, s46, 8
	s_addc_u32 s22, s47, 0
	s_mov_b64 s[10:11], 0
	v_mov_b32_e32 v1, 0
	v_mov_b32_e32 v4, s47
	;; [unrolled: 1-line block ×3, first 2 shown]
                                        ; implicit-def: $sgpr12_sgpr13
	s_branch .LBB103_216
.LBB103_215:                            ;   in Loop: Header=BB103_216 Depth=1
	s_or_b64 exec, exec, s[18:19]
	s_xor_b64 s[14:15], s[14:15], -1
	s_and_b64 s[6:7], exec, s[6:7]
	s_or_b64 s[10:11], s[6:7], s[10:11]
	s_andn2_b64 s[6:7], s[12:13], exec
	s_and_b64 s[12:13], s[14:15], exec
	s_or_b64 s[12:13], s[6:7], s[12:13]
	s_andn2_b64 exec, exec, s[10:11]
	s_cbranch_execz .LBB103_221
.LBB103_216:                            ; =>This Inner Loop Header: Depth=1
	v_lshlrev_b64 v[2:3], 3, v[0:1]
	v_add_co_u32_e32 v2, vcc, s46, v2
	v_addc_co_u32_e32 v3, vcc, v4, v3, vcc
	global_load_dwordx2 v[2:3], v[2:3], off
                                        ; implicit-def: $sgpr14_sgpr15
	s_waitcnt vmcnt(0)
	v_cmp_u_f64_e64 s[16:17], v[2:3], v[2:3]
	v_cmp_o_f64_e32 vcc, v[2:3], v[2:3]
	s_and_saveexec_b64 s[18:19], vcc
	s_cbranch_execz .LBB103_218
; %bb.217:                              ;   in Loop: Header=BB103_216 Depth=1
	v_ashrrev_i32_e32 v7, 31, v0
	v_mov_b32_e32 v6, v0
	v_lshlrev_b64 v[6:7], 3, v[6:7]
	v_mov_b32_e32 v5, s22
	v_add_co_u32_e32 v6, vcc, s21, v6
	v_addc_co_u32_e32 v7, vcc, v5, v7, vcc
	global_load_dwordx2 v[6:7], v[6:7], off
	s_andn2_b64 s[16:17], s[16:17], exec
	s_mov_b64 s[14:15], -1
	s_waitcnt vmcnt(0)
	v_cmp_u_f64_e32 vcc, v[6:7], v[6:7]
	v_cmp_ge_f64_e64 s[6:7], v[2:3], v[6:7]
	s_or_b64 s[6:7], vcc, s[6:7]
	s_and_b64 s[6:7], s[6:7], exec
	s_or_b64 s[16:17], s[16:17], s[6:7]
.LBB103_218:                            ;   in Loop: Header=BB103_216 Depth=1
	s_or_b64 exec, exec, s[18:19]
	s_mov_b64 s[6:7], -1
	s_and_saveexec_b64 s[18:19], s[16:17]
	s_cbranch_execz .LBB103_215
; %bb.219:                              ;   in Loop: Header=BB103_216 Depth=1
	v_add_u32_e32 v0, s58, v0
	v_cmp_le_u32_e32 vcc, s20, v0
	s_andn2_b64 s[14:15], s[14:15], exec
	s_orn2_b64 s[6:7], vcc, exec
	s_branch .LBB103_215
.LBB103_220:
	s_mov_b64 s[6:7], 0
	s_branch .LBB103_223
.LBB103_221:
	s_or_b64 exec, exec, s[10:11]
	s_mov_b64 s[6:7], exec
	s_orn2_b64 s[10:11], s[12:13], exec
.LBB103_222:
	s_or_b64 exec, exec, s[8:9]
.LBB103_223:
	s_and_saveexec_b64 s[8:9], s[10:11]
	s_cbranch_execz .LBB103_225
; %bb.224:
	s_mov_b64 s[50:51], exec
	s_barrier
	s_andn2_b64 s[6:7], s[6:7], exec
.LBB103_225:
	s_or_b64 exec, exec, s[8:9]
	s_and_saveexec_b64 s[42:43], s[6:7]
	s_cbranch_execz .LBB103_227
; %bb.226:
	s_add_u32 s8, s4, 0x90
	s_addc_u32 s9, s5, 0
	s_getpc_b64 s[4:5]
	s_add_u32 s4, s4, __PRETTY_FUNCTION__._ZN9rocsolver6v33100L21shell_sort_descendingIdiEEvT0_PT_PS2_@rel32@lo+4
	s_addc_u32 s5, s5, __PRETTY_FUNCTION__._ZN9rocsolver6v33100L21shell_sort_descendingIdiEEvT0_PT_PS2_@rel32@hi+12
	v_mov_b32_e32 v0, s4
	v_mov_b32_e32 v1, s5
	s_getpc_b64 s[6:7]
	s_add_u32 s6, s6, __assert_fail@rel32@lo+4
	s_addc_u32 s7, s7, __assert_fail@rel32@hi+12
	s_swappc_b64 s[30:31], s[6:7]
	s_or_b64 s[64:65], s[64:65], exec
.LBB103_227:
	s_or_b64 exec, exec, s[42:43]
.LBB103_228:
	s_and_saveexec_b64 s[4:5], s[64:65]
; %bb.229:
	; divergent unreachable
; %bb.230:
	s_or_b64 exec, exec, s[4:5]
	s_and_saveexec_b64 s[4:5], s[50:51]
	s_cbranch_execz .LBB103_232
; %bb.231:
	s_barrier
.LBB103_232:
	s_or_b64 exec, exec, s[4:5]
	s_cbranch_execnz .LBB103_256
.LBB103_233:
	s_cmp_lt_i32 s52, 2
	s_cbranch_scc1 .LBB103_256
; %bb.234:
	s_cmp_lg_u32 s53, 0
	s_cselect_b64 s[12:13], -1, 0
	s_cmp_lg_u32 s54, 0
	s_cselect_b64 s[14:15], -1, 0
	;; [unrolled: 2-line block ×3, first 2 shown]
	s_add_i32 s33, s52, -2
	s_add_u32 s18, s56, s44
	v_cndmask_b32_e64 v0, 0, 1, s[12:13]
	s_addc_u32 s21, s57, s45
	v_cmp_ne_u32_e64 s[12:13], 1, v0
	v_cndmask_b32_e64 v0, 0, 1, s[14:15]
	s_add_u32 s20, s18, 8
	v_cmp_ne_u32_e64 s[14:15], 1, v0
	v_cndmask_b32_e64 v0, 0, 1, s[16:17]
	s_mov_b32 s19, 0
	v_cmp_eq_u32_e64 s[4:5], 0, v41
	v_cmp_gt_i32_e64 s[6:7], s53, v41
	v_cmp_gt_i32_e64 s[8:9], s54, v41
	v_cmp_gt_i32_e64 s[10:11], s55, v41
	s_addc_u32 s21, s21, 0
	v_mul_lo_u32 v2, s39, v41
	s_mul_i32 s39, s39, s36
	v_mul_lo_u32 v3, s59, v41
	s_mul_i32 s42, s59, s36
	v_mov_b32_e32 v4, 0
	v_cmp_ne_u32_e64 s[16:17], 1, v0
	s_mov_b32 s43, 0
	s_mov_b32 s44, 0
	s_branch .LBB103_237
.LBB103_235:                            ;   in Loop: Header=BB103_237 Depth=1
	s_or_b64 exec, exec, s[24:25]
	s_waitcnt lgkmcnt(0)
	s_barrier
.LBB103_236:                            ;   in Loop: Header=BB103_237 Depth=1
	s_add_u32 s20, s20, 8
	s_addc_u32 s21, s21, 0
	s_add_i32 s43, s43, s37
	s_cmp_eq_u32 s18, s33
	s_cbranch_scc1 .LBB103_256
.LBB103_237:                            ; =>This Loop Header: Depth=1
                                        ;     Child Loop BB103_238 Depth 2
                                        ;     Child Loop BB103_245 Depth 2
                                        ;     Child Loop BB103_250 Depth 2
                                        ;     Child Loop BB103_255 Depth 2
	s_mov_b32 s18, s44
	s_lshl_b64 s[22:23], s[18:19], 3
	s_add_u32 s24, s46, s22
	s_addc_u32 s25, s47, s23
	global_load_dwordx2 v[0:1], v4, s[24:25]
	s_add_i32 s44, s44, 1
	s_mov_b64 s[30:31], s[20:21]
	s_mov_b32 s23, s44
	s_mov_b32 s22, s18
.LBB103_238:                            ;   Parent Loop BB103_237 Depth=1
                                        ; =>  This Inner Loop Header: Depth=2
	global_load_dwordx2 v[6:7], v4, s[30:31]
	s_waitcnt vmcnt(0)
	v_cmp_gt_f64_e32 vcc, v[6:7], v[0:1]
	s_and_b64 s[48:49], vcc, exec
	s_cselect_b32 s22, s23, s22
	s_add_i32 s23, s23, 1
	s_add_u32 s30, s30, 8
	s_addc_u32 s31, s31, 0
	v_cndmask_b32_e32 v1, v1, v7, vcc
	s_cmp_lt_i32 s23, s52
	v_cndmask_b32_e32 v0, v0, v6, vcc
	s_cbranch_scc1 .LBB103_238
; %bb.239:                              ;   in Loop: Header=BB103_237 Depth=1
	s_cmp_eq_u32 s22, s18
	s_barrier
	s_cbranch_scc1 .LBB103_236
; %bb.240:                              ;   in Loop: Header=BB103_237 Depth=1
	s_and_saveexec_b64 s[30:31], s[4:5]
	s_cbranch_execz .LBB103_242
; %bb.241:                              ;   in Loop: Header=BB103_237 Depth=1
	global_load_dwordx2 v[6:7], v4, s[24:25]
	s_ashr_i32 s23, s22, 31
	s_lshl_b64 s[48:49], s[22:23], 3
	s_add_u32 s48, s46, s48
	s_addc_u32 s49, s47, s49
	s_waitcnt vmcnt(0)
	global_store_dwordx2 v4, v[6:7], s[48:49]
	global_store_dwordx2 v4, v[0:1], s[24:25]
.LBB103_242:                            ;   in Loop: Header=BB103_237 Depth=1
	s_or_b64 exec, exec, s[30:31]
	s_and_b64 vcc, exec, s[12:13]
	s_cbranch_vccnz .LBB103_247
; %bb.243:                              ;   in Loop: Header=BB103_237 Depth=1
	s_and_saveexec_b64 s[24:25], s[6:7]
	s_cbranch_execz .LBB103_246
; %bb.244:                              ;   in Loop: Header=BB103_237 Depth=1
	s_mov_b64 s[30:31], 0
	v_mov_b32_e32 v0, v2
	v_mov_b32_e32 v1, v41
.LBB103_245:                            ;   Parent Loop BB103_237 Depth=1
                                        ; =>  This Inner Loop Header: Depth=2
	v_add_u32_e32 v6, s22, v0
	v_ashrrev_i32_e32 v7, 31, v6
	v_add_u32_e32 v8, s18, v0
	v_lshlrev_b64 v[6:7], 3, v[6:7]
	v_mov_b32_e32 v5, s35
	v_ashrrev_i32_e32 v9, 31, v8
	v_add_co_u32_e32 v6, vcc, s34, v6
	v_lshlrev_b64 v[8:9], 3, v[8:9]
	v_addc_co_u32_e32 v7, vcc, v5, v7, vcc
	v_add_co_u32_e32 v8, vcc, s34, v8
	v_addc_co_u32_e32 v9, vcc, v5, v9, vcc
	flat_load_dwordx2 v[10:11], v[8:9]
	flat_load_dwordx2 v[12:13], v[6:7]
	v_add_u32_e32 v1, s36, v1
	v_cmp_le_i32_e32 vcc, s53, v1
	v_add_u32_e32 v0, s39, v0
	s_or_b64 s[30:31], vcc, s[30:31]
	s_waitcnt vmcnt(0) lgkmcnt(0)
	flat_store_dwordx2 v[6:7], v[10:11]
	flat_store_dwordx2 v[8:9], v[12:13]
	s_andn2_b64 exec, exec, s[30:31]
	s_cbranch_execnz .LBB103_245
.LBB103_246:                            ;   in Loop: Header=BB103_237 Depth=1
	s_or_b64 exec, exec, s[24:25]
	s_waitcnt lgkmcnt(0)
	s_barrier
.LBB103_247:                            ;   in Loop: Header=BB103_237 Depth=1
	s_and_b64 vcc, exec, s[14:15]
	s_cbranch_vccnz .LBB103_252
; %bb.248:                              ;   in Loop: Header=BB103_237 Depth=1
	s_and_saveexec_b64 s[24:25], s[8:9]
	s_cbranch_execz .LBB103_251
; %bb.249:                              ;   in Loop: Header=BB103_237 Depth=1
	s_mul_i32 s23, s22, s37
	s_mov_b64 s[30:31], 0
	v_mov_b32_e32 v0, v41
.LBB103_250:                            ;   Parent Loop BB103_237 Depth=1
                                        ; =>  This Inner Loop Header: Depth=2
	v_add_u32_e32 v6, s23, v0
	v_ashrrev_i32_e32 v7, 31, v6
	v_add_u32_e32 v8, s43, v0
	v_lshlrev_b64 v[6:7], 3, v[6:7]
	v_mov_b32_e32 v1, s29
	v_ashrrev_i32_e32 v9, 31, v8
	v_add_co_u32_e32 v6, vcc, s28, v6
	v_lshlrev_b64 v[8:9], 3, v[8:9]
	v_addc_co_u32_e32 v7, vcc, v1, v7, vcc
	v_add_co_u32_e32 v8, vcc, s28, v8
	v_addc_co_u32_e32 v9, vcc, v1, v9, vcc
	flat_load_dwordx2 v[10:11], v[8:9]
	flat_load_dwordx2 v[12:13], v[6:7]
	v_add_u32_e32 v0, s36, v0
	v_cmp_le_i32_e32 vcc, s54, v0
	s_or_b64 s[30:31], vcc, s[30:31]
	s_waitcnt vmcnt(0) lgkmcnt(0)
	flat_store_dwordx2 v[6:7], v[10:11]
	flat_store_dwordx2 v[8:9], v[12:13]
	s_andn2_b64 exec, exec, s[30:31]
	s_cbranch_execnz .LBB103_250
.LBB103_251:                            ;   in Loop: Header=BB103_237 Depth=1
	s_or_b64 exec, exec, s[24:25]
	s_waitcnt lgkmcnt(0)
	s_barrier
.LBB103_252:                            ;   in Loop: Header=BB103_237 Depth=1
	s_and_b64 vcc, exec, s[16:17]
	s_cbranch_vccnz .LBB103_236
; %bb.253:                              ;   in Loop: Header=BB103_237 Depth=1
	s_and_saveexec_b64 s[24:25], s[10:11]
	s_cbranch_execz .LBB103_235
; %bb.254:                              ;   in Loop: Header=BB103_237 Depth=1
	s_mov_b64 s[30:31], 0
	v_mov_b32_e32 v0, v3
	v_mov_b32_e32 v1, v41
.LBB103_255:                            ;   Parent Loop BB103_237 Depth=1
                                        ; =>  This Inner Loop Header: Depth=2
	v_add_u32_e32 v6, s22, v0
	v_ashrrev_i32_e32 v7, 31, v6
	v_add_u32_e32 v8, s18, v0
	v_lshlrev_b64 v[6:7], 3, v[6:7]
	v_mov_b32_e32 v5, s61
	v_ashrrev_i32_e32 v9, 31, v8
	v_add_co_u32_e32 v6, vcc, s60, v6
	v_lshlrev_b64 v[8:9], 3, v[8:9]
	v_addc_co_u32_e32 v7, vcc, v5, v7, vcc
	v_add_co_u32_e32 v8, vcc, s60, v8
	v_addc_co_u32_e32 v9, vcc, v5, v9, vcc
	flat_load_dwordx2 v[10:11], v[8:9]
	flat_load_dwordx2 v[12:13], v[6:7]
	v_add_u32_e32 v1, s36, v1
	v_cmp_le_i32_e32 vcc, s55, v1
	v_add_u32_e32 v0, s42, v0
	s_or_b64 s[30:31], vcc, s[30:31]
	s_waitcnt vmcnt(0) lgkmcnt(0)
	flat_store_dwordx2 v[6:7], v[10:11]
	flat_store_dwordx2 v[8:9], v[12:13]
	s_andn2_b64 exec, exec, s[30:31]
	s_cbranch_execnz .LBB103_255
	s_branch .LBB103_235
.LBB103_256:
	s_mov_b64 s[6:7], 0
.LBB103_257:
	s_andn2_b64 vcc, exec, s[6:7]
	s_cbranch_vccnz .LBB103_260
; %bb.258:
	v_cmp_eq_u32_e32 vcc, 0, v41
	s_and_saveexec_b64 s[4:5], vcc
	s_cbranch_execz .LBB103_260
; %bb.259:
	s_add_u32 s4, s40, s26
	s_addc_u32 s5, s41, s27
	v_mov_b32_e32 v0, 0
	v_mov_b32_e32 v1, s38
	global_store_dword v0, v1, s[4:5]
.LBB103_260:
	s_endpgm
	.section	.rodata,"a",@progbits
	.p2align	6, 0x0
	.amdhsa_kernel _ZN9rocsolver6v33100L14bdsqr_finalizeIddPdPKS2_S4_EEviiiiPT0_lS6_lT1_iilT2_iilT3_iilPiSA_SA_
		.amdhsa_group_segment_fixed_size 0
		.amdhsa_private_segment_fixed_size 64
		.amdhsa_kernarg_size 400
		.amdhsa_user_sgpr_count 8
		.amdhsa_user_sgpr_private_segment_buffer 1
		.amdhsa_user_sgpr_dispatch_ptr 0
		.amdhsa_user_sgpr_queue_ptr 0
		.amdhsa_user_sgpr_kernarg_segment_ptr 1
		.amdhsa_user_sgpr_dispatch_id 0
		.amdhsa_user_sgpr_flat_scratch_init 1
		.amdhsa_user_sgpr_kernarg_preload_length 0
		.amdhsa_user_sgpr_kernarg_preload_offset 0
		.amdhsa_user_sgpr_private_segment_size 0
		.amdhsa_uses_dynamic_stack 0
		.amdhsa_system_sgpr_private_segment_wavefront_offset 1
		.amdhsa_system_sgpr_workgroup_id_x 1
		.amdhsa_system_sgpr_workgroup_id_y 1
		.amdhsa_system_sgpr_workgroup_id_z 0
		.amdhsa_system_sgpr_workgroup_info 0
		.amdhsa_system_vgpr_workitem_id 2
		.amdhsa_next_free_vgpr 45
		.amdhsa_next_free_sgpr 78
		.amdhsa_accum_offset 48
		.amdhsa_reserve_vcc 1
		.amdhsa_reserve_flat_scratch 1
		.amdhsa_float_round_mode_32 0
		.amdhsa_float_round_mode_16_64 0
		.amdhsa_float_denorm_mode_32 3
		.amdhsa_float_denorm_mode_16_64 3
		.amdhsa_dx10_clamp 1
		.amdhsa_ieee_mode 1
		.amdhsa_fp16_overflow 0
		.amdhsa_tg_split 0
		.amdhsa_exception_fp_ieee_invalid_op 0
		.amdhsa_exception_fp_denorm_src 0
		.amdhsa_exception_fp_ieee_div_zero 0
		.amdhsa_exception_fp_ieee_overflow 0
		.amdhsa_exception_fp_ieee_underflow 0
		.amdhsa_exception_fp_ieee_inexact 0
		.amdhsa_exception_int_div_zero 0
	.end_amdhsa_kernel
	.section	.text._ZN9rocsolver6v33100L14bdsqr_finalizeIddPdPKS2_S4_EEviiiiPT0_lS6_lT1_iilT2_iilT3_iilPiSA_SA_,"axG",@progbits,_ZN9rocsolver6v33100L14bdsqr_finalizeIddPdPKS2_S4_EEviiiiPT0_lS6_lT1_iilT2_iilT3_iilPiSA_SA_,comdat
.Lfunc_end103:
	.size	_ZN9rocsolver6v33100L14bdsqr_finalizeIddPdPKS2_S4_EEviiiiPT0_lS6_lT1_iilT2_iilT3_iilPiSA_SA_, .Lfunc_end103-_ZN9rocsolver6v33100L14bdsqr_finalizeIddPdPKS2_S4_EEviiiiPT0_lS6_lT1_iilT2_iilT3_iilPiSA_SA_
                                        ; -- End function
	.section	.AMDGPU.csdata,"",@progbits
; Kernel info:
; codeLenInByte = 7796
; NumSgprs: 84
; NumVgprs: 45
; NumAgprs: 0
; TotalNumVgprs: 45
; ScratchSize: 64
; MemoryBound: 0
; FloatMode: 240
; IeeeMode: 1
; LDSByteSize: 0 bytes/workgroup (compile time only)
; SGPRBlocks: 10
; VGPRBlocks: 5
; NumSGPRsForWavesPerEU: 84
; NumVGPRsForWavesPerEU: 45
; AccumOffset: 48
; Occupancy: 8
; WaveLimiterHint : 1
; COMPUTE_PGM_RSRC2:SCRATCH_EN: 1
; COMPUTE_PGM_RSRC2:USER_SGPR: 8
; COMPUTE_PGM_RSRC2:TRAP_HANDLER: 0
; COMPUTE_PGM_RSRC2:TGID_X_EN: 1
; COMPUTE_PGM_RSRC2:TGID_Y_EN: 1
; COMPUTE_PGM_RSRC2:TGID_Z_EN: 0
; COMPUTE_PGM_RSRC2:TIDIG_COMP_CNT: 2
; COMPUTE_PGM_RSRC3_GFX90A:ACCUM_OFFSET: 11
; COMPUTE_PGM_RSRC3_GFX90A:TG_SPLIT: 0
	.section	.text._ZN9rocsolver6v33100L8copy_matIdPKPdS2_NS0_7no_maskEEEviiT0_iilT1_iilT2_13rocblas_fill_17rocblas_diagonal_,"axG",@progbits,_ZN9rocsolver6v33100L8copy_matIdPKPdS2_NS0_7no_maskEEEviiT0_iilT1_iilT2_13rocblas_fill_17rocblas_diagonal_,comdat
	.globl	_ZN9rocsolver6v33100L8copy_matIdPKPdS2_NS0_7no_maskEEEviiT0_iilT1_iilT2_13rocblas_fill_17rocblas_diagonal_ ; -- Begin function _ZN9rocsolver6v33100L8copy_matIdPKPdS2_NS0_7no_maskEEEviiT0_iilT1_iilT2_13rocblas_fill_17rocblas_diagonal_
	.p2align	8
	.type	_ZN9rocsolver6v33100L8copy_matIdPKPdS2_NS0_7no_maskEEEviiT0_iilT1_iilT2_13rocblas_fill_17rocblas_diagonal_,@function
_ZN9rocsolver6v33100L8copy_matIdPKPdS2_NS0_7no_maskEEEviiT0_iilT1_iilT2_13rocblas_fill_17rocblas_diagonal_: ; @_ZN9rocsolver6v33100L8copy_matIdPKPdS2_NS0_7no_maskEEEviiT0_iilT1_iilT2_13rocblas_fill_17rocblas_diagonal_
; %bb.0:
	s_load_dword s2, s[4:5], 0x54
	s_load_dwordx2 s[0:1], s[4:5], 0x0
	v_bfe_u32 v1, v0, 10, 10
	v_and_b32_e32 v0, 0x3ff, v0
	s_waitcnt lgkmcnt(0)
	s_lshr_b32 s3, s2, 16
	s_and_b32 s2, s2, 0xffff
	s_mul_i32 s7, s7, s3
	s_mul_i32 s6, s6, s2
	v_add_u32_e32 v1, s7, v1
	v_add_u32_e32 v0, s6, v0
	v_cmp_gt_u32_e32 vcc, s0, v0
	v_cmp_gt_u32_e64 s[0:1], s1, v1
	s_and_b64 s[0:1], s[0:1], vcc
	s_and_saveexec_b64 s[2:3], s[0:1]
	s_cbranch_execz .LBB104_14
; %bb.1:
	s_load_dwordx2 s[2:3], s[4:5], 0x3c
	s_waitcnt lgkmcnt(0)
	s_cmpk_lt_i32 s2, 0x7a
	s_cbranch_scc1 .LBB104_4
; %bb.2:
	s_cmpk_gt_i32 s2, 0x7a
	s_cbranch_scc0 .LBB104_5
; %bb.3:
	s_cmpk_lg_i32 s2, 0x7b
	s_mov_b64 s[6:7], -1
	s_cselect_b64 s[10:11], -1, 0
	s_cbranch_execz .LBB104_6
	s_branch .LBB104_7
.LBB104_4:
	s_mov_b64 s[10:11], 0
	s_mov_b64 s[6:7], 0
	s_cbranch_execnz .LBB104_8
	s_branch .LBB104_10
.LBB104_5:
	s_mov_b64 s[6:7], 0
	s_mov_b64 s[10:11], 0
.LBB104_6:
	v_cmp_gt_u32_e32 vcc, v0, v1
	v_cmp_le_u32_e64 s[0:1], v0, v1
	s_andn2_b64 s[6:7], s[6:7], exec
	s_and_b64 s[12:13], vcc, exec
	s_andn2_b64 s[10:11], s[10:11], exec
	s_and_b64 s[0:1], s[0:1], exec
	s_or_b64 s[6:7], s[6:7], s[12:13]
	s_or_b64 s[10:11], s[10:11], s[0:1]
.LBB104_7:
	s_branch .LBB104_10
.LBB104_8:
	s_cmpk_eq_i32 s2, 0x79
	s_mov_b64 s[10:11], -1
	s_cbranch_scc0 .LBB104_10
; %bb.9:
	v_cmp_gt_u32_e32 vcc, v1, v0
	v_cmp_le_u32_e64 s[0:1], v1, v0
	s_andn2_b64 s[6:7], s[6:7], exec
	s_and_b64 s[10:11], vcc, exec
	s_or_b64 s[6:7], s[6:7], s[10:11]
	s_orn2_b64 s[10:11], s[0:1], exec
.LBB104_10:
	s_and_saveexec_b64 s[0:1], s[10:11]
; %bb.11:
	s_cmpk_eq_i32 s3, 0x83
	s_cselect_b64 s[2:3], -1, 0
	v_cmp_eq_u32_e32 vcc, v0, v1
	s_and_b64 s[2:3], s[2:3], vcc
	s_andn2_b64 s[6:7], s[6:7], exec
	s_and_b64 s[2:3], s[2:3], exec
	s_or_b64 s[6:7], s[6:7], s[2:3]
; %bb.12:
	s_or_b64 exec, exec, s[0:1]
	s_and_b64 exec, exec, s[6:7]
	s_cbranch_execz .LBB104_14
; %bb.13:
	s_load_dwordx4 s[12:15], s[4:5], 0x8
	s_load_dwordx4 s[0:3], s[4:5], 0x20
	s_mov_b32 s9, 0
	s_lshl_b64 s[6:7], s[8:9], 3
	s_load_dwordx2 s[4:5], s[4:5], 0x30
	s_waitcnt lgkmcnt(0)
	s_ashr_i32 s11, s14, 31
	s_add_u32 s6, s12, s6
	s_addc_u32 s7, s13, s7
	s_load_dwordx2 s[6:7], s[6:7], 0x0
	s_mov_b32 s10, s14
	v_mad_u64_u32 v[2:3], s[12:13], v1, s15, v[0:1]
	s_lshl_b64 s[10:11], s[10:11], 3
	v_mov_b32_e32 v3, 0
	s_waitcnt lgkmcnt(0)
	s_add_u32 s6, s6, s10
	s_addc_u32 s7, s7, s11
	v_lshlrev_b64 v[4:5], 3, v[2:3]
	v_mov_b32_e32 v2, s7
	v_add_co_u32_e32 v4, vcc, s6, v4
	v_addc_co_u32_e32 v5, vcc, v2, v5, vcc
	global_load_dwordx2 v[4:5], v[4:5], off
	s_ashr_i32 s7, s2, 31
	s_mov_b32 s6, s2
	s_mul_i32 s2, s8, s5
	s_mul_hi_u32 s5, s8, s4
	s_add_i32 s5, s5, s2
	s_mul_i32 s4, s8, s4
	s_lshl_b64 s[4:5], s[4:5], 3
	s_add_u32 s2, s0, s4
	s_addc_u32 s4, s1, s5
	s_lshl_b64 s[0:1], s[6:7], 3
	s_add_u32 s2, s2, s0
	s_addc_u32 s4, s4, s1
	v_mad_u64_u32 v[0:1], s[0:1], v1, s3, v[0:1]
	v_mov_b32_e32 v1, v3
	v_lshlrev_b64 v[0:1], 3, v[0:1]
	v_mov_b32_e32 v2, s4
	v_add_co_u32_e32 v0, vcc, s2, v0
	v_addc_co_u32_e32 v1, vcc, v2, v1, vcc
	s_waitcnt vmcnt(0)
	global_store_dwordx2 v[0:1], v[4:5], off
.LBB104_14:
	s_endpgm
	.section	.rodata,"a",@progbits
	.p2align	6, 0x0
	.amdhsa_kernel _ZN9rocsolver6v33100L8copy_matIdPKPdS2_NS0_7no_maskEEEviiT0_iilT1_iilT2_13rocblas_fill_17rocblas_diagonal_
		.amdhsa_group_segment_fixed_size 0
		.amdhsa_private_segment_fixed_size 0
		.amdhsa_kernarg_size 328
		.amdhsa_user_sgpr_count 6
		.amdhsa_user_sgpr_private_segment_buffer 1
		.amdhsa_user_sgpr_dispatch_ptr 0
		.amdhsa_user_sgpr_queue_ptr 0
		.amdhsa_user_sgpr_kernarg_segment_ptr 1
		.amdhsa_user_sgpr_dispatch_id 0
		.amdhsa_user_sgpr_flat_scratch_init 0
		.amdhsa_user_sgpr_kernarg_preload_length 0
		.amdhsa_user_sgpr_kernarg_preload_offset 0
		.amdhsa_user_sgpr_private_segment_size 0
		.amdhsa_uses_dynamic_stack 0
		.amdhsa_system_sgpr_private_segment_wavefront_offset 0
		.amdhsa_system_sgpr_workgroup_id_x 1
		.amdhsa_system_sgpr_workgroup_id_y 1
		.amdhsa_system_sgpr_workgroup_id_z 1
		.amdhsa_system_sgpr_workgroup_info 0
		.amdhsa_system_vgpr_workitem_id 1
		.amdhsa_next_free_vgpr 6
		.amdhsa_next_free_sgpr 16
		.amdhsa_accum_offset 8
		.amdhsa_reserve_vcc 1
		.amdhsa_reserve_flat_scratch 0
		.amdhsa_float_round_mode_32 0
		.amdhsa_float_round_mode_16_64 0
		.amdhsa_float_denorm_mode_32 3
		.amdhsa_float_denorm_mode_16_64 3
		.amdhsa_dx10_clamp 1
		.amdhsa_ieee_mode 1
		.amdhsa_fp16_overflow 0
		.amdhsa_tg_split 0
		.amdhsa_exception_fp_ieee_invalid_op 0
		.amdhsa_exception_fp_denorm_src 0
		.amdhsa_exception_fp_ieee_div_zero 0
		.amdhsa_exception_fp_ieee_overflow 0
		.amdhsa_exception_fp_ieee_underflow 0
		.amdhsa_exception_fp_ieee_inexact 0
		.amdhsa_exception_int_div_zero 0
	.end_amdhsa_kernel
	.section	.text._ZN9rocsolver6v33100L8copy_matIdPKPdS2_NS0_7no_maskEEEviiT0_iilT1_iilT2_13rocblas_fill_17rocblas_diagonal_,"axG",@progbits,_ZN9rocsolver6v33100L8copy_matIdPKPdS2_NS0_7no_maskEEEviiT0_iilT1_iilT2_13rocblas_fill_17rocblas_diagonal_,comdat
.Lfunc_end104:
	.size	_ZN9rocsolver6v33100L8copy_matIdPKPdS2_NS0_7no_maskEEEviiT0_iilT1_iilT2_13rocblas_fill_17rocblas_diagonal_, .Lfunc_end104-_ZN9rocsolver6v33100L8copy_matIdPKPdS2_NS0_7no_maskEEEviiT0_iilT1_iilT2_13rocblas_fill_17rocblas_diagonal_
                                        ; -- End function
	.section	.AMDGPU.csdata,"",@progbits
; Kernel info:
; codeLenInByte = 496
; NumSgprs: 20
; NumVgprs: 6
; NumAgprs: 0
; TotalNumVgprs: 6
; ScratchSize: 0
; MemoryBound: 0
; FloatMode: 240
; IeeeMode: 1
; LDSByteSize: 0 bytes/workgroup (compile time only)
; SGPRBlocks: 2
; VGPRBlocks: 0
; NumSGPRsForWavesPerEU: 20
; NumVGPRsForWavesPerEU: 6
; AccumOffset: 8
; Occupancy: 8
; WaveLimiterHint : 1
; COMPUTE_PGM_RSRC2:SCRATCH_EN: 0
; COMPUTE_PGM_RSRC2:USER_SGPR: 6
; COMPUTE_PGM_RSRC2:TRAP_HANDLER: 0
; COMPUTE_PGM_RSRC2:TGID_X_EN: 1
; COMPUTE_PGM_RSRC2:TGID_Y_EN: 1
; COMPUTE_PGM_RSRC2:TGID_Z_EN: 1
; COMPUTE_PGM_RSRC2:TIDIG_COMP_CNT: 1
; COMPUTE_PGM_RSRC3_GFX90A:ACCUM_OFFSET: 1
; COMPUTE_PGM_RSRC3_GFX90A:TG_SPLIT: 0
	.section	.text._ZN9rocsolver6v33100L16org2r_init_identIdPdEEviiiT0_iil,"axG",@progbits,_ZN9rocsolver6v33100L16org2r_init_identIdPdEEviiiT0_iil,comdat
	.globl	_ZN9rocsolver6v33100L16org2r_init_identIdPdEEviiiT0_iil ; -- Begin function _ZN9rocsolver6v33100L16org2r_init_identIdPdEEviiiT0_iil
	.p2align	8
	.type	_ZN9rocsolver6v33100L16org2r_init_identIdPdEEviiiT0_iil,@function
_ZN9rocsolver6v33100L16org2r_init_identIdPdEEviiiT0_iil: ; @_ZN9rocsolver6v33100L16org2r_init_identIdPdEEviiiT0_iil
; %bb.0:
	s_load_dword s9, s[4:5], 0x34
	s_load_dwordx4 s[0:3], s[4:5], 0x0
	v_bfe_u32 v1, v0, 10, 10
	v_and_b32_e32 v0, 0x3ff, v0
	s_waitcnt lgkmcnt(0)
	s_lshr_b32 s3, s9, 16
	s_and_b32 s9, s9, 0xffff
	s_mul_i32 s7, s7, s3
	s_mul_i32 s6, s6, s9
	v_add_u32_e32 v2, s7, v1
	v_add_u32_e32 v6, s6, v0
	v_cmp_gt_u32_e32 vcc, s0, v6
	v_cmp_gt_u32_e64 s[0:1], s1, v2
	s_and_b64 s[0:1], vcc, s[0:1]
	s_and_saveexec_b64 s[6:7], s[0:1]
	s_cbranch_execz .LBB105_5
; %bb.1:
	s_load_dwordx2 s[0:1], s[4:5], 0x18
	v_cmp_ne_u32_e32 vcc, v6, v2
	s_mov_b64 s[10:11], 0
                                        ; implicit-def: $vgpr4_vgpr5
                                        ; implicit-def: $vgpr0
	s_and_saveexec_b64 s[6:7], vcc
	s_xor_b64 s[6:7], exec, s[6:7]
	s_cbranch_execnz .LBB105_6
; %bb.2:
	s_andn2_saveexec_b64 s[2:3], s[6:7]
	s_cbranch_execnz .LBB105_13
.LBB105_3:
	s_or_b64 exec, exec, s[2:3]
	s_and_b64 exec, exec, s[10:11]
	s_cbranch_execz .LBB105_5
.LBB105_4:
	s_load_dwordx2 s[2:3], s[4:5], 0x20
	s_load_dwordx2 s[6:7], s[4:5], 0x10
	s_waitcnt lgkmcnt(0)
	s_ashr_i32 s1, s0, 31
	v_mov_b32_e32 v1, 0
	v_lshlrev_b64 v[0:1], 3, v[0:1]
	s_mul_i32 s3, s8, s3
	s_mul_hi_u32 s4, s8, s2
	s_mul_i32 s2, s8, s2
	s_add_i32 s3, s4, s3
	s_lshl_b64 s[2:3], s[2:3], 3
	s_add_u32 s2, s6, s2
	s_addc_u32 s3, s7, s3
	s_lshl_b64 s[0:1], s[0:1], 3
	s_add_u32 s0, s2, s0
	s_addc_u32 s1, s3, s1
	v_mov_b32_e32 v2, s1
	v_add_co_u32_e32 v0, vcc, s0, v0
	v_addc_co_u32_e32 v1, vcc, v2, v1, vcc
	global_store_dwordx2 v[0:1], v[4:5], off
.LBB105_5:
	s_endpgm
.LBB105_6:
	v_cmp_le_u32_e32 vcc, v2, v6
                                        ; implicit-def: $sgpr12_sgpr13
                                        ; implicit-def: $vgpr0
	s_and_saveexec_b64 s[14:15], vcc
	s_xor_b64 s[14:15], exec, s[14:15]
	s_cbranch_execz .LBB105_10
; %bb.7:
	v_cmp_le_u32_e32 vcc, s2, v2
	s_mov_b64 s[2:3], 0
                                        ; implicit-def: $sgpr12_sgpr13
                                        ; implicit-def: $vgpr0
	s_and_saveexec_b64 s[10:11], vcc
	s_xor_b64 s[10:11], exec, s[10:11]
	s_cbranch_execz .LBB105_9
; %bb.8:
	s_waitcnt lgkmcnt(0)
	v_mad_u64_u32 v[0:1], s[12:13], v2, s1, v[6:7]
	s_mov_b64 s[2:3], exec
	s_mov_b64 s[12:13], 0
.LBB105_9:
	s_or_b64 exec, exec, s[10:11]
	s_and_b64 s[10:11], s[2:3], exec
                                        ; implicit-def: $vgpr6
                                        ; implicit-def: $vgpr2
.LBB105_10:
	s_or_saveexec_b64 s[2:3], s[14:15]
	v_pk_mov_b32 v[4:5], s[12:13], s[12:13] op_sel:[0,1]
	s_xor_b64 exec, exec, s[2:3]
	s_cbranch_execz .LBB105_12
; %bb.11:
	s_waitcnt lgkmcnt(0)
	v_mad_u64_u32 v[0:1], s[12:13], v2, s1, v[6:7]
	v_pk_mov_b32 v[4:5], 0, 0
	s_or_b64 s[10:11], s[10:11], exec
.LBB105_12:
	s_or_b64 exec, exec, s[2:3]
	s_and_b64 s[10:11], s[10:11], exec
                                        ; implicit-def: $vgpr2
	s_andn2_saveexec_b64 s[2:3], s[6:7]
	s_cbranch_execz .LBB105_3
.LBB105_13:
	v_mov_b32_e32 v4, 0
	s_waitcnt lgkmcnt(0)
	v_mad_u64_u32 v[0:1], s[6:7], v2, s1, v[2:3]
	v_mov_b32_e32 v5, 0x3ff00000
	s_or_b64 s[10:11], s[10:11], exec
	s_or_b64 exec, exec, s[2:3]
	s_and_b64 exec, exec, s[10:11]
	s_cbranch_execnz .LBB105_4
	s_branch .LBB105_5
	.section	.rodata,"a",@progbits
	.p2align	6, 0x0
	.amdhsa_kernel _ZN9rocsolver6v33100L16org2r_init_identIdPdEEviiiT0_iil
		.amdhsa_group_segment_fixed_size 0
		.amdhsa_private_segment_fixed_size 0
		.amdhsa_kernarg_size 296
		.amdhsa_user_sgpr_count 6
		.amdhsa_user_sgpr_private_segment_buffer 1
		.amdhsa_user_sgpr_dispatch_ptr 0
		.amdhsa_user_sgpr_queue_ptr 0
		.amdhsa_user_sgpr_kernarg_segment_ptr 1
		.amdhsa_user_sgpr_dispatch_id 0
		.amdhsa_user_sgpr_flat_scratch_init 0
		.amdhsa_user_sgpr_kernarg_preload_length 0
		.amdhsa_user_sgpr_kernarg_preload_offset 0
		.amdhsa_user_sgpr_private_segment_size 0
		.amdhsa_uses_dynamic_stack 0
		.amdhsa_system_sgpr_private_segment_wavefront_offset 0
		.amdhsa_system_sgpr_workgroup_id_x 1
		.amdhsa_system_sgpr_workgroup_id_y 1
		.amdhsa_system_sgpr_workgroup_id_z 1
		.amdhsa_system_sgpr_workgroup_info 0
		.amdhsa_system_vgpr_workitem_id 1
		.amdhsa_next_free_vgpr 8
		.amdhsa_next_free_sgpr 16
		.amdhsa_accum_offset 8
		.amdhsa_reserve_vcc 1
		.amdhsa_reserve_flat_scratch 0
		.amdhsa_float_round_mode_32 0
		.amdhsa_float_round_mode_16_64 0
		.amdhsa_float_denorm_mode_32 3
		.amdhsa_float_denorm_mode_16_64 3
		.amdhsa_dx10_clamp 1
		.amdhsa_ieee_mode 1
		.amdhsa_fp16_overflow 0
		.amdhsa_tg_split 0
		.amdhsa_exception_fp_ieee_invalid_op 0
		.amdhsa_exception_fp_denorm_src 0
		.amdhsa_exception_fp_ieee_div_zero 0
		.amdhsa_exception_fp_ieee_overflow 0
		.amdhsa_exception_fp_ieee_underflow 0
		.amdhsa_exception_fp_ieee_inexact 0
		.amdhsa_exception_int_div_zero 0
	.end_amdhsa_kernel
	.section	.text._ZN9rocsolver6v33100L16org2r_init_identIdPdEEviiiT0_iil,"axG",@progbits,_ZN9rocsolver6v33100L16org2r_init_identIdPdEEviiiT0_iil,comdat
.Lfunc_end105:
	.size	_ZN9rocsolver6v33100L16org2r_init_identIdPdEEviiiT0_iil, .Lfunc_end105-_ZN9rocsolver6v33100L16org2r_init_identIdPdEEviiiT0_iil
                                        ; -- End function
	.section	.AMDGPU.csdata,"",@progbits
; Kernel info:
; codeLenInByte = 404
; NumSgprs: 20
; NumVgprs: 8
; NumAgprs: 0
; TotalNumVgprs: 8
; ScratchSize: 0
; MemoryBound: 0
; FloatMode: 240
; IeeeMode: 1
; LDSByteSize: 0 bytes/workgroup (compile time only)
; SGPRBlocks: 2
; VGPRBlocks: 0
; NumSGPRsForWavesPerEU: 20
; NumVGPRsForWavesPerEU: 8
; AccumOffset: 8
; Occupancy: 8
; WaveLimiterHint : 0
; COMPUTE_PGM_RSRC2:SCRATCH_EN: 0
; COMPUTE_PGM_RSRC2:USER_SGPR: 6
; COMPUTE_PGM_RSRC2:TRAP_HANDLER: 0
; COMPUTE_PGM_RSRC2:TGID_X_EN: 1
; COMPUTE_PGM_RSRC2:TGID_Y_EN: 1
; COMPUTE_PGM_RSRC2:TGID_Z_EN: 1
; COMPUTE_PGM_RSRC2:TIDIG_COMP_CNT: 1
; COMPUTE_PGM_RSRC3_GFX90A:ACCUM_OFFSET: 1
; COMPUTE_PGM_RSRC3_GFX90A:TG_SPLIT: 0
	.section	.text._ZN9rocsolver6v33100L16larf_left_kernelILi1024EdiPdEEvT1_S3_T2_lS3_lPKT0_lS4_lS3_l,"axG",@progbits,_ZN9rocsolver6v33100L16larf_left_kernelILi1024EdiPdEEvT1_S3_T2_lS3_lPKT0_lS4_lS3_l,comdat
	.globl	_ZN9rocsolver6v33100L16larf_left_kernelILi1024EdiPdEEvT1_S3_T2_lS3_lPKT0_lS4_lS3_l ; -- Begin function _ZN9rocsolver6v33100L16larf_left_kernelILi1024EdiPdEEvT1_S3_T2_lS3_lPKT0_lS4_lS3_l
	.p2align	8
	.type	_ZN9rocsolver6v33100L16larf_left_kernelILi1024EdiPdEEvT1_S3_T2_lS3_lPKT0_lS4_lS3_l,@function
_ZN9rocsolver6v33100L16larf_left_kernelILi1024EdiPdEEvT1_S3_T2_lS3_lPKT0_lS4_lS3_l: ; @_ZN9rocsolver6v33100L16larf_left_kernelILi1024EdiPdEEvT1_S3_T2_lS3_lPKT0_lS4_lS3_l
; %bb.0:
	s_load_dword s9, s[4:5], 0x0
	s_load_dwordx2 s[2:3], s[4:5], 0x40
	s_load_dword s20, s[4:5], 0x48
	s_load_dwordx2 s[10:11], s[4:5], 0x50
	s_load_dwordx8 s[12:19], s[4:5], 0x20
	s_ashr_i32 s25, s8, 31
	s_waitcnt lgkmcnt(0)
	v_cmp_gt_i32_e64 s[0:1], s9, v0
	v_pk_mov_b32 v[2:3], 0, 0
	s_mul_i32 s22, s10, s25
	s_mul_hi_u32 s23, s10, s8
	s_mul_i32 s24, s11, s8
	s_mul_i32 s6, s10, s8
	s_mul_hi_i32 s11, s7, s20
	s_mul_i32 s10, s7, s20
	s_and_saveexec_b64 s[20:21], s[0:1]
	s_cbranch_execz .LBB106_6
; %bb.1:
	s_load_dword s26, s[4:5], 0x18
	s_load_dwordx4 s[28:31], s[4:5], 0x8
	s_sub_i32 s4, 1, s9
	s_mul_hi_u32 s33, s12, s8
	s_mul_i32 s13, s13, s8
	s_waitcnt lgkmcnt(0)
	s_ashr_i32 s27, s26, 31
	s_mul_i32 s7, s4, s26
	v_cmp_lt_i64_e64 s[4:5], s[26:27], 1
	s_and_b64 s[4:5], s[4:5], exec
	s_cselect_b32 s4, s7, 0
	s_mul_i32 s7, s12, s25
	s_add_i32 s7, s33, s7
	s_ashr_i32 s5, s4, 31
	s_add_i32 s13, s7, s13
	s_mul_i32 s12, s12, s8
	s_lshl_b64 s[12:13], s[12:13], 3
	s_lshl_b64 s[30:31], s[30:31], 3
	;; [unrolled: 1-line block ×3, first 2 shown]
	s_add_u32 s4, s28, s4
	s_addc_u32 s5, s29, s5
	s_add_u32 s4, s4, s30
	s_addc_u32 s5, s5, s31
	v_mad_i64_i32 v[2:3], s[34:35], s26, v0, 0
	s_add_u32 s4, s4, s12
	v_lshl_add_u32 v1, v0, 3, 0
	v_lshlrev_b64 v[2:3], 3, v[2:3]
	s_addc_u32 s5, s5, s13
	v_add_u32_e32 v1, 0x80, v1
	v_mov_b32_e32 v4, s5
	v_add_co_u32_e32 v2, vcc, s4, v2
	s_lshl_b64 s[12:13], s[26:27], 13
	v_addc_co_u32_e32 v3, vcc, v4, v3, vcc
	s_mov_b64 s[4:5], 0
	v_mov_b32_e32 v4, s13
	v_mov_b32_e32 v5, v1
	;; [unrolled: 1-line block ×3, first 2 shown]
.LBB106_2:                              ; =>This Inner Loop Header: Depth=1
	global_load_dwordx2 v[8:9], v[2:3], off
	v_add_co_u32_e32 v2, vcc, s12, v2
	v_add_u32_e32 v6, 0x400, v6
	v_addc_co_u32_e32 v3, vcc, v3, v4, vcc
	v_cmp_le_i32_e32 vcc, s9, v6
	s_or_b64 s[4:5], vcc, s[4:5]
	s_waitcnt vmcnt(0)
	ds_write_b64 v5, v[8:9]
	v_add_u32_e32 v5, 0x2000, v5
	s_andn2_b64 exec, exec, s[4:5]
	s_cbranch_execnz .LBB106_2
; %bb.3:
	s_or_b64 exec, exec, s[4:5]
	s_add_i32 s4, s23, s22
	s_add_i32 s7, s4, s24
	s_lshl_b64 s[4:5], s[6:7], 3
	s_lshl_b64 s[12:13], s[10:11], 3
	s_add_u32 s7, s4, s12
	s_addc_u32 s12, s5, s13
	s_lshl_b64 s[4:5], s[2:3], 3
	s_add_u32 s4, s7, s4
	s_addc_u32 s5, s12, s5
	s_add_u32 s4, s18, s4
	v_lshlrev_b32_e32 v2, 3, v0
	s_addc_u32 s5, s19, s5
	v_mov_b32_e32 v3, s5
	v_add_co_u32_e32 v4, vcc, s4, v2
	v_addc_co_u32_e32 v5, vcc, 0, v3, vcc
	s_mov_b64 s[4:5], 0
	v_pk_mov_b32 v[2:3], 0, 0
	v_mov_b32_e32 v6, v0
.LBB106_4:                              ; =>This Inner Loop Header: Depth=1
	global_load_dwordx2 v[8:9], v[4:5], off
	ds_read_b64 v[10:11], v1
	v_add_co_u32_e32 v4, vcc, 0x2000, v4
	v_add_u32_e32 v6, 0x400, v6
	v_addc_co_u32_e32 v5, vcc, 0, v5, vcc
	v_cmp_le_i32_e32 vcc, s9, v6
	v_add_u32_e32 v1, 0x2000, v1
	s_or_b64 s[4:5], vcc, s[4:5]
	s_waitcnt vmcnt(0) lgkmcnt(0)
	v_mul_f64 v[8:9], v[8:9], v[10:11]
	v_add_f64 v[2:3], v[2:3], v[8:9]
	s_andn2_b64 exec, exec, s[4:5]
	s_cbranch_execnz .LBB106_4
; %bb.5:
	s_or_b64 exec, exec, s[4:5]
.LBB106_6:
	s_or_b64 exec, exec, s[20:21]
	v_mbcnt_lo_u32_b32 v1, -1, 0
	v_mbcnt_hi_u32_b32 v1, -1, v1
	v_and_b32_e32 v6, 63, v1
	v_cmp_ne_u32_e32 vcc, 63, v6
	v_addc_co_u32_e32 v4, vcc, 0, v1, vcc
	v_lshlrev_b32_e32 v5, 2, v4
	ds_bpermute_b32 v4, v5, v2
	ds_bpermute_b32 v5, v5, v3
	v_cmp_gt_u32_e32 vcc, 62, v6
	s_waitcnt lgkmcnt(0)
	v_add_f64 v[2:3], v[2:3], v[4:5]
	v_cndmask_b32_e64 v4, 0, 1, vcc
	v_lshlrev_b32_e32 v4, 1, v4
	v_add_lshl_u32 v5, v4, v1, 2
	ds_bpermute_b32 v4, v5, v2
	ds_bpermute_b32 v5, v5, v3
	v_cmp_gt_u32_e32 vcc, 60, v6
	s_waitcnt lgkmcnt(0)
	v_add_f64 v[2:3], v[2:3], v[4:5]
	v_cndmask_b32_e64 v4, 0, 1, vcc
	v_lshlrev_b32_e32 v4, 2, v4
	v_add_lshl_u32 v5, v4, v1, 2
	;; [unrolled: 8-line block ×5, first 2 shown]
	ds_bpermute_b32 v4, v1, v2
	ds_bpermute_b32 v5, v1, v3
	v_and_b32_e32 v1, 63, v0
	v_cmp_eq_u32_e32 vcc, 0, v1
	s_waitcnt lgkmcnt(0)
	v_add_f64 v[2:3], v[2:3], v[4:5]
	s_and_saveexec_b64 s[4:5], vcc
	s_cbranch_execz .LBB106_8
; %bb.7:
	v_lshrrev_b32_e32 v1, 3, v0
	v_add_u32_e32 v1, 0, v1
	ds_write_b64 v1, v[2:3]
.LBB106_8:
	s_or_b64 exec, exec, s[4:5]
	v_cmp_eq_u32_e32 vcc, 0, v0
	s_waitcnt lgkmcnt(0)
	s_barrier
	s_and_saveexec_b64 s[4:5], vcc
	s_cbranch_execz .LBB106_10
; %bb.9:
	v_mov_b32_e32 v1, 0
	ds_read2_b64 v[4:7], v1 offset0:1 offset1:2
	ds_read2_b64 v[8:11], v1 offset0:3 offset1:4
	;; [unrolled: 1-line block ×4, first 2 shown]
	s_waitcnt lgkmcnt(3)
	v_add_f64 v[2:3], v[2:3], v[4:5]
	v_add_f64 v[2:3], v[2:3], v[6:7]
	s_waitcnt lgkmcnt(2)
	v_add_f64 v[2:3], v[2:3], v[8:9]
	v_add_f64 v[2:3], v[2:3], v[10:11]
	s_waitcnt lgkmcnt(1)
	v_add_f64 v[6:7], v[2:3], v[12:13]
	ds_read2_b64 v[2:5], v1 offset0:9 offset1:10
	v_add_f64 v[6:7], v[6:7], v[14:15]
	s_waitcnt lgkmcnt(1)
	v_add_f64 v[6:7], v[6:7], v[16:17]
	v_add_f64 v[10:11], v[6:7], v[18:19]
	ds_read2_b64 v[6:9], v1 offset0:11 offset1:12
	s_waitcnt lgkmcnt(1)
	v_add_f64 v[2:3], v[10:11], v[2:3]
	ds_read2_b64 v[10:13], v1 offset0:13 offset1:14
	v_add_f64 v[2:3], v[2:3], v[4:5]
	ds_read_b64 v[4:5], v1 offset:120
	s_waitcnt lgkmcnt(2)
	v_add_f64 v[2:3], v[2:3], v[6:7]
	v_add_f64 v[2:3], v[2:3], v[8:9]
	s_waitcnt lgkmcnt(1)
	v_add_f64 v[2:3], v[2:3], v[10:11]
	v_add_f64 v[2:3], v[2:3], v[12:13]
	s_waitcnt lgkmcnt(0)
	v_add_f64 v[2:3], v[2:3], v[4:5]
	ds_write_b64 v1, v[2:3]
.LBB106_10:
	s_or_b64 exec, exec, s[4:5]
	s_waitcnt lgkmcnt(0)
	s_barrier
	s_and_saveexec_b64 s[4:5], s[0:1]
	s_cbranch_execz .LBB106_13
; %bb.11:
	s_mul_i32 s0, s8, s17
	s_mul_hi_u32 s1, s8, s16
	s_add_i32 s0, s1, s0
	s_mul_i32 s1, s25, s16
	s_add_i32 s1, s0, s1
	s_mul_i32 s0, s8, s16
	s_lshl_b64 s[0:1], s[0:1], 3
	s_add_u32 s0, s14, s0
	s_addc_u32 s1, s15, s1
	v_mov_b32_e32 v1, 0
	s_load_dwordx2 s[0:1], s[0:1], 0x0
	ds_read_b64 v[2:3], v1
	s_lshl_b64 s[4:5], s[10:11], 3
	v_lshlrev_b32_e32 v4, 3, v0
	v_add_u32_e32 v1, 0, v4
	v_add_u32_e32 v1, 0x80, v1
	s_waitcnt lgkmcnt(0)
	v_mul_f64 v[2:3], v[2:3], -s[0:1]
	s_add_i32 s0, s23, s22
	s_add_i32 s7, s0, s24
	s_lshl_b64 s[0:1], s[6:7], 3
	s_add_u32 s4, s0, s4
	s_addc_u32 s5, s1, s5
	s_lshl_b64 s[0:1], s[2:3], 3
	s_add_u32 s0, s4, s0
	s_addc_u32 s1, s5, s1
	s_add_u32 s0, s18, s0
	s_addc_u32 s1, s19, s1
	v_mov_b32_e32 v5, s1
	v_add_co_u32_e32 v4, vcc, s0, v4
	v_addc_co_u32_e32 v5, vcc, 0, v5, vcc
	s_mov_b64 s[0:1], 0
.LBB106_12:                             ; =>This Inner Loop Header: Depth=1
	global_load_dwordx2 v[6:7], v[4:5], off
	ds_read_b64 v[8:9], v1
	v_add_u32_e32 v0, 0x400, v0
	v_cmp_le_i32_e32 vcc, s9, v0
	s_or_b64 s[0:1], vcc, s[0:1]
	v_add_u32_e32 v1, 0x2000, v1
	s_waitcnt vmcnt(0) lgkmcnt(0)
	v_fmac_f64_e32 v[6:7], v[2:3], v[8:9]
	global_store_dwordx2 v[4:5], v[6:7], off
	v_add_co_u32_e32 v4, vcc, 0x2000, v4
	v_addc_co_u32_e32 v5, vcc, 0, v5, vcc
	s_andn2_b64 exec, exec, s[0:1]
	s_cbranch_execnz .LBB106_12
.LBB106_13:
	s_endpgm
	.section	.rodata,"a",@progbits
	.p2align	6, 0x0
	.amdhsa_kernel _ZN9rocsolver6v33100L16larf_left_kernelILi1024EdiPdEEvT1_S3_T2_lS3_lPKT0_lS4_lS3_l
		.amdhsa_group_segment_fixed_size 0
		.amdhsa_private_segment_fixed_size 0
		.amdhsa_kernarg_size 88
		.amdhsa_user_sgpr_count 6
		.amdhsa_user_sgpr_private_segment_buffer 1
		.amdhsa_user_sgpr_dispatch_ptr 0
		.amdhsa_user_sgpr_queue_ptr 0
		.amdhsa_user_sgpr_kernarg_segment_ptr 1
		.amdhsa_user_sgpr_dispatch_id 0
		.amdhsa_user_sgpr_flat_scratch_init 0
		.amdhsa_user_sgpr_kernarg_preload_length 0
		.amdhsa_user_sgpr_kernarg_preload_offset 0
		.amdhsa_user_sgpr_private_segment_size 0
		.amdhsa_uses_dynamic_stack 0
		.amdhsa_system_sgpr_private_segment_wavefront_offset 0
		.amdhsa_system_sgpr_workgroup_id_x 1
		.amdhsa_system_sgpr_workgroup_id_y 1
		.amdhsa_system_sgpr_workgroup_id_z 1
		.amdhsa_system_sgpr_workgroup_info 0
		.amdhsa_system_vgpr_workitem_id 0
		.amdhsa_next_free_vgpr 20
		.amdhsa_next_free_sgpr 36
		.amdhsa_accum_offset 20
		.amdhsa_reserve_vcc 1
		.amdhsa_reserve_flat_scratch 0
		.amdhsa_float_round_mode_32 0
		.amdhsa_float_round_mode_16_64 0
		.amdhsa_float_denorm_mode_32 3
		.amdhsa_float_denorm_mode_16_64 3
		.amdhsa_dx10_clamp 1
		.amdhsa_ieee_mode 1
		.amdhsa_fp16_overflow 0
		.amdhsa_tg_split 0
		.amdhsa_exception_fp_ieee_invalid_op 0
		.amdhsa_exception_fp_denorm_src 0
		.amdhsa_exception_fp_ieee_div_zero 0
		.amdhsa_exception_fp_ieee_overflow 0
		.amdhsa_exception_fp_ieee_underflow 0
		.amdhsa_exception_fp_ieee_inexact 0
		.amdhsa_exception_int_div_zero 0
	.end_amdhsa_kernel
	.section	.text._ZN9rocsolver6v33100L16larf_left_kernelILi1024EdiPdEEvT1_S3_T2_lS3_lPKT0_lS4_lS3_l,"axG",@progbits,_ZN9rocsolver6v33100L16larf_left_kernelILi1024EdiPdEEvT1_S3_T2_lS3_lPKT0_lS4_lS3_l,comdat
.Lfunc_end106:
	.size	_ZN9rocsolver6v33100L16larf_left_kernelILi1024EdiPdEEvT1_S3_T2_lS3_lPKT0_lS4_lS3_l, .Lfunc_end106-_ZN9rocsolver6v33100L16larf_left_kernelILi1024EdiPdEEvT1_S3_T2_lS3_lPKT0_lS4_lS3_l
                                        ; -- End function
	.section	.AMDGPU.csdata,"",@progbits
; Kernel info:
; codeLenInByte = 1348
; NumSgprs: 40
; NumVgprs: 20
; NumAgprs: 0
; TotalNumVgprs: 20
; ScratchSize: 0
; MemoryBound: 0
; FloatMode: 240
; IeeeMode: 1
; LDSByteSize: 0 bytes/workgroup (compile time only)
; SGPRBlocks: 4
; VGPRBlocks: 2
; NumSGPRsForWavesPerEU: 40
; NumVGPRsForWavesPerEU: 20
; AccumOffset: 20
; Occupancy: 8
; WaveLimiterHint : 0
; COMPUTE_PGM_RSRC2:SCRATCH_EN: 0
; COMPUTE_PGM_RSRC2:USER_SGPR: 6
; COMPUTE_PGM_RSRC2:TRAP_HANDLER: 0
; COMPUTE_PGM_RSRC2:TGID_X_EN: 1
; COMPUTE_PGM_RSRC2:TGID_Y_EN: 1
; COMPUTE_PGM_RSRC2:TGID_Z_EN: 1
; COMPUTE_PGM_RSRC2:TIDIG_COMP_CNT: 0
; COMPUTE_PGM_RSRC3_GFX90A:ACCUM_OFFSET: 4
; COMPUTE_PGM_RSRC3_GFX90A:TG_SPLIT: 0
	.section	.text._ZN9rocsolver6v33100L17larf_right_kernelILi1024EdiPdEEvT1_S3_T2_lS3_lPKT0_lS4_lS3_l,"axG",@progbits,_ZN9rocsolver6v33100L17larf_right_kernelILi1024EdiPdEEvT1_S3_T2_lS3_lPKT0_lS4_lS3_l,comdat
	.globl	_ZN9rocsolver6v33100L17larf_right_kernelILi1024EdiPdEEvT1_S3_T2_lS3_lPKT0_lS4_lS3_l ; -- Begin function _ZN9rocsolver6v33100L17larf_right_kernelILi1024EdiPdEEvT1_S3_T2_lS3_lPKT0_lS4_lS3_l
	.p2align	8
	.type	_ZN9rocsolver6v33100L17larf_right_kernelILi1024EdiPdEEvT1_S3_T2_lS3_lPKT0_lS4_lS3_l,@function
_ZN9rocsolver6v33100L17larf_right_kernelILi1024EdiPdEEvT1_S3_T2_lS3_lPKT0_lS4_lS3_l: ; @_ZN9rocsolver6v33100L17larf_right_kernelILi1024EdiPdEEvT1_S3_T2_lS3_lPKT0_lS4_lS3_l
; %bb.0:
	s_load_dword s9, s[4:5], 0x4
	s_load_dwordx8 s[12:19], s[4:5], 0x20
	s_load_dwordx2 s[10:11], s[4:5], 0x40
	s_load_dword s2, s[4:5], 0x48
	s_load_dwordx2 s[0:1], s[4:5], 0x50
	s_ashr_i32 s27, s8, 31
	s_mov_b32 s6, s7
	s_ashr_i32 s7, s7, 31
	s_waitcnt lgkmcnt(0)
	v_cmp_gt_i32_e32 vcc, s9, v0
	v_pk_mov_b32 v[2:3], 0, 0
	v_lshl_add_u32 v1, v0, 3, 0
	s_mul_i32 s24, s0, s27
	s_mul_hi_u32 s25, s0, s8
	s_mul_i32 s26, s1, s8
	s_mul_i32 s20, s0, s8
	s_and_saveexec_b64 s[22:23], vcc
	s_cbranch_execz .LBB107_6
; %bb.1:
	s_load_dword s34, s[4:5], 0x18
	s_load_dwordx4 s[28:31], s[4:5], 0x8
	s_sub_i32 s0, 1, s9
	s_mul_hi_u32 s4, s12, s8
	v_add_u32_e32 v6, 0x80, v1
	s_waitcnt lgkmcnt(0)
	s_ashr_i32 s35, s34, 31
	s_mul_i32 s3, s0, s34
	v_cmp_lt_i64_e64 s[0:1], s[34:35], 1
	s_and_b64 s[0:1], s[0:1], exec
	s_cselect_b32 s0, s3, 0
	s_mul_i32 s3, s12, s27
	s_add_i32 s3, s4, s3
	s_mul_i32 s4, s13, s8
	s_ashr_i32 s1, s0, 31
	s_add_i32 s5, s3, s4
	s_mul_i32 s4, s12, s8
	v_mad_i64_i32 v[2:3], s[12:13], s34, v0, 0
	s_lshl_b64 s[4:5], s[4:5], 3
	s_lshl_b64 s[12:13], s[30:31], 3
	;; [unrolled: 1-line block ×3, first 2 shown]
	s_add_u32 s0, s28, s0
	s_addc_u32 s1, s29, s1
	s_add_u32 s0, s0, s12
	s_addc_u32 s1, s1, s13
	s_add_u32 s0, s0, s4
	v_lshlrev_b64 v[2:3], 3, v[2:3]
	s_addc_u32 s1, s1, s5
	v_mov_b32_e32 v4, s1
	v_add_co_u32_e64 v2, s[0:1], s0, v2
	s_lshl_b64 s[12:13], s[34:35], 13
	v_addc_co_u32_e64 v3, s[0:1], v4, v3, s[0:1]
	s_mov_b64 s[4:5], 0
	v_mov_b32_e32 v4, s13
	v_mov_b32_e32 v5, v6
	;; [unrolled: 1-line block ×3, first 2 shown]
.LBB107_2:                              ; =>This Inner Loop Header: Depth=1
	global_load_dwordx2 v[8:9], v[2:3], off
	v_add_co_u32_e64 v2, s[0:1], s12, v2
	v_add_u32_e32 v7, 0x400, v7
	v_addc_co_u32_e64 v3, s[0:1], v3, v4, s[0:1]
	v_cmp_le_i32_e64 s[0:1], s9, v7
	s_or_b64 s[4:5], s[0:1], s[4:5]
	s_waitcnt vmcnt(0)
	ds_write_b64 v5, v[8:9]
	v_add_u32_e32 v5, 0x2000, v5
	s_andn2_b64 exec, exec, s[4:5]
	s_cbranch_execnz .LBB107_2
; %bb.3:
	s_or_b64 exec, exec, s[4:5]
	s_add_i32 s0, s25, s24
	s_add_i32 s21, s0, s26
	v_mad_i64_i32 v[2:3], s[4:5], s2, v0, 0
	s_ashr_i32 s3, s2, 31
	s_lshl_b64 s[0:1], s[20:21], 3
	s_lshl_b64 s[4:5], s[10:11], 3
	;; [unrolled: 1-line block ×3, first 2 shown]
	s_add_u32 s12, s18, s12
	s_addc_u32 s13, s19, s13
	s_add_u32 s4, s12, s4
	s_addc_u32 s5, s13, s5
	s_add_u32 s0, s4, s0
	v_lshlrev_b64 v[2:3], 3, v[2:3]
	s_addc_u32 s1, s5, s1
	v_mov_b32_e32 v5, s1
	v_add_co_u32_e64 v4, s[0:1], s0, v2
	s_lshl_b64 s[12:13], s[2:3], 13
	v_addc_co_u32_e64 v5, s[0:1], v5, v3, s[0:1]
	s_mov_b64 s[4:5], 0
	v_pk_mov_b32 v[2:3], 0, 0
	v_mov_b32_e32 v7, s13
	v_mov_b32_e32 v8, v0
.LBB107_4:                              ; =>This Inner Loop Header: Depth=1
	global_load_dwordx2 v[10:11], v[4:5], off
	ds_read_b64 v[12:13], v6
	v_add_co_u32_e64 v4, s[0:1], s12, v4
	v_add_u32_e32 v8, 0x400, v8
	v_addc_co_u32_e64 v5, s[0:1], v5, v7, s[0:1]
	v_cmp_le_i32_e64 s[0:1], s9, v8
	v_add_u32_e32 v6, 0x2000, v6
	s_or_b64 s[4:5], s[0:1], s[4:5]
	s_waitcnt vmcnt(0) lgkmcnt(0)
	v_mul_f64 v[10:11], v[10:11], v[12:13]
	v_add_f64 v[2:3], v[2:3], v[10:11]
	s_andn2_b64 exec, exec, s[4:5]
	s_cbranch_execnz .LBB107_4
; %bb.5:
	s_or_b64 exec, exec, s[4:5]
.LBB107_6:
	s_or_b64 exec, exec, s[22:23]
	v_mbcnt_lo_u32_b32 v4, -1, 0
	v_mbcnt_hi_u32_b32 v6, -1, v4
	v_and_b32_e32 v7, 63, v6
	v_cmp_ne_u32_e64 s[0:1], 63, v7
	v_addc_co_u32_e64 v4, s[0:1], 0, v6, s[0:1]
	v_lshlrev_b32_e32 v5, 2, v4
	ds_bpermute_b32 v4, v5, v2
	ds_bpermute_b32 v5, v5, v3
	v_cmp_gt_u32_e64 s[0:1], 62, v7
	s_waitcnt lgkmcnt(0)
	v_add_f64 v[2:3], v[2:3], v[4:5]
	v_cndmask_b32_e64 v4, 0, 1, s[0:1]
	v_lshlrev_b32_e32 v4, 1, v4
	v_add_lshl_u32 v5, v4, v6, 2
	ds_bpermute_b32 v4, v5, v2
	ds_bpermute_b32 v5, v5, v3
	v_cmp_gt_u32_e64 s[0:1], 60, v7
	s_waitcnt lgkmcnt(0)
	v_add_f64 v[2:3], v[2:3], v[4:5]
	v_cndmask_b32_e64 v4, 0, 1, s[0:1]
	v_lshlrev_b32_e32 v4, 2, v4
	v_add_lshl_u32 v5, v4, v6, 2
	;; [unrolled: 8-line block ×5, first 2 shown]
	ds_bpermute_b32 v4, v5, v2
	ds_bpermute_b32 v5, v5, v3
	s_waitcnt lgkmcnt(0)
	v_add_f64 v[2:3], v[2:3], v[4:5]
	v_and_b32_e32 v4, 63, v0
	v_cmp_eq_u32_e64 s[0:1], 0, v4
	s_and_saveexec_b64 s[4:5], s[0:1]
	s_cbranch_execz .LBB107_8
; %bb.7:
	v_lshrrev_b32_e32 v4, 3, v0
	v_add_u32_e32 v4, 0, v4
	ds_write_b64 v4, v[2:3]
.LBB107_8:
	s_or_b64 exec, exec, s[4:5]
	v_cmp_eq_u32_e64 s[0:1], 0, v0
	s_waitcnt lgkmcnt(0)
	s_barrier
	s_and_saveexec_b64 s[4:5], s[0:1]
	s_cbranch_execz .LBB107_10
; %bb.9:
	v_mov_b32_e32 v20, 0
	ds_read2_b64 v[4:7], v20 offset0:1 offset1:2
	ds_read2_b64 v[8:11], v20 offset0:3 offset1:4
	;; [unrolled: 1-line block ×4, first 2 shown]
	s_waitcnt lgkmcnt(3)
	v_add_f64 v[2:3], v[2:3], v[4:5]
	v_add_f64 v[2:3], v[2:3], v[6:7]
	s_waitcnt lgkmcnt(2)
	v_add_f64 v[2:3], v[2:3], v[8:9]
	v_add_f64 v[2:3], v[2:3], v[10:11]
	s_waitcnt lgkmcnt(1)
	v_add_f64 v[6:7], v[2:3], v[12:13]
	ds_read2_b64 v[2:5], v20 offset0:9 offset1:10
	v_add_f64 v[6:7], v[6:7], v[14:15]
	s_waitcnt lgkmcnt(1)
	v_add_f64 v[6:7], v[6:7], v[16:17]
	v_add_f64 v[10:11], v[6:7], v[18:19]
	ds_read2_b64 v[6:9], v20 offset0:11 offset1:12
	s_waitcnt lgkmcnt(1)
	v_add_f64 v[2:3], v[10:11], v[2:3]
	ds_read2_b64 v[10:13], v20 offset0:13 offset1:14
	v_add_f64 v[2:3], v[2:3], v[4:5]
	ds_read_b64 v[4:5], v20 offset:120
	s_waitcnt lgkmcnt(2)
	v_add_f64 v[2:3], v[2:3], v[6:7]
	v_add_f64 v[2:3], v[2:3], v[8:9]
	s_waitcnt lgkmcnt(1)
	v_add_f64 v[2:3], v[2:3], v[10:11]
	v_add_f64 v[2:3], v[2:3], v[12:13]
	s_waitcnt lgkmcnt(0)
	v_add_f64 v[2:3], v[2:3], v[4:5]
	ds_write_b64 v20, v[2:3]
.LBB107_10:
	s_or_b64 exec, exec, s[4:5]
	s_waitcnt lgkmcnt(0)
	s_barrier
	s_and_saveexec_b64 s[0:1], vcc
	s_cbranch_execz .LBB107_13
; %bb.11:
	s_mul_i32 s0, s8, s17
	s_mul_hi_u32 s1, s8, s16
	s_add_i32 s0, s1, s0
	s_mul_i32 s1, s27, s16
	s_add_i32 s1, s0, s1
	s_mul_i32 s0, s8, s16
	s_lshl_b64 s[0:1], s[0:1], 3
	s_add_u32 s0, s14, s0
	s_addc_u32 s1, s15, s1
	v_mov_b32_e32 v2, 0
	s_load_dwordx2 s[0:1], s[0:1], 0x0
	ds_read_b64 v[2:3], v2
	v_mad_i64_i32 v[4:5], s[4:5], s2, v0, 0
	s_ashr_i32 s3, s2, 31
	s_lshl_b64 s[4:5], s[10:11], 3
	s_waitcnt lgkmcnt(0)
	v_mul_f64 v[2:3], v[2:3], -s[0:1]
	s_add_i32 s0, s25, s24
	s_add_i32 s21, s0, s26
	s_lshl_b64 s[0:1], s[20:21], 3
	s_lshl_b64 s[6:7], s[6:7], 3
	s_add_u32 s6, s18, s6
	s_addc_u32 s7, s19, s7
	s_add_u32 s4, s6, s4
	s_addc_u32 s5, s7, s5
	s_add_u32 s0, s4, s0
	v_lshlrev_b64 v[4:5], 3, v[4:5]
	s_addc_u32 s1, s5, s1
	v_mov_b32_e32 v6, s1
	v_add_co_u32_e32 v4, vcc, s0, v4
	s_lshl_b64 s[0:1], s[2:3], 13
	v_add_u32_e32 v1, 0x80, v1
	v_addc_co_u32_e32 v5, vcc, v6, v5, vcc
	s_mov_b64 s[2:3], 0
	v_mov_b32_e32 v6, s1
.LBB107_12:                             ; =>This Inner Loop Header: Depth=1
	global_load_dwordx2 v[8:9], v[4:5], off
	ds_read_b64 v[10:11], v1
	v_add_u32_e32 v0, 0x400, v0
	v_cmp_le_i32_e32 vcc, s9, v0
	s_or_b64 s[2:3], vcc, s[2:3]
	v_add_u32_e32 v1, 0x2000, v1
	s_waitcnt vmcnt(0) lgkmcnt(0)
	v_fmac_f64_e32 v[8:9], v[2:3], v[10:11]
	global_store_dwordx2 v[4:5], v[8:9], off
	v_add_co_u32_e32 v4, vcc, s0, v4
	v_addc_co_u32_e32 v5, vcc, v5, v6, vcc
	s_andn2_b64 exec, exec, s[2:3]
	s_cbranch_execnz .LBB107_12
.LBB107_13:
	s_endpgm
	.section	.rodata,"a",@progbits
	.p2align	6, 0x0
	.amdhsa_kernel _ZN9rocsolver6v33100L17larf_right_kernelILi1024EdiPdEEvT1_S3_T2_lS3_lPKT0_lS4_lS3_l
		.amdhsa_group_segment_fixed_size 0
		.amdhsa_private_segment_fixed_size 0
		.amdhsa_kernarg_size 88
		.amdhsa_user_sgpr_count 6
		.amdhsa_user_sgpr_private_segment_buffer 1
		.amdhsa_user_sgpr_dispatch_ptr 0
		.amdhsa_user_sgpr_queue_ptr 0
		.amdhsa_user_sgpr_kernarg_segment_ptr 1
		.amdhsa_user_sgpr_dispatch_id 0
		.amdhsa_user_sgpr_flat_scratch_init 0
		.amdhsa_user_sgpr_kernarg_preload_length 0
		.amdhsa_user_sgpr_kernarg_preload_offset 0
		.amdhsa_user_sgpr_private_segment_size 0
		.amdhsa_uses_dynamic_stack 0
		.amdhsa_system_sgpr_private_segment_wavefront_offset 0
		.amdhsa_system_sgpr_workgroup_id_x 1
		.amdhsa_system_sgpr_workgroup_id_y 1
		.amdhsa_system_sgpr_workgroup_id_z 1
		.amdhsa_system_sgpr_workgroup_info 0
		.amdhsa_system_vgpr_workitem_id 0
		.amdhsa_next_free_vgpr 21
		.amdhsa_next_free_sgpr 36
		.amdhsa_accum_offset 24
		.amdhsa_reserve_vcc 1
		.amdhsa_reserve_flat_scratch 0
		.amdhsa_float_round_mode_32 0
		.amdhsa_float_round_mode_16_64 0
		.amdhsa_float_denorm_mode_32 3
		.amdhsa_float_denorm_mode_16_64 3
		.amdhsa_dx10_clamp 1
		.amdhsa_ieee_mode 1
		.amdhsa_fp16_overflow 0
		.amdhsa_tg_split 0
		.amdhsa_exception_fp_ieee_invalid_op 0
		.amdhsa_exception_fp_denorm_src 0
		.amdhsa_exception_fp_ieee_div_zero 0
		.amdhsa_exception_fp_ieee_overflow 0
		.amdhsa_exception_fp_ieee_underflow 0
		.amdhsa_exception_fp_ieee_inexact 0
		.amdhsa_exception_int_div_zero 0
	.end_amdhsa_kernel
	.section	.text._ZN9rocsolver6v33100L17larf_right_kernelILi1024EdiPdEEvT1_S3_T2_lS3_lPKT0_lS4_lS3_l,"axG",@progbits,_ZN9rocsolver6v33100L17larf_right_kernelILi1024EdiPdEEvT1_S3_T2_lS3_lPKT0_lS4_lS3_l,comdat
.Lfunc_end107:
	.size	_ZN9rocsolver6v33100L17larf_right_kernelILi1024EdiPdEEvT1_S3_T2_lS3_lPKT0_lS4_lS3_l, .Lfunc_end107-_ZN9rocsolver6v33100L17larf_right_kernelILi1024EdiPdEEvT1_S3_T2_lS3_lPKT0_lS4_lS3_l
                                        ; -- End function
	.section	.AMDGPU.csdata,"",@progbits
; Kernel info:
; codeLenInByte = 1456
; NumSgprs: 40
; NumVgprs: 21
; NumAgprs: 0
; TotalNumVgprs: 21
; ScratchSize: 0
; MemoryBound: 0
; FloatMode: 240
; IeeeMode: 1
; LDSByteSize: 0 bytes/workgroup (compile time only)
; SGPRBlocks: 4
; VGPRBlocks: 2
; NumSGPRsForWavesPerEU: 40
; NumVGPRsForWavesPerEU: 21
; AccumOffset: 24
; Occupancy: 8
; WaveLimiterHint : 0
; COMPUTE_PGM_RSRC2:SCRATCH_EN: 0
; COMPUTE_PGM_RSRC2:USER_SGPR: 6
; COMPUTE_PGM_RSRC2:TRAP_HANDLER: 0
; COMPUTE_PGM_RSRC2:TGID_X_EN: 1
; COMPUTE_PGM_RSRC2:TGID_Y_EN: 1
; COMPUTE_PGM_RSRC2:TGID_Z_EN: 1
; COMPUTE_PGM_RSRC2:TIDIG_COMP_CNT: 0
; COMPUTE_PGM_RSRC3_GFX90A:ACCUM_OFFSET: 5
; COMPUTE_PGM_RSRC3_GFX90A:TG_SPLIT: 0
	.section	.text._ZN9rocsolver6v33100L12subtract_tauIdPdEEviiT0_iilPT_l,"axG",@progbits,_ZN9rocsolver6v33100L12subtract_tauIdPdEEviiT0_iilPT_l,comdat
	.globl	_ZN9rocsolver6v33100L12subtract_tauIdPdEEviiT0_iilPT_l ; -- Begin function _ZN9rocsolver6v33100L12subtract_tauIdPdEEviiT0_iilPT_l
	.p2align	8
	.type	_ZN9rocsolver6v33100L12subtract_tauIdPdEEviiT0_iilPT_l,@function
_ZN9rocsolver6v33100L12subtract_tauIdPdEEviiT0_iilPT_l: ; @_ZN9rocsolver6v33100L12subtract_tauIdPdEEviiT0_iilPT_l
; %bb.0:
	s_load_dwordx2 s[12:13], s[4:5], 0x10
	s_load_dwordx4 s[0:3], s[4:5], 0x18
	s_load_dwordx4 s[8:11], s[4:5], 0x0
	s_load_dwordx2 s[14:15], s[4:5], 0x28
	v_mov_b32_e32 v2, 0
	s_waitcnt lgkmcnt(0)
	s_ashr_i32 s5, s12, 31
	s_mul_i32 s1, s6, s1
	s_mul_hi_u32 s7, s6, s0
	s_add_i32 s1, s7, s1
	s_mul_i32 s0, s6, s0
	s_lshl_b64 s[0:1], s[0:1], 3
	s_mov_b32 s4, s12
	s_add_u32 s7, s10, s0
	s_addc_u32 s10, s11, s1
	s_lshl_b64 s[0:1], s[4:5], 3
	s_add_u32 s4, s7, s0
	s_addc_u32 s5, s10, s1
	s_mul_i32 s0, s6, s15
	s_mul_hi_u32 s1, s6, s14
	s_add_i32 s1, s1, s0
	s_mul_i32 s0, s6, s14
	s_lshl_b64 s[0:1], s[0:1], 3
	s_add_u32 s0, s2, s0
	s_addc_u32 s1, s3, s1
	s_load_dwordx2 s[2:3], s[0:1], 0x0
	s_waitcnt lgkmcnt(0)
	s_xor_b32 s6, s3, 0x80000000
	v_mov_b32_e32 v0, s2
	v_mov_b32_e32 v1, s6
	global_store_dwordx2 v2, v[0:1], s[0:1]
	s_mul_i32 s0, s13, s9
	s_add_i32 s0, s0, s8
	s_ashr_i32 s1, s0, 31
	s_lshl_b64 s[0:1], s[0:1], 3
	s_add_u32 s0, s4, s0
	v_add_f64 v[0:1], -s[2:3], 1.0
	s_addc_u32 s1, s5, s1
	global_store_dwordx2 v2, v[0:1], s[0:1]
	s_endpgm
	.section	.rodata,"a",@progbits
	.p2align	6, 0x0
	.amdhsa_kernel _ZN9rocsolver6v33100L12subtract_tauIdPdEEviiT0_iilPT_l
		.amdhsa_group_segment_fixed_size 0
		.amdhsa_private_segment_fixed_size 0
		.amdhsa_kernarg_size 48
		.amdhsa_user_sgpr_count 6
		.amdhsa_user_sgpr_private_segment_buffer 1
		.amdhsa_user_sgpr_dispatch_ptr 0
		.amdhsa_user_sgpr_queue_ptr 0
		.amdhsa_user_sgpr_kernarg_segment_ptr 1
		.amdhsa_user_sgpr_dispatch_id 0
		.amdhsa_user_sgpr_flat_scratch_init 0
		.amdhsa_user_sgpr_kernarg_preload_length 0
		.amdhsa_user_sgpr_kernarg_preload_offset 0
		.amdhsa_user_sgpr_private_segment_size 0
		.amdhsa_uses_dynamic_stack 0
		.amdhsa_system_sgpr_private_segment_wavefront_offset 0
		.amdhsa_system_sgpr_workgroup_id_x 1
		.amdhsa_system_sgpr_workgroup_id_y 0
		.amdhsa_system_sgpr_workgroup_id_z 0
		.amdhsa_system_sgpr_workgroup_info 0
		.amdhsa_system_vgpr_workitem_id 0
		.amdhsa_next_free_vgpr 3
		.amdhsa_next_free_sgpr 16
		.amdhsa_accum_offset 4
		.amdhsa_reserve_vcc 0
		.amdhsa_reserve_flat_scratch 0
		.amdhsa_float_round_mode_32 0
		.amdhsa_float_round_mode_16_64 0
		.amdhsa_float_denorm_mode_32 3
		.amdhsa_float_denorm_mode_16_64 3
		.amdhsa_dx10_clamp 1
		.amdhsa_ieee_mode 1
		.amdhsa_fp16_overflow 0
		.amdhsa_tg_split 0
		.amdhsa_exception_fp_ieee_invalid_op 0
		.amdhsa_exception_fp_denorm_src 0
		.amdhsa_exception_fp_ieee_div_zero 0
		.amdhsa_exception_fp_ieee_overflow 0
		.amdhsa_exception_fp_ieee_underflow 0
		.amdhsa_exception_fp_ieee_inexact 0
		.amdhsa_exception_int_div_zero 0
	.end_amdhsa_kernel
	.section	.text._ZN9rocsolver6v33100L12subtract_tauIdPdEEviiT0_iilPT_l,"axG",@progbits,_ZN9rocsolver6v33100L12subtract_tauIdPdEEviiT0_iilPT_l,comdat
.Lfunc_end108:
	.size	_ZN9rocsolver6v33100L12subtract_tauIdPdEEviiT0_iilPT_l, .Lfunc_end108-_ZN9rocsolver6v33100L12subtract_tauIdPdEEviiT0_iilPT_l
                                        ; -- End function
	.section	.AMDGPU.csdata,"",@progbits
; Kernel info:
; codeLenInByte = 196
; NumSgprs: 20
; NumVgprs: 3
; NumAgprs: 0
; TotalNumVgprs: 3
; ScratchSize: 0
; MemoryBound: 0
; FloatMode: 240
; IeeeMode: 1
; LDSByteSize: 0 bytes/workgroup (compile time only)
; SGPRBlocks: 2
; VGPRBlocks: 0
; NumSGPRsForWavesPerEU: 20
; NumVGPRsForWavesPerEU: 3
; AccumOffset: 4
; Occupancy: 8
; WaveLimiterHint : 0
; COMPUTE_PGM_RSRC2:SCRATCH_EN: 0
; COMPUTE_PGM_RSRC2:USER_SGPR: 6
; COMPUTE_PGM_RSRC2:TRAP_HANDLER: 0
; COMPUTE_PGM_RSRC2:TGID_X_EN: 1
; COMPUTE_PGM_RSRC2:TGID_Y_EN: 0
; COMPUTE_PGM_RSRC2:TGID_Z_EN: 0
; COMPUTE_PGM_RSRC2:TIDIG_COMP_CNT: 0
; COMPUTE_PGM_RSRC3_GFX90A:ACCUM_OFFSET: 0
; COMPUTE_PGM_RSRC3_GFX90A:TG_SPLIT: 0
	.section	.text._ZN9rocsolver6v33100L14set_triangularIdPdTnNSt9enable_ifIXnt18rocblas_is_complexIT_EEiE4typeELi0EEEviiT0_iilPS4_lS8_il15rocblas_direct_15rocblas_storev_b,"axG",@progbits,_ZN9rocsolver6v33100L14set_triangularIdPdTnNSt9enable_ifIXnt18rocblas_is_complexIT_EEiE4typeELi0EEEviiT0_iilPS4_lS8_il15rocblas_direct_15rocblas_storev_b,comdat
	.globl	_ZN9rocsolver6v33100L14set_triangularIdPdTnNSt9enable_ifIXnt18rocblas_is_complexIT_EEiE4typeELi0EEEviiT0_iilPS4_lS8_il15rocblas_direct_15rocblas_storev_b ; -- Begin function _ZN9rocsolver6v33100L14set_triangularIdPdTnNSt9enable_ifIXnt18rocblas_is_complexIT_EEiE4typeELi0EEEviiT0_iilPS4_lS8_il15rocblas_direct_15rocblas_storev_b
	.p2align	8
	.type	_ZN9rocsolver6v33100L14set_triangularIdPdTnNSt9enable_ifIXnt18rocblas_is_complexIT_EEiE4typeELi0EEEviiT0_iilPS4_lS8_il15rocblas_direct_15rocblas_storev_b,@function
_ZN9rocsolver6v33100L14set_triangularIdPdTnNSt9enable_ifIXnt18rocblas_is_complexIT_EEiE4typeELi0EEEviiT0_iilPS4_lS8_il15rocblas_direct_15rocblas_storev_b: ; @_ZN9rocsolver6v33100L14set_triangularIdPdTnNSt9enable_ifIXnt18rocblas_is_complexIT_EEiE4typeELi0EEEviiT0_iilPS4_lS8_il15rocblas_direct_15rocblas_storev_b
; %bb.0:
	s_load_dword s0, s[4:5], 0x64
	s_load_dwordx2 s[20:21], s[4:5], 0x0
	v_and_b32_e32 v1, 0x3ff, v0
	v_bfe_u32 v0, v0, 10, 10
	s_waitcnt lgkmcnt(0)
	s_lshr_b32 s1, s0, 16
	s_and_b32 s0, s0, 0xffff
	s_mul_i32 s6, s6, s0
	s_mul_i32 s7, s7, s1
	v_add_u32_e32 v2, s6, v1
	v_add_u32_e32 v0, s7, v0
	v_max_u32_e32 v1, v2, v0
	v_cmp_gt_u32_e32 vcc, s21, v1
	s_and_saveexec_b64 s[0:1], vcc
	s_cbranch_execz .LBB109_36
; %bb.1:
	s_load_dwordx8 s[12:19], s[4:5], 0x18
	s_load_dword s22, s[4:5], 0x38
	s_load_dwordx2 s[0:1], s[4:5], 0x40
	v_cmp_ne_u32_e32 vcc, v0, v2
	s_waitcnt lgkmcnt(0)
	s_mul_i32 s3, s8, s17
	s_mul_hi_u32 s6, s8, s16
	s_mul_i32 s2, s8, s16
	s_add_i32 s3, s6, s3
	s_lshl_b64 s[2:3], s[2:3], 3
	s_add_u32 s16, s14, s2
	s_mul_i32 s1, s8, s1
	s_mul_hi_u32 s2, s8, s0
	s_addc_u32 s17, s15, s3
	s_add_i32 s1, s2, s1
	s_mul_i32 s0, s8, s0
	s_lshl_b64 s[0:1], s[0:1], 3
	s_add_u32 s14, s18, s0
	s_addc_u32 s15, s19, s1
	s_and_saveexec_b64 s[0:1], vcc
	s_xor_b64 s[10:11], exec, s[0:1]
	s_cbranch_execz .LBB109_34
; %bb.2:
	s_load_dwordx4 s[0:3], s[4:5], 0x8
	s_mul_i32 s9, s8, s13
	s_mul_hi_u32 s13, s8, s12
	s_add_i32 s9, s13, s9
	s_mul_i32 s8, s8, s12
	s_load_dwordx4 s[4:7], s[4:5], 0x48
	s_waitcnt lgkmcnt(0)
	s_ashr_i32 s19, s2, 31
	s_lshl_b64 s[8:9], s[8:9], 3
	s_mov_b32 s18, s2
	s_add_u32 s2, s0, s8
	s_addc_u32 s7, s1, s9
	s_lshl_b64 s[0:1], s[18:19], 3
	s_add_u32 s2, s2, s0
	s_addc_u32 s12, s7, s1
	s_bitcmp1_b32 s6, 0
	s_cselect_b64 s[0:1], -1, 0
	s_xor_b64 s[0:1], s[0:1], -1
	s_mov_b64 s[6:7], -1
	s_cmpk_lg_i32 s4, 0xab
	v_mov_b32_e32 v3, 0
	s_cbranch_scc0 .LBB109_18
; %bb.3:
	v_cmp_le_u32_e32 vcc, v0, v2
	s_and_saveexec_b64 s[6:7], vcc
	s_xor_b64 s[6:7], exec, s[6:7]
	s_cbranch_execz .LBB109_5
; %bb.4:
	v_mad_u64_u32 v[4:5], s[8:9], v2, s22, 0
	s_ashr_i32 s4, s22, 31
	v_mov_b32_e32 v6, v5
	v_mad_u64_u32 v[6:7], s[8:9], v2, s4, v[6:7]
	v_mov_b32_e32 v5, v6
	v_lshlrev_b64 v[4:5], 3, v[4:5]
	v_mov_b32_e32 v1, 0
	v_mov_b32_e32 v6, s15
	v_add_co_u32_e32 v7, vcc, s14, v4
	v_addc_co_u32_e32 v6, vcc, v6, v5, vcc
	v_lshlrev_b64 v[4:5], 3, v[0:1]
	v_add_co_u32_e32 v4, vcc, v7, v4
	v_addc_co_u32_e32 v5, vcc, v6, v5, vcc
	v_mov_b32_e32 v6, v1
	v_mov_b32_e32 v7, v1
	global_store_dwordx2 v[4:5], v[6:7], off
.LBB109_5:
	s_andn2_saveexec_b64 s[6:7], s[6:7]
	s_cbranch_execz .LBB109_17
; %bb.6:
	v_lshlrev_b64 v[4:5], 3, v[2:3]
	v_mov_b32_e32 v1, s17
	v_add_co_u32_e32 v4, vcc, s16, v4
	v_addc_co_u32_e32 v5, vcc, v1, v5, vcc
	global_load_dwordx2 v[4:5], v[4:5], off
	s_cmpk_lg_i32 s5, 0xb5
	s_mov_b64 s[8:9], -1
	s_cbranch_scc0 .LBB109_12
; %bb.7:
	v_mov_b32_e32 v1, 0
	s_andn2_b64 vcc, exec, s[0:1]
	v_lshlrev_b64 v[6:7], 3, v[0:1]
	s_cbranch_vccnz .LBB109_9
; %bb.8:
	s_sub_i32 s4, s20, s21
	v_add_u32_e32 v1, s4, v2
	v_mad_u64_u32 v[8:9], s[8:9], v1, s3, 0
	s_ashr_i32 s4, s3, 31
	v_mov_b32_e32 v10, v9
	v_mad_u64_u32 v[10:11], s[8:9], v1, s4, v[10:11]
	v_mov_b32_e32 v9, v10
	v_lshlrev_b64 v[8:9], 3, v[8:9]
	v_mov_b32_e32 v1, s12
	v_add_co_u32_e32 v8, vcc, s2, v8
	v_addc_co_u32_e32 v1, vcc, v1, v9, vcc
	v_add_co_u32_e32 v8, vcc, v8, v6
	v_addc_co_u32_e32 v9, vcc, v1, v7, vcc
	global_load_dwordx2 v[8:9], v[8:9], off
	v_mad_u64_u32 v[10:11], s[8:9], v2, s22, 0
	s_ashr_i32 s4, s22, 31
	v_mov_b32_e32 v12, v11
	v_mad_u64_u32 v[12:13], s[8:9], v2, s4, v[12:13]
	v_mov_b32_e32 v11, v12
	v_lshlrev_b64 v[10:11], 3, v[10:11]
	v_mov_b32_e32 v1, s15
	v_add_co_u32_e32 v10, vcc, s14, v10
	v_addc_co_u32_e32 v1, vcc, v1, v11, vcc
	v_add_co_u32_e32 v10, vcc, v10, v6
	v_addc_co_u32_e32 v11, vcc, v1, v7, vcc
	s_mov_b64 s[8:9], 0
	s_waitcnt vmcnt(0)
	v_mul_f64 v[8:9], v[8:9], -v[4:5]
	global_store_dwordx2 v[10:11], v[8:9], off
.LBB109_9:
	s_andn2_b64 vcc, exec, s[8:9]
	s_cbranch_vccnz .LBB109_11
; %bb.10:
	v_mad_u64_u32 v[8:9], s[8:9], v2, s22, 0
	s_ashr_i32 s4, s22, 31
	v_mov_b32_e32 v10, v9
	v_mad_u64_u32 v[10:11], s[8:9], v2, s4, v[10:11]
	v_mov_b32_e32 v9, v10
	v_lshlrev_b64 v[8:9], 3, v[8:9]
	v_mov_b32_e32 v1, s15
	v_add_co_u32_e32 v8, vcc, s14, v8
	v_addc_co_u32_e32 v1, vcc, v1, v9, vcc
	v_add_co_u32_e32 v8, vcc, v8, v6
	s_sub_i32 s4, s20, s21
	v_addc_co_u32_e32 v9, vcc, v1, v7, vcc
	v_add_u32_e32 v1, s4, v2
	v_mad_u64_u32 v[12:13], s[8:9], v1, s3, 0
	s_ashr_i32 s4, s3, 31
	v_mov_b32_e32 v14, v13
	v_mad_u64_u32 v[14:15], s[8:9], v1, s4, v[14:15]
	v_mov_b32_e32 v13, v14
	v_lshlrev_b64 v[12:13], 3, v[12:13]
	v_mov_b32_e32 v1, s12
	v_add_co_u32_e32 v12, vcc, s2, v12
	v_addc_co_u32_e32 v1, vcc, v1, v13, vcc
	v_add_co_u32_e32 v6, vcc, v12, v6
	v_addc_co_u32_e32 v7, vcc, v1, v7, vcc
	global_load_dwordx2 v[10:11], v[8:9], off
	s_nop 0
	global_load_dwordx2 v[6:7], v[6:7], off
	s_waitcnt vmcnt(0)
	v_add_f64 v[6:7], v[10:11], v[6:7]
	v_mul_f64 v[6:7], v[6:7], -v[4:5]
	global_store_dwordx2 v[8:9], v[6:7], off
.LBB109_11:
	s_mov_b64 s[8:9], 0
.LBB109_12:
	s_andn2_b64 vcc, exec, s[8:9]
	s_cbranch_vccnz .LBB109_17
; %bb.13:
	s_andn2_b64 vcc, exec, s[0:1]
	s_mov_b64 s[8:9], -1
	s_cbranch_vccnz .LBB109_15
; %bb.14:
	s_sub_i32 s4, s20, s21
	v_mad_u64_u32 v[8:9], s[8:9], v0, s3, 0
	v_add_u32_e32 v6, s4, v2
	s_ashr_i32 s4, s3, 31
	v_mov_b32_e32 v10, v9
	v_mad_u64_u32 v[10:11], s[8:9], v0, s4, v[10:11]
	v_mov_b32_e32 v9, v10
	v_lshlrev_b64 v[8:9], 3, v[8:9]
	v_mov_b32_e32 v7, 0
	v_mov_b32_e32 v1, s12
	v_add_co_u32_e32 v10, vcc, s2, v8
	v_addc_co_u32_e32 v1, vcc, v1, v9, vcc
	v_lshlrev_b64 v[8:9], 3, v[6:7]
	v_add_co_u32_e32 v8, vcc, v10, v8
	v_addc_co_u32_e32 v9, vcc, v1, v9, vcc
	global_load_dwordx2 v[8:9], v[8:9], off
	v_mad_u64_u32 v[10:11], s[8:9], v2, s22, 0
	s_ashr_i32 s4, s22, 31
	v_mov_b32_e32 v6, v11
	v_mov_b32_e32 v1, v7
	v_mad_u64_u32 v[6:7], s[8:9], v2, s4, v[6:7]
	v_mov_b32_e32 v11, v6
	v_lshlrev_b64 v[6:7], 3, v[10:11]
	v_mov_b32_e32 v14, s15
	v_lshlrev_b64 v[12:13], 3, v[0:1]
	v_add_co_u32_e32 v1, vcc, s14, v6
	v_addc_co_u32_e32 v7, vcc, v14, v7, vcc
	v_add_co_u32_e32 v6, vcc, v1, v12
	v_addc_co_u32_e32 v7, vcc, v7, v13, vcc
	s_mov_b64 s[8:9], 0
	s_waitcnt vmcnt(0)
	v_mul_f64 v[8:9], v[8:9], -v[4:5]
	global_store_dwordx2 v[6:7], v[8:9], off
.LBB109_15:
	s_andn2_b64 vcc, exec, s[8:9]
	s_cbranch_vccnz .LBB109_17
; %bb.16:
	v_mad_u64_u32 v[6:7], s[8:9], v2, s22, 0
	s_ashr_i32 s4, s22, 31
	v_mov_b32_e32 v8, v7
	v_mad_u64_u32 v[8:9], s[8:9], v2, s4, v[8:9]
	v_mov_b32_e32 v7, v8
	v_lshlrev_b64 v[6:7], 3, v[6:7]
	s_sub_i32 s4, s20, s21
	v_mad_u64_u32 v[12:13], s[8:9], v0, s3, 0
	v_mov_b32_e32 v1, 0
	v_mov_b32_e32 v8, s15
	v_add_co_u32_e32 v9, vcc, s14, v6
	v_add_u32_e32 v10, s4, v2
	s_ashr_i32 s4, s3, 31
	v_mov_b32_e32 v14, v13
	v_addc_co_u32_e32 v8, vcc, v8, v7, vcc
	v_lshlrev_b64 v[6:7], 3, v[0:1]
	v_mad_u64_u32 v[14:15], s[8:9], v0, s4, v[14:15]
	v_add_co_u32_e32 v6, vcc, v9, v6
	v_mov_b32_e32 v13, v14
	v_addc_co_u32_e32 v7, vcc, v8, v7, vcc
	v_lshlrev_b64 v[12:13], 3, v[12:13]
	v_mov_b32_e32 v11, v1
	v_mov_b32_e32 v1, s12
	v_add_co_u32_e32 v12, vcc, s2, v12
	v_addc_co_u32_e32 v1, vcc, v1, v13, vcc
	v_lshlrev_b64 v[10:11], 3, v[10:11]
	v_add_co_u32_e32 v10, vcc, v12, v10
	v_addc_co_u32_e32 v11, vcc, v1, v11, vcc
	global_load_dwordx2 v[8:9], v[6:7], off
	s_nop 0
	global_load_dwordx2 v[10:11], v[10:11], off
	s_waitcnt vmcnt(0)
	v_add_f64 v[8:9], v[8:9], v[10:11]
	v_mul_f64 v[4:5], v[8:9], -v[4:5]
	global_store_dwordx2 v[6:7], v[4:5], off
.LBB109_17:
	s_or_b64 exec, exec, s[6:7]
	s_mov_b64 s[6:7], 0
.LBB109_18:
	s_andn2_b64 vcc, exec, s[6:7]
	s_cbranch_vccnz .LBB109_34
; %bb.19:
	v_cmp_ge_u32_e32 vcc, v0, v2
	s_and_saveexec_b64 s[6:7], vcc
	s_xor_b64 s[6:7], exec, s[6:7]
	s_cbranch_execz .LBB109_21
; %bb.20:
	s_waitcnt vmcnt(0)
	v_mad_u64_u32 v[4:5], s[8:9], v2, s22, 0
	s_ashr_i32 s4, s22, 31
	v_mov_b32_e32 v6, v5
	v_mad_u64_u32 v[2:3], s[8:9], v2, s4, v[6:7]
	v_mov_b32_e32 v5, v2
	v_lshlrev_b64 v[2:3], 3, v[4:5]
	v_mov_b32_e32 v1, 0
	v_mov_b32_e32 v4, s15
	v_add_co_u32_e32 v5, vcc, s14, v2
	v_addc_co_u32_e32 v4, vcc, v4, v3, vcc
	v_lshlrev_b64 v[2:3], 3, v[0:1]
	v_add_co_u32_e32 v2, vcc, v5, v2
	v_addc_co_u32_e32 v3, vcc, v4, v3, vcc
	v_mov_b32_e32 v0, v1
	global_store_dwordx2 v[2:3], v[0:1], off
                                        ; implicit-def: $vgpr2_vgpr3
                                        ; implicit-def: $vgpr0
.LBB109_21:
	s_andn2_saveexec_b64 s[6:7], s[6:7]
	s_cbranch_execz .LBB109_33
; %bb.22:
	s_waitcnt vmcnt(0)
	v_lshlrev_b64 v[4:5], 3, v[2:3]
	v_mov_b32_e32 v1, s17
	v_add_co_u32_e32 v6, vcc, s16, v4
	v_addc_co_u32_e32 v7, vcc, v1, v5, vcc
	global_load_dwordx2 v[6:7], v[6:7], off
	v_cndmask_b32_e64 v3, 0, 1, s[0:1]
	s_cmpk_lg_i32 s5, 0xb5
	v_mov_b32_e32 v1, 0
	s_mov_b64 s[4:5], -1
	v_cmp_ne_u32_e64 s[0:1], 1, v3
	s_cbranch_scc0 .LBB109_28
; %bb.23:
	s_and_b64 vcc, exec, s[0:1]
	s_cbranch_vccnz .LBB109_25
; %bb.24:
	v_mad_u64_u32 v[8:9], s[4:5], v2, s3, 0
	s_ashr_i32 s8, s3, 31
	v_mov_b32_e32 v10, v9
	v_mad_u64_u32 v[10:11], s[4:5], v2, s8, v[10:11]
	v_mov_b32_e32 v9, v10
	v_lshlrev_b64 v[8:9], 3, v[8:9]
	v_mov_b32_e32 v3, s12
	v_add_co_u32_e32 v10, vcc, s2, v8
	v_addc_co_u32_e32 v3, vcc, v3, v9, vcc
	v_lshlrev_b64 v[8:9], 3, v[0:1]
	v_add_co_u32_e32 v10, vcc, v10, v8
	v_addc_co_u32_e32 v11, vcc, v3, v9, vcc
	global_load_dwordx2 v[10:11], v[10:11], off
	v_mad_u64_u32 v[12:13], s[4:5], v2, s22, 0
	s_ashr_i32 s8, s22, 31
	v_mov_b32_e32 v14, v13
	v_mad_u64_u32 v[14:15], s[4:5], v2, s8, v[14:15]
	v_mov_b32_e32 v13, v14
	v_lshlrev_b64 v[12:13], 3, v[12:13]
	v_mov_b32_e32 v3, s15
	v_add_co_u32_e32 v12, vcc, s14, v12
	v_addc_co_u32_e32 v3, vcc, v3, v13, vcc
	v_add_co_u32_e32 v8, vcc, v12, v8
	v_addc_co_u32_e32 v9, vcc, v3, v9, vcc
	s_mov_b64 s[4:5], 0
	s_waitcnt vmcnt(0)
	v_mul_f64 v[10:11], v[10:11], -v[6:7]
	global_store_dwordx2 v[8:9], v[10:11], off
.LBB109_25:
	s_andn2_b64 vcc, exec, s[4:5]
	s_cbranch_vccnz .LBB109_27
; %bb.26:
	v_mad_u64_u32 v[8:9], s[4:5], v2, s22, 0
	s_ashr_i32 s8, s22, 31
	v_mov_b32_e32 v10, v9
	v_mad_u64_u32 v[10:11], s[4:5], v2, s8, v[10:11]
	v_mov_b32_e32 v9, v10
	v_lshlrev_b64 v[8:9], 3, v[8:9]
	v_mad_u64_u32 v[14:15], s[4:5], v2, s3, 0
	v_mov_b32_e32 v3, s15
	v_add_co_u32_e32 v10, vcc, s14, v8
	s_ashr_i32 s8, s3, 31
	v_mov_b32_e32 v16, v15
	v_addc_co_u32_e32 v3, vcc, v3, v9, vcc
	v_lshlrev_b64 v[8:9], 3, v[0:1]
	v_mad_u64_u32 v[16:17], s[4:5], v2, s8, v[16:17]
	v_add_co_u32_e32 v10, vcc, v10, v8
	v_mov_b32_e32 v15, v16
	v_addc_co_u32_e32 v11, vcc, v3, v9, vcc
	v_lshlrev_b64 v[14:15], 3, v[14:15]
	v_mov_b32_e32 v3, s12
	v_add_co_u32_e32 v14, vcc, s2, v14
	v_addc_co_u32_e32 v3, vcc, v3, v15, vcc
	v_add_co_u32_e32 v8, vcc, v14, v8
	v_addc_co_u32_e32 v9, vcc, v3, v9, vcc
	global_load_dwordx2 v[12:13], v[10:11], off
	s_nop 0
	global_load_dwordx2 v[8:9], v[8:9], off
	s_waitcnt vmcnt(0)
	v_add_f64 v[8:9], v[12:13], v[8:9]
	v_mul_f64 v[8:9], v[8:9], -v[6:7]
	global_store_dwordx2 v[10:11], v[8:9], off
.LBB109_27:
	s_mov_b64 s[4:5], 0
.LBB109_28:
	s_andn2_b64 vcc, exec, s[4:5]
	s_cbranch_vccnz .LBB109_33
; %bb.29:
	s_mov_b64 s[4:5], -1
	s_and_b64 vcc, exec, s[0:1]
	v_lshlrev_b64 v[8:9], 3, v[0:1]
	s_cbranch_vccnz .LBB109_31
; %bb.30:
	v_mad_u64_u32 v[10:11], s[0:1], v0, s3, 0
	s_ashr_i32 s4, s3, 31
	v_mov_b32_e32 v12, v11
	v_mad_u64_u32 v[12:13], s[0:1], v0, s4, v[12:13]
	v_mov_b32_e32 v11, v12
	v_lshlrev_b64 v[10:11], 3, v[10:11]
	v_mov_b32_e32 v1, s12
	v_add_co_u32_e32 v3, vcc, s2, v10
	v_addc_co_u32_e32 v1, vcc, v1, v11, vcc
	v_add_co_u32_e32 v10, vcc, v3, v4
	v_addc_co_u32_e32 v11, vcc, v1, v5, vcc
	global_load_dwordx2 v[10:11], v[10:11], off
	v_mad_u64_u32 v[12:13], s[0:1], v2, s22, 0
	s_ashr_i32 s4, s22, 31
	v_mov_b32_e32 v14, v13
	v_mad_u64_u32 v[14:15], s[0:1], v2, s4, v[14:15]
	v_mov_b32_e32 v13, v14
	v_lshlrev_b64 v[12:13], 3, v[12:13]
	v_mov_b32_e32 v1, s15
	v_add_co_u32_e32 v3, vcc, s14, v12
	v_addc_co_u32_e32 v1, vcc, v1, v13, vcc
	v_add_co_u32_e32 v12, vcc, v3, v8
	v_addc_co_u32_e32 v13, vcc, v1, v9, vcc
	s_mov_b64 s[4:5], 0
	s_waitcnt vmcnt(0)
	v_mul_f64 v[10:11], v[10:11], -v[6:7]
	global_store_dwordx2 v[12:13], v[10:11], off
.LBB109_31:
	s_andn2_b64 vcc, exec, s[4:5]
	s_cbranch_vccnz .LBB109_33
; %bb.32:
	v_mad_u64_u32 v[10:11], s[0:1], v2, s22, 0
	s_ashr_i32 s4, s22, 31
	v_mov_b32_e32 v12, v11
	v_mad_u64_u32 v[2:3], s[0:1], v2, s4, v[12:13]
	v_mov_b32_e32 v11, v2
	v_lshlrev_b64 v[2:3], 3, v[10:11]
	v_mov_b32_e32 v1, s15
	v_add_co_u32_e32 v2, vcc, s14, v2
	v_addc_co_u32_e32 v1, vcc, v1, v3, vcc
	v_mad_u64_u32 v[10:11], s[0:1], v0, s3, 0
	v_add_co_u32_e32 v2, vcc, v2, v8
	s_ashr_i32 s4, s3, 31
	v_mov_b32_e32 v12, v11
	v_addc_co_u32_e32 v3, vcc, v1, v9, vcc
	v_mad_u64_u32 v[0:1], s[0:1], v0, s4, v[12:13]
	v_mov_b32_e32 v11, v0
	v_lshlrev_b64 v[0:1], 3, v[10:11]
	v_mov_b32_e32 v10, s12
	v_add_co_u32_e32 v0, vcc, s2, v0
	v_addc_co_u32_e32 v1, vcc, v10, v1, vcc
	v_add_co_u32_e32 v0, vcc, v0, v4
	v_addc_co_u32_e32 v1, vcc, v1, v5, vcc
	global_load_dwordx2 v[8:9], v[2:3], off
	s_nop 0
	global_load_dwordx2 v[0:1], v[0:1], off
	s_waitcnt vmcnt(0)
	v_add_f64 v[0:1], v[8:9], v[0:1]
	v_mul_f64 v[0:1], v[0:1], -v[6:7]
	global_store_dwordx2 v[2:3], v[0:1], off
.LBB109_33:
	s_or_b64 exec, exec, s[6:7]
                                        ; implicit-def: $vgpr2
.LBB109_34:
	s_andn2_saveexec_b64 s[0:1], s[10:11]
	s_cbranch_execz .LBB109_36
; %bb.35:
	v_mov_b32_e32 v3, 0
	v_lshlrev_b64 v[0:1], 3, v[2:3]
	v_mov_b32_e32 v3, s17
	s_waitcnt vmcnt(0)
	v_add_co_u32_e32 v4, vcc, s16, v0
	v_addc_co_u32_e32 v5, vcc, v3, v1, vcc
	global_load_dwordx2 v[4:5], v[4:5], off
	v_mad_u64_u32 v[6:7], s[0:1], v2, s22, 0
	s_ashr_i32 s2, s22, 31
	v_mov_b32_e32 v8, v7
	v_mad_u64_u32 v[2:3], s[0:1], v2, s2, v[8:9]
	v_mov_b32_e32 v7, v2
	v_lshlrev_b64 v[2:3], 3, v[6:7]
	v_mov_b32_e32 v6, s15
	v_add_co_u32_e32 v2, vcc, s14, v2
	v_addc_co_u32_e32 v3, vcc, v6, v3, vcc
	v_add_co_u32_e32 v0, vcc, v2, v0
	v_addc_co_u32_e32 v1, vcc, v3, v1, vcc
	s_waitcnt vmcnt(0)
	global_store_dwordx2 v[0:1], v[4:5], off
.LBB109_36:
	s_endpgm
	.section	.rodata,"a",@progbits
	.p2align	6, 0x0
	.amdhsa_kernel _ZN9rocsolver6v33100L14set_triangularIdPdTnNSt9enable_ifIXnt18rocblas_is_complexIT_EEiE4typeELi0EEEviiT0_iilPS4_lS8_il15rocblas_direct_15rocblas_storev_b
		.amdhsa_group_segment_fixed_size 0
		.amdhsa_private_segment_fixed_size 0
		.amdhsa_kernarg_size 344
		.amdhsa_user_sgpr_count 6
		.amdhsa_user_sgpr_private_segment_buffer 1
		.amdhsa_user_sgpr_dispatch_ptr 0
		.amdhsa_user_sgpr_queue_ptr 0
		.amdhsa_user_sgpr_kernarg_segment_ptr 1
		.amdhsa_user_sgpr_dispatch_id 0
		.amdhsa_user_sgpr_flat_scratch_init 0
		.amdhsa_user_sgpr_kernarg_preload_length 0
		.amdhsa_user_sgpr_kernarg_preload_offset 0
		.amdhsa_user_sgpr_private_segment_size 0
		.amdhsa_uses_dynamic_stack 0
		.amdhsa_system_sgpr_private_segment_wavefront_offset 0
		.amdhsa_system_sgpr_workgroup_id_x 1
		.amdhsa_system_sgpr_workgroup_id_y 1
		.amdhsa_system_sgpr_workgroup_id_z 1
		.amdhsa_system_sgpr_workgroup_info 0
		.amdhsa_system_vgpr_workitem_id 1
		.amdhsa_next_free_vgpr 18
		.amdhsa_next_free_sgpr 23
		.amdhsa_accum_offset 20
		.amdhsa_reserve_vcc 1
		.amdhsa_reserve_flat_scratch 0
		.amdhsa_float_round_mode_32 0
		.amdhsa_float_round_mode_16_64 0
		.amdhsa_float_denorm_mode_32 3
		.amdhsa_float_denorm_mode_16_64 3
		.amdhsa_dx10_clamp 1
		.amdhsa_ieee_mode 1
		.amdhsa_fp16_overflow 0
		.amdhsa_tg_split 0
		.amdhsa_exception_fp_ieee_invalid_op 0
		.amdhsa_exception_fp_denorm_src 0
		.amdhsa_exception_fp_ieee_div_zero 0
		.amdhsa_exception_fp_ieee_overflow 0
		.amdhsa_exception_fp_ieee_underflow 0
		.amdhsa_exception_fp_ieee_inexact 0
		.amdhsa_exception_int_div_zero 0
	.end_amdhsa_kernel
	.section	.text._ZN9rocsolver6v33100L14set_triangularIdPdTnNSt9enable_ifIXnt18rocblas_is_complexIT_EEiE4typeELi0EEEviiT0_iilPS4_lS8_il15rocblas_direct_15rocblas_storev_b,"axG",@progbits,_ZN9rocsolver6v33100L14set_triangularIdPdTnNSt9enable_ifIXnt18rocblas_is_complexIT_EEiE4typeELi0EEEviiT0_iilPS4_lS8_il15rocblas_direct_15rocblas_storev_b,comdat
.Lfunc_end109:
	.size	_ZN9rocsolver6v33100L14set_triangularIdPdTnNSt9enable_ifIXnt18rocblas_is_complexIT_EEiE4typeELi0EEEviiT0_iilPS4_lS8_il15rocblas_direct_15rocblas_storev_b, .Lfunc_end109-_ZN9rocsolver6v33100L14set_triangularIdPdTnNSt9enable_ifIXnt18rocblas_is_complexIT_EEiE4typeELi0EEEviiT0_iilPS4_lS8_il15rocblas_direct_15rocblas_storev_b
                                        ; -- End function
	.section	.AMDGPU.csdata,"",@progbits
; Kernel info:
; codeLenInByte = 2160
; NumSgprs: 27
; NumVgprs: 18
; NumAgprs: 0
; TotalNumVgprs: 18
; ScratchSize: 0
; MemoryBound: 0
; FloatMode: 240
; IeeeMode: 1
; LDSByteSize: 0 bytes/workgroup (compile time only)
; SGPRBlocks: 3
; VGPRBlocks: 2
; NumSGPRsForWavesPerEU: 27
; NumVGPRsForWavesPerEU: 18
; AccumOffset: 20
; Occupancy: 8
; WaveLimiterHint : 0
; COMPUTE_PGM_RSRC2:SCRATCH_EN: 0
; COMPUTE_PGM_RSRC2:USER_SGPR: 6
; COMPUTE_PGM_RSRC2:TRAP_HANDLER: 0
; COMPUTE_PGM_RSRC2:TGID_X_EN: 1
; COMPUTE_PGM_RSRC2:TGID_Y_EN: 1
; COMPUTE_PGM_RSRC2:TGID_Z_EN: 1
; COMPUTE_PGM_RSRC2:TIDIG_COMP_CNT: 1
; COMPUTE_PGM_RSRC3_GFX90A:ACCUM_OFFSET: 4
; COMPUTE_PGM_RSRC3_GFX90A:TG_SPLIT: 0
	.section	.text._ZN9rocsolver6v33100L20larft_kernel_forwardIdPdEEv15rocblas_storev_iiT0_iilPT_lS6_il,"axG",@progbits,_ZN9rocsolver6v33100L20larft_kernel_forwardIdPdEEv15rocblas_storev_iiT0_iilPT_lS6_il,comdat
	.globl	_ZN9rocsolver6v33100L20larft_kernel_forwardIdPdEEv15rocblas_storev_iiT0_iilPT_lS6_il ; -- Begin function _ZN9rocsolver6v33100L20larft_kernel_forwardIdPdEEv15rocblas_storev_iiT0_iilPT_lS6_il
	.p2align	8
	.type	_ZN9rocsolver6v33100L20larft_kernel_forwardIdPdEEv15rocblas_storev_iiT0_iilPT_lS6_il,@function
_ZN9rocsolver6v33100L20larft_kernel_forwardIdPdEEv15rocblas_storev_iiT0_iilPT_lS6_il: ; @_ZN9rocsolver6v33100L20larft_kernel_forwardIdPdEEv15rocblas_storev_iiT0_iilPT_lS6_il
; %bb.0:
	s_load_dword s2, s[4:5], 0x5c
	s_load_dword s30, s[4:5], 0x40
	s_load_dwordx2 s[0:1], s[4:5], 0x48
	s_load_dwordx4 s[16:19], s[4:5], 0x0
	s_load_dwordx8 s[8:15], s[4:5], 0x20
	s_waitcnt lgkmcnt(0)
	s_and_b32 s19, s2, 0xffff
	s_ashr_i32 s6, s7, 31
	s_mul_i32 s1, s7, s1
	s_mul_hi_u32 s2, s7, s0
	s_add_i32 s1, s2, s1
	s_mul_i32 s2, s6, s0
	s_add_i32 s1, s1, s2
	s_mul_i32 s0, s7, s0
	s_lshl_b64 s[0:1], s[0:1], 3
	s_add_u32 s31, s14, s0
	s_addc_u32 s33, s15, s1
	v_cmp_gt_i32_e64 s[0:1], s18, v0
	v_lshlrev_b32_e32 v1, 3, v0
	s_and_saveexec_b64 s[2:3], s[0:1]
	s_cbranch_execz .LBB110_5
; %bb.1:
	v_add_u32_e32 v2, 8, v1
	v_mul_lo_u32 v2, s18, v2
	s_lshl_b32 s22, s18, 3
	v_add3_u32 v6, v2, v1, 0
	s_add_i32 s23, s22, 8
	s_add_i32 s24, s30, 1
	v_mad_u64_u32 v[2:3], s[14:15], v0, s30, v[0:1]
	s_mul_i32 s23, s23, s19
	s_mul_i32 s24, s24, s19
	s_mov_b64 s[14:15], 0
	v_mov_b32_e32 v3, s33
	v_mov_b32_e32 v7, v0
.LBB110_2:                              ; =>This Loop Header: Depth=1
                                        ;     Child Loop BB110_3 Depth 2
	s_mov_b64 s[20:21], 0
	v_mov_b32_e32 v4, v2
	v_mov_b32_e32 v8, v6
	;; [unrolled: 1-line block ×3, first 2 shown]
.LBB110_3:                              ;   Parent Loop BB110_2 Depth=1
                                        ; =>  This Inner Loop Header: Depth=2
	v_ashrrev_i32_e32 v5, 31, v4
	v_lshlrev_b64 v[10:11], 3, v[4:5]
	v_add_co_u32_e32 v10, vcc, s31, v10
	v_addc_co_u32_e32 v11, vcc, v3, v11, vcc
	global_load_dwordx2 v[10:11], v[10:11], off
	v_add_u32_e32 v9, 1, v9
	v_cmp_le_i32_e32 vcc, s18, v9
	v_add_u32_e32 v4, s30, v4
	s_or_b64 s[20:21], vcc, s[20:21]
	s_waitcnt vmcnt(0)
	ds_write_b64 v8, v[10:11]
	v_add_u32_e32 v8, s22, v8
	s_andn2_b64 exec, exec, s[20:21]
	s_cbranch_execnz .LBB110_3
; %bb.4:                                ;   in Loop: Header=BB110_2 Depth=1
	s_or_b64 exec, exec, s[20:21]
	v_add_u32_e32 v7, s19, v7
	v_cmp_le_i32_e32 vcc, s18, v7
	v_add_u32_e32 v6, s23, v6
	s_or_b64 s[14:15], vcc, s[14:15]
	v_add_u32_e32 v2, s24, v2
	s_andn2_b64 exec, exec, s[14:15]
	s_cbranch_execnz .LBB110_2
.LBB110_5:
	s_or_b64 exec, exec, s[2:3]
	s_cmp_lt_i32 s18, 2
	s_waitcnt lgkmcnt(0)
	s_barrier
	s_cbranch_scc1 .LBB110_31
; %bb.6:
	s_load_dwordx4 s[20:23], s[4:5], 0x10
	s_mul_i32 s2, s7, s13
	s_mul_hi_u32 s3, s7, s12
	s_add_i32 s4, s3, s2
	s_mul_i32 s5, s6, s12
	s_add_i32 s5, s4, s5
	s_mul_i32 s4, s7, s12
	s_waitcnt lgkmcnt(0)
	s_ashr_i32 s3, s22, 31
	s_lshl_b64 s[4:5], s[4:5], 3
	s_mov_b32 s2, s22
	s_add_u32 s22, s10, s4
	s_addc_u32 s34, s11, s5
	s_lshl_b32 s35, s18, 3
	s_add_i32 s36, s35, 0
	s_cmpk_lg_i32 s16, 0xb5
	s_mul_i32 s4, s8, s6
	s_mul_hi_u32 s6, s8, s7
	s_cselect_b64 s[10:11], -1, 0
	s_add_i32 s4, s6, s4
	s_mul_i32 s6, s9, s7
	s_add_i32 s9, s4, s6
	s_mul_i32 s8, s8, s7
	s_lshl_b64 s[12:13], s[8:9], 3
	s_add_u32 s16, s12, 8
	s_addc_u32 s37, s13, 0
	s_lshl_b64 s[2:3], s[2:3], 3
	s_add_u32 s38, s20, s2
	s_addc_u32 s39, s21, s3
	s_ashr_i32 s9, s23, 31
	s_mov_b32 s8, s23
	s_lshl_b32 s6, s23, 1
	s_lshl_b64 s[8:9], s[8:9], 3
	s_lshl_b32 s40, s19, 3
	s_add_u32 s2, s12, s2
	s_addc_u32 s3, s13, s3
	s_add_u32 s2, s2, s20
	s_addc_u32 s3, s3, s21
	s_add_u32 s42, s2, 16
	v_add_u32_e32 v4, 8, v1
	s_mov_b32 s5, 0
	v_mov_b32_e32 v3, s13
	v_add_co_u32_e32 v2, vcc, s12, v1
	s_addc_u32 s43, s3, 0
	v_mul_lo_u32 v4, s18, v4
	s_add_i32 s45, s35, 8
	s_mov_b32 s4, 1
	v_addc_co_u32_e32 v3, vcc, 0, v3, vcc
	s_mov_b32 s41, s5
	v_mul_lo_u32 v10, v0, s23
	s_mul_i32 s44, s23, s19
	v_add3_u32 v11, v4, v1, 0
	s_mul_i32 s45, s45, s19
	v_add_u32_e32 v12, 0, v1
	s_mov_b32 s12, s23
	s_branch .LBB110_8
.LBB110_7:                              ;   in Loop: Header=BB110_8 Depth=1
	s_or_b64 exec, exec, s[2:3]
	s_add_i32 s4, s4, 1
	s_add_u32 s16, s16, 8
	s_addc_u32 s37, s37, 0
	s_add_i32 s6, s6, s23
	s_add_u32 s42, s42, 8
	s_addc_u32 s43, s43, 0
	s_add_i32 s12, s12, s23
	s_cmp_eq_u32 s4, s18
	s_waitcnt lgkmcnt(0)
	s_barrier
	s_cbranch_scc1 .LBB110_31
.LBB110_8:                              ; =>This Loop Header: Depth=1
                                        ;     Child Loop BB110_13 Depth 2
                                        ;       Child Loop BB110_15 Depth 3
                                        ;     Child Loop BB110_22 Depth 2
                                        ;       Child Loop BB110_24 Depth 3
	;; [unrolled: 2-line block ×3, first 2 shown]
	s_mul_i32 s2, s4, s18
	s_not_b32 s47, s4
	s_lshl_b32 s2, s2, 3
	s_add_i32 s47, s47, s17
	s_add_i32 s46, s36, s2
	s_mov_b64 s[14:15], -1
	s_and_b64 vcc, exec, s[10:11]
	v_cmp_gt_u32_e64 s[2:3], s4, v0
	s_cbranch_vccz .LBB110_17
; %bb.9:                                ;   in Loop: Header=BB110_8 Depth=1
	s_and_saveexec_b64 s[14:15], s[2:3]
	s_cbranch_execz .LBB110_16
; %bb.10:                               ;   in Loop: Header=BB110_8 Depth=1
	s_ashr_i32 s7, s6, 31
	s_lshl_b64 s[2:3], s[6:7], 3
	s_add_u32 s2, s38, s2
	s_addc_u32 s3, s39, s3
	s_cmp_gt_i32 s47, 0
	s_cselect_b64 s[20:21], -1, 0
	s_lshl_b64 s[24:25], s[4:5], 3
	s_add_u32 s24, s22, s24
	s_addc_u32 s25, s34, s25
	s_load_dwordx2 s[24:25], s[24:25], 0x0
	s_mov_b64 s[26:27], 0
	v_pk_mov_b32 v[4:5], v[2:3], v[2:3] op_sel:[0,1]
	v_mov_b32_e32 v8, v0
	s_branch .LBB110_13
.LBB110_11:                             ;   in Loop: Header=BB110_13 Depth=2
	v_pk_mov_b32 v[6:7], 0, 0
.LBB110_12:                             ;   in Loop: Header=BB110_13 Depth=2
	v_lshlrev_b32_e32 v9, 3, v8
	v_add_u32_e32 v13, s46, v9
	ds_read_b64 v[14:15], v13
	v_add_u32_e32 v8, s19, v8
	v_cmp_le_u32_e32 vcc, s4, v8
	v_mov_b32_e32 v13, s41
	s_or_b64 s[26:27], vcc, s[26:27]
	v_add_co_u32_e32 v4, vcc, s40, v4
	v_add_u32_e32 v9, 0, v9
	s_waitcnt lgkmcnt(0)
	v_fmac_f64_e32 v[14:15], s[24:25], v[6:7]
	v_addc_co_u32_e32 v5, vcc, v5, v13, vcc
	ds_write_b64 v9, v[14:15]
	s_andn2_b64 exec, exec, s[26:27]
	s_cbranch_execz .LBB110_16
.LBB110_13:                             ;   Parent Loop BB110_8 Depth=1
                                        ; =>  This Loop Header: Depth=2
                                        ;       Child Loop BB110_15 Depth 3
	s_andn2_b64 vcc, exec, s[20:21]
	s_cbranch_vccnz .LBB110_11
; %bb.14:                               ;   in Loop: Header=BB110_13 Depth=2
	s_mov_b32 s7, 0
	v_pk_mov_b32 v[6:7], 0, 0
	s_mov_b64 s[28:29], s[2:3]
.LBB110_15:                             ;   Parent Loop BB110_8 Depth=1
                                        ;     Parent Loop BB110_13 Depth=2
                                        ; =>    This Inner Loop Header: Depth=3
	v_mov_b32_e32 v9, s29
	v_add_co_u32_e32 v14, vcc, s28, v4
	v_addc_co_u32_e32 v15, vcc, v9, v5, vcc
	global_load_dwordx2 v[14:15], v[14:15], off
	s_add_u32 s48, s28, s16
	s_addc_u32 s49, s29, s37
	s_load_dwordx2 s[48:49], s[48:49], 0x0
	s_add_i32 s7, s7, 1
	s_add_u32 s28, s28, s8
	s_addc_u32 s29, s29, s9
	s_cmp_ge_i32 s7, s47
	s_waitcnt vmcnt(0) lgkmcnt(0)
	v_fmac_f64_e32 v[6:7], s[48:49], v[14:15]
	s_cbranch_scc0 .LBB110_15
	s_branch .LBB110_12
.LBB110_16:                             ;   in Loop: Header=BB110_8 Depth=1
	s_or_b64 exec, exec, s[14:15]
	s_mov_b64 s[14:15], 0
.LBB110_17:                             ;   in Loop: Header=BB110_8 Depth=1
	s_andn2_b64 vcc, exec, s[14:15]
	s_cbranch_vccnz .LBB110_26
; %bb.18:                               ;   in Loop: Header=BB110_8 Depth=1
	v_cmp_gt_u32_e32 vcc, s4, v0
	s_and_saveexec_b64 s[2:3], vcc
	s_cbranch_execz .LBB110_25
; %bb.19:                               ;   in Loop: Header=BB110_8 Depth=1
	s_ashr_i32 s13, s12, 31
	s_lshl_b64 s[14:15], s[12:13], 3
	s_add_u32 s14, s42, s14
	s_addc_u32 s15, s43, s15
	s_cmp_gt_i32 s47, 0
	s_cselect_b64 s[20:21], -1, 0
	s_lshl_b64 s[24:25], s[4:5], 3
	s_add_u32 s24, s22, s24
	s_addc_u32 s25, s34, s25
	s_load_dwordx2 s[24:25], s[24:25], 0x0
	s_mov_b64 s[26:27], 0
	v_mov_b32_e32 v4, v10
	v_mov_b32_e32 v13, v0
	s_branch .LBB110_22
.LBB110_20:                             ;   in Loop: Header=BB110_22 Depth=2
	v_pk_mov_b32 v[6:7], 0, 0
.LBB110_21:                             ;   in Loop: Header=BB110_22 Depth=2
	v_lshlrev_b32_e32 v5, 3, v13
	v_add_u32_e32 v8, s46, v5
	ds_read_b64 v[8:9], v8
	v_add_u32_e32 v13, s19, v13
	v_cmp_le_u32_e32 vcc, s4, v13
	v_add_u32_e32 v5, 0, v5
	s_or_b64 s[26:27], vcc, s[26:27]
	s_waitcnt lgkmcnt(0)
	v_fmac_f64_e32 v[8:9], s[24:25], v[6:7]
	v_add_u32_e32 v4, s44, v4
	ds_write_b64 v5, v[8:9]
	s_andn2_b64 exec, exec, s[26:27]
	s_cbranch_execz .LBB110_25
.LBB110_22:                             ;   Parent Loop BB110_8 Depth=1
                                        ; =>  This Loop Header: Depth=2
                                        ;       Child Loop BB110_24 Depth 3
	s_andn2_b64 vcc, exec, s[20:21]
	s_cbranch_vccnz .LBB110_20
; %bb.23:                               ;   in Loop: Header=BB110_22 Depth=2
	v_ashrrev_i32_e32 v5, 31, v4
	v_lshlrev_b64 v[6:7], 3, v[4:5]
	v_mov_b32_e32 v5, s43
	v_add_co_u32_e32 v8, vcc, s42, v6
	v_addc_co_u32_e32 v9, vcc, v5, v7, vcc
	s_mov_b32 s7, 0
	v_pk_mov_b32 v[6:7], 0, 0
	s_mov_b64 s[28:29], s[14:15]
.LBB110_24:                             ;   Parent Loop BB110_8 Depth=1
                                        ;     Parent Loop BB110_22 Depth=2
                                        ; =>    This Inner Loop Header: Depth=3
	global_load_dwordx2 v[14:15], v[8:9], off
	s_load_dwordx2 s[48:49], s[28:29], 0x0
	s_add_i32 s7, s7, 1
	s_add_u32 s28, s28, 8
	v_add_co_u32_e32 v8, vcc, 8, v8
	s_addc_u32 s29, s29, 0
	v_addc_co_u32_e32 v9, vcc, 0, v9, vcc
	s_cmp_ge_i32 s7, s47
	s_waitcnt vmcnt(0) lgkmcnt(0)
	v_fmac_f64_e32 v[6:7], s[48:49], v[14:15]
	s_cbranch_scc0 .LBB110_24
	s_branch .LBB110_21
.LBB110_25:                             ;   in Loop: Header=BB110_8 Depth=1
	s_or_b64 exec, exec, s[2:3]
.LBB110_26:                             ;   in Loop: Header=BB110_8 Depth=1
	v_cmp_gt_u32_e32 vcc, s4, v0
	s_waitcnt lgkmcnt(0)
	s_barrier
	s_and_saveexec_b64 s[2:3], vcc
	s_cbranch_execz .LBB110_7
; %bb.27:                               ;   in Loop: Header=BB110_8 Depth=1
	s_mov_b64 s[14:15], 0
	v_mov_b32_e32 v6, v12
	v_mov_b32_e32 v7, v11
	;; [unrolled: 1-line block ×3, first 2 shown]
.LBB110_28:                             ;   Parent Loop BB110_8 Depth=1
                                        ; =>  This Loop Header: Depth=2
                                        ;       Child Loop BB110_29 Depth 3
	v_pk_mov_b32 v[4:5], 0, 0
	s_mov_b64 s[20:21], 0
	v_mov_b32_e32 v9, v6
	v_mov_b32_e32 v13, v7
	;; [unrolled: 1-line block ×3, first 2 shown]
.LBB110_29:                             ;   Parent Loop BB110_8 Depth=1
                                        ;     Parent Loop BB110_28 Depth=2
                                        ; =>    This Inner Loop Header: Depth=3
	ds_read_b64 v[16:17], v13
	ds_read_b64 v[18:19], v9
	v_add_u32_e32 v14, 1, v14
	v_cmp_le_u32_e32 vcc, s4, v14
	v_add_u32_e32 v13, s35, v13
	v_add_u32_e32 v9, 8, v9
	s_or_b64 s[20:21], vcc, s[20:21]
	s_waitcnt lgkmcnt(0)
	v_fmac_f64_e32 v[4:5], v[16:17], v[18:19]
	s_andn2_b64 exec, exec, s[20:21]
	s_cbranch_execnz .LBB110_29
; %bb.30:                               ;   in Loop: Header=BB110_28 Depth=2
	s_or_b64 exec, exec, s[20:21]
	v_lshl_add_u32 v9, v8, 3, s46
	v_add_u32_e32 v8, s19, v8
	v_cmp_le_u32_e32 vcc, s4, v8
	v_add_u32_e32 v7, s45, v7
	s_or_b64 s[14:15], vcc, s[14:15]
	v_add_u32_e32 v6, s40, v6
	ds_write_b64 v9, v[4:5]
	s_andn2_b64 exec, exec, s[14:15]
	s_cbranch_execnz .LBB110_28
	s_branch .LBB110_7
.LBB110_31:
	s_and_saveexec_b64 s[2:3], s[0:1]
	s_cbranch_execz .LBB110_36
; %bb.32:
	v_mad_u64_u32 v[2:3], s[0:1], v0, s30, v[0:1]
	v_add_u32_e32 v3, 8, v1
	s_lshl_b32 s7, s18, 3
	s_add_i32 s6, s30, 1
	v_mul_lo_u32 v3, s18, v3
	s_add_i32 s8, s7, 8
	s_mul_i32 s6, s6, s19
	v_add3_u32 v1, v3, v1, 0
	s_mul_i32 s8, s8, s19
	s_mov_b64 s[2:3], 0
	v_mov_b32_e32 v3, s33
.LBB110_33:                             ; =>This Loop Header: Depth=1
                                        ;     Child Loop BB110_34 Depth 2
	s_mov_b64 s[4:5], 0
	v_mov_b32_e32 v6, v1
	v_mov_b32_e32 v4, v2
	;; [unrolled: 1-line block ×3, first 2 shown]
.LBB110_34:                             ;   Parent Loop BB110_33 Depth=1
                                        ; =>  This Inner Loop Header: Depth=2
	ds_read_b64 v[8:9], v6
	v_ashrrev_i32_e32 v5, 31, v4
	v_add_u32_e32 v7, 1, v7
	v_lshlrev_b64 v[10:11], 3, v[4:5]
	v_cmp_le_i32_e32 vcc, s18, v7
	v_add_co_u32_e64 v10, s[0:1], s31, v10
	v_add_u32_e32 v6, s7, v6
	v_add_u32_e32 v4, s30, v4
	v_addc_co_u32_e64 v11, s[0:1], v3, v11, s[0:1]
	s_or_b64 s[4:5], vcc, s[4:5]
	s_waitcnt lgkmcnt(0)
	global_store_dwordx2 v[10:11], v[8:9], off
	s_andn2_b64 exec, exec, s[4:5]
	s_cbranch_execnz .LBB110_34
; %bb.35:                               ;   in Loop: Header=BB110_33 Depth=1
	s_or_b64 exec, exec, s[4:5]
	v_add_u32_e32 v0, s19, v0
	v_cmp_le_i32_e32 vcc, s18, v0
	v_add_u32_e32 v2, s6, v2
	s_or_b64 s[2:3], vcc, s[2:3]
	v_add_u32_e32 v1, s8, v1
	s_andn2_b64 exec, exec, s[2:3]
	s_cbranch_execnz .LBB110_33
.LBB110_36:
	s_endpgm
	.section	.rodata,"a",@progbits
	.p2align	6, 0x0
	.amdhsa_kernel _ZN9rocsolver6v33100L20larft_kernel_forwardIdPdEEv15rocblas_storev_iiT0_iilPT_lS6_il
		.amdhsa_group_segment_fixed_size 0
		.amdhsa_private_segment_fixed_size 0
		.amdhsa_kernarg_size 336
		.amdhsa_user_sgpr_count 6
		.amdhsa_user_sgpr_private_segment_buffer 1
		.amdhsa_user_sgpr_dispatch_ptr 0
		.amdhsa_user_sgpr_queue_ptr 0
		.amdhsa_user_sgpr_kernarg_segment_ptr 1
		.amdhsa_user_sgpr_dispatch_id 0
		.amdhsa_user_sgpr_flat_scratch_init 0
		.amdhsa_user_sgpr_kernarg_preload_length 0
		.amdhsa_user_sgpr_kernarg_preload_offset 0
		.amdhsa_user_sgpr_private_segment_size 0
		.amdhsa_uses_dynamic_stack 0
		.amdhsa_system_sgpr_private_segment_wavefront_offset 0
		.amdhsa_system_sgpr_workgroup_id_x 1
		.amdhsa_system_sgpr_workgroup_id_y 1
		.amdhsa_system_sgpr_workgroup_id_z 0
		.amdhsa_system_sgpr_workgroup_info 0
		.amdhsa_system_vgpr_workitem_id 0
		.amdhsa_next_free_vgpr 20
		.amdhsa_next_free_sgpr 50
		.amdhsa_accum_offset 20
		.amdhsa_reserve_vcc 1
		.amdhsa_reserve_flat_scratch 0
		.amdhsa_float_round_mode_32 0
		.amdhsa_float_round_mode_16_64 0
		.amdhsa_float_denorm_mode_32 3
		.amdhsa_float_denorm_mode_16_64 3
		.amdhsa_dx10_clamp 1
		.amdhsa_ieee_mode 1
		.amdhsa_fp16_overflow 0
		.amdhsa_tg_split 0
		.amdhsa_exception_fp_ieee_invalid_op 0
		.amdhsa_exception_fp_denorm_src 0
		.amdhsa_exception_fp_ieee_div_zero 0
		.amdhsa_exception_fp_ieee_overflow 0
		.amdhsa_exception_fp_ieee_underflow 0
		.amdhsa_exception_fp_ieee_inexact 0
		.amdhsa_exception_int_div_zero 0
	.end_amdhsa_kernel
	.section	.text._ZN9rocsolver6v33100L20larft_kernel_forwardIdPdEEv15rocblas_storev_iiT0_iilPT_lS6_il,"axG",@progbits,_ZN9rocsolver6v33100L20larft_kernel_forwardIdPdEEv15rocblas_storev_iiT0_iilPT_lS6_il,comdat
.Lfunc_end110:
	.size	_ZN9rocsolver6v33100L20larft_kernel_forwardIdPdEEv15rocblas_storev_iiT0_iilPT_lS6_il, .Lfunc_end110-_ZN9rocsolver6v33100L20larft_kernel_forwardIdPdEEv15rocblas_storev_iiT0_iilPT_lS6_il
                                        ; -- End function
	.section	.AMDGPU.csdata,"",@progbits
; Kernel info:
; codeLenInByte = 1496
; NumSgprs: 54
; NumVgprs: 20
; NumAgprs: 0
; TotalNumVgprs: 20
; ScratchSize: 0
; MemoryBound: 0
; FloatMode: 240
; IeeeMode: 1
; LDSByteSize: 0 bytes/workgroup (compile time only)
; SGPRBlocks: 6
; VGPRBlocks: 2
; NumSGPRsForWavesPerEU: 54
; NumVGPRsForWavesPerEU: 20
; AccumOffset: 20
; Occupancy: 8
; WaveLimiterHint : 0
; COMPUTE_PGM_RSRC2:SCRATCH_EN: 0
; COMPUTE_PGM_RSRC2:USER_SGPR: 6
; COMPUTE_PGM_RSRC2:TRAP_HANDLER: 0
; COMPUTE_PGM_RSRC2:TGID_X_EN: 1
; COMPUTE_PGM_RSRC2:TGID_Y_EN: 1
; COMPUTE_PGM_RSRC2:TGID_Z_EN: 0
; COMPUTE_PGM_RSRC2:TIDIG_COMP_CNT: 0
; COMPUTE_PGM_RSRC3_GFX90A:ACCUM_OFFSET: 4
; COMPUTE_PGM_RSRC3_GFX90A:TG_SPLIT: 0
	.section	.text._ZN9rocsolver6v33100L21larft_kernel_backwardIdPdEEv15rocblas_storev_iiT0_iilPT_lS6_il,"axG",@progbits,_ZN9rocsolver6v33100L21larft_kernel_backwardIdPdEEv15rocblas_storev_iiT0_iilPT_lS6_il,comdat
	.globl	_ZN9rocsolver6v33100L21larft_kernel_backwardIdPdEEv15rocblas_storev_iiT0_iilPT_lS6_il ; -- Begin function _ZN9rocsolver6v33100L21larft_kernel_backwardIdPdEEv15rocblas_storev_iiT0_iilPT_lS6_il
	.p2align	8
	.type	_ZN9rocsolver6v33100L21larft_kernel_backwardIdPdEEv15rocblas_storev_iiT0_iilPT_lS6_il,@function
_ZN9rocsolver6v33100L21larft_kernel_backwardIdPdEEv15rocblas_storev_iiT0_iilPT_lS6_il: ; @_ZN9rocsolver6v33100L21larft_kernel_backwardIdPdEEv15rocblas_storev_iiT0_iilPT_lS6_il
; %bb.0:
	s_load_dword s2, s[4:5], 0x5c
	s_load_dword s28, s[4:5], 0x40
	s_load_dwordx2 s[0:1], s[4:5], 0x48
	s_load_dwordx4 s[16:19], s[4:5], 0x0
	s_load_dwordx8 s[8:15], s[4:5], 0x20
	s_waitcnt lgkmcnt(0)
	s_and_b32 s19, s2, 0xffff
	s_ashr_i32 s6, s7, 31
	s_mul_i32 s1, s7, s1
	s_mul_hi_u32 s2, s7, s0
	s_add_i32 s1, s2, s1
	s_mul_i32 s2, s6, s0
	s_add_i32 s1, s1, s2
	s_mul_i32 s0, s7, s0
	s_lshl_b64 s[0:1], s[0:1], 3
	s_add_u32 s29, s14, s0
	s_addc_u32 s30, s15, s1
	v_cmp_gt_i32_e64 s[0:1], s18, v0
	v_add_u32_e32 v1, 1, v0
	s_and_saveexec_b64 s[2:3], s[0:1]
	s_cbranch_execz .LBB111_5
; %bb.1:
	s_lshl_b32 s22, s18, 3
	s_add_i32 s14, s22, 0
	v_add_u32_e32 v4, 1, v0
	v_lshl_add_u32 v5, v0, 3, s14
	s_lshl_b32 s23, s19, 3
	s_mov_b64 s[14:15], 0
	v_mov_b32_e32 v6, s30
	v_mov_b32_e32 v7, v0
.LBB111_2:                              ; =>This Loop Header: Depth=1
                                        ;     Child Loop BB111_3 Depth 2
	s_mov_b64 s[20:21], 0
	v_mov_b32_e32 v2, v7
	v_mov_b32_e32 v8, v5
	s_mov_b32 s24, 0
.LBB111_3:                              ;   Parent Loop BB111_2 Depth=1
                                        ; =>  This Inner Loop Header: Depth=2
	v_ashrrev_i32_e32 v3, 31, v2
	v_lshlrev_b64 v[10:11], 3, v[2:3]
	v_add_co_u32_e32 v10, vcc, s29, v10
	v_addc_co_u32_e32 v11, vcc, v6, v11, vcc
	global_load_dwordx2 v[10:11], v[10:11], off
	s_add_i32 s24, s24, 1
	v_cmp_eq_u32_e32 vcc, s24, v4
	v_add_u32_e32 v2, s28, v2
	s_or_b64 s[20:21], vcc, s[20:21]
	s_waitcnt vmcnt(0)
	ds_write_b64 v8, v[10:11]
	v_add_u32_e32 v8, s22, v8
	s_andn2_b64 exec, exec, s[20:21]
	s_cbranch_execnz .LBB111_3
; %bb.4:                                ;   in Loop: Header=BB111_2 Depth=1
	s_or_b64 exec, exec, s[20:21]
	v_add_u32_e32 v7, s19, v7
	v_cmp_le_i32_e32 vcc, s18, v7
	v_add_u32_e32 v4, s19, v4
	s_or_b64 s[14:15], vcc, s[14:15]
	v_add_u32_e32 v5, s23, v5
	s_andn2_b64 exec, exec, s[14:15]
	s_cbranch_execnz .LBB111_2
.LBB111_5:
	s_or_b64 exec, exec, s[2:3]
	s_cmp_lt_i32 s18, 2
	s_waitcnt lgkmcnt(0)
	s_barrier
	s_cbranch_scc1 .LBB111_31
; %bb.6:
	s_load_dwordx4 s[20:23], s[4:5], 0x10
	s_mul_i32 s2, s7, s13
	s_mul_hi_u32 s3, s7, s12
	s_add_i32 s4, s3, s2
	s_mul_i32 s5, s6, s12
	s_add_i32 s5, s4, s5
	s_mul_i32 s4, s7, s12
	s_waitcnt lgkmcnt(0)
	s_ashr_i32 s3, s22, 31
	s_lshl_b64 s[4:5], s[4:5], 3
	s_mov_b32 s2, s22
	s_add_u32 s22, s10, s4
	s_addc_u32 s31, s11, s5
	s_lshl_b32 s33, s18, 3
	s_add_i32 s34, s33, 0
	s_add_i32 s4, s18, -2
	s_sub_i32 s35, s17, s18
	s_cmpk_lg_i32 s16, 0xb5
	s_mul_i32 s6, s8, s6
	s_mul_hi_u32 s12, s8, s7
	s_cselect_b64 s[10:11], -1, 0
	s_add_i32 s6, s12, s6
	s_mul_i32 s9, s9, s7
	s_add_i32 s9, s6, s9
	s_mul_i32 s8, s8, s7
	s_lshl_b64 s[6:7], s[8:9], 3
	s_lshl_b64 s[2:3], s[2:3], 3
	s_mov_b32 s5, 0
	s_add_u32 s8, s6, s2
	s_addc_u32 s9, s7, s3
	s_lshl_b64 s[2:3], s[4:5], 3
	s_add_u32 s6, s8, s2
	s_addc_u32 s7, s9, s3
	s_add_u32 s36, s20, s6
	s_addc_u32 s37, s21, s7
	s_ashr_i32 s7, s23, 31
	s_mov_b32 s6, s23
	s_lshl_b64 s[6:7], s[6:7], 3
	s_add_u32 s38, s20, s8
	s_addc_u32 s39, s21, s9
	v_lshlrev_b32_e32 v4, 3, v0
	s_add_u32 s2, s38, s2
	s_addc_u32 s3, s39, s3
	v_add_co_u32_e32 v3, vcc, s2, v4
	s_add_i32 s2, s18, -1
	v_mov_b32_e32 v2, s3
	s_mul_i32 s8, s23, s2
	s_add_i32 s2, s33, 8
	v_addc_co_u32_e32 v5, vcc, 0, v2, vcc
	s_mul_i32 s2, s18, s2
	v_add_co_u32_e32 v2, vcc, 8, v3
	s_add_i32 s2, s2, 0
	v_addc_co_u32_e32 v3, vcc, 0, v5, vcc
	s_lshl_b32 s40, s19, 3
	s_mov_b32 s41, s5
	v_mul_lo_u32 v10, v0, s23
	s_mul_i32 s42, s23, s19
	s_mul_i32 s12, s23, s4
	v_add3_u32 v11, s2, v4, -8
	s_xor_b32 s43, s33, -8
	s_branch .LBB111_8
.LBB111_7:                              ;   in Loop: Header=BB111_8 Depth=1
	s_or_b64 exec, exec, s[2:3]
	s_add_i32 s2, s4, -1
	s_add_u32 s36, s36, -8
	s_addc_u32 s37, s37, -1
	v_add_co_u32_e32 v2, vcc, -8, v2
	s_sub_i32 s8, s8, s23
	s_sub_i32 s12, s12, s23
	v_addc_co_u32_e32 v3, vcc, -1, v3, vcc
	v_add_u32_e32 v11, s43, v11
	s_cmp_lt_i32 s4, 1
	s_mov_b32 s4, s2
	s_waitcnt lgkmcnt(0)
	s_barrier
	s_cbranch_scc1 .LBB111_31
.LBB111_8:                              ; =>This Loop Header: Depth=1
                                        ;     Child Loop BB111_13 Depth 2
                                        ;       Child Loop BB111_15 Depth 3
                                        ;     Child Loop BB111_22 Depth 2
                                        ;       Child Loop BB111_24 Depth 3
	;; [unrolled: 2-line block ×3, first 2 shown]
	s_lshl_b32 s2, s4, 3
	s_not_b32 s44, s4
	s_add_i32 s45, s34, s2
	s_mul_i32 s2, s4, s18
	s_add_i32 s44, s44, s18
	s_lshl_b32 s2, s2, 3
	s_add_i32 s46, s4, s35
	s_add_i32 s45, s45, s2
	s_mov_b64 s[14:15], -1
	s_and_b64 vcc, exec, s[10:11]
	v_cmp_gt_i32_e64 s[2:3], s44, v0
	s_cbranch_vccz .LBB111_17
; %bb.9:                                ;   in Loop: Header=BB111_8 Depth=1
	s_and_saveexec_b64 s[14:15], s[2:3]
	s_cbranch_execz .LBB111_16
; %bb.10:                               ;   in Loop: Header=BB111_8 Depth=1
	s_cmp_gt_i32 s46, 0
	s_cselect_b64 s[2:3], -1, 0
	s_lshl_b64 s[16:17], s[4:5], 3
	s_add_u32 s16, s22, s16
	s_addc_u32 s17, s31, s17
	s_load_dwordx2 s[16:17], s[16:17], 0x0
	s_add_i32 s9, s45, 8
	s_mov_b64 s[20:21], 0
	v_pk_mov_b32 v[4:5], v[2:3], v[2:3] op_sel:[0,1]
	v_mov_b32_e32 v8, v0
	s_branch .LBB111_13
.LBB111_11:                             ;   in Loop: Header=BB111_13 Depth=2
	v_pk_mov_b32 v[6:7], 0, 0
.LBB111_12:                             ;   in Loop: Header=BB111_13 Depth=2
	v_lshlrev_b32_e32 v9, 3, v8
	v_add_u32_e32 v12, s9, v9
	ds_read_b64 v[12:13], v12
	v_add_u32_e32 v8, s19, v8
	v_cmp_le_i32_e32 vcc, s44, v8
	v_mov_b32_e32 v14, s41
	s_or_b64 s[20:21], vcc, s[20:21]
	v_add_co_u32_e32 v4, vcc, s40, v4
	v_add_u32_e32 v9, 0, v9
	s_waitcnt lgkmcnt(0)
	v_fmac_f64_e32 v[12:13], s[16:17], v[6:7]
	v_addc_co_u32_e32 v5, vcc, v5, v14, vcc
	ds_write_b64 v9, v[12:13]
	s_andn2_b64 exec, exec, s[20:21]
	s_cbranch_execz .LBB111_16
.LBB111_13:                             ;   Parent Loop BB111_8 Depth=1
                                        ; =>  This Loop Header: Depth=2
                                        ;       Child Loop BB111_15 Depth 3
	s_andn2_b64 vcc, exec, s[2:3]
	s_cbranch_vccnz .LBB111_11
; %bb.14:                               ;   in Loop: Header=BB111_13 Depth=2
	s_mov_b32 s13, 0
	s_mov_b64 s[24:25], 0
	v_pk_mov_b32 v[6:7], 0, 0
.LBB111_15:                             ;   Parent Loop BB111_8 Depth=1
                                        ;     Parent Loop BB111_13 Depth=2
                                        ; =>    This Inner Loop Header: Depth=3
	v_mov_b32_e32 v9, s25
	v_add_co_u32_e32 v12, vcc, s24, v4
	v_addc_co_u32_e32 v13, vcc, v5, v9, vcc
	global_load_dwordx2 v[12:13], v[12:13], off
	s_add_u32 s26, s36, s24
	s_addc_u32 s27, s37, s25
	s_load_dwordx2 s[26:27], s[26:27], 0x0
	s_add_i32 s13, s13, 1
	s_add_u32 s24, s24, s6
	s_addc_u32 s25, s25, s7
	s_cmp_ge_i32 s13, s46
	s_waitcnt vmcnt(0) lgkmcnt(0)
	v_fmac_f64_e32 v[6:7], s[26:27], v[12:13]
	s_cbranch_scc0 .LBB111_15
	s_branch .LBB111_12
.LBB111_16:                             ;   in Loop: Header=BB111_8 Depth=1
	s_or_b64 exec, exec, s[14:15]
	s_mov_b64 s[14:15], 0
.LBB111_17:                             ;   in Loop: Header=BB111_8 Depth=1
	s_andn2_b64 vcc, exec, s[14:15]
	s_cbranch_vccnz .LBB111_26
; %bb.18:                               ;   in Loop: Header=BB111_8 Depth=1
	v_cmp_gt_i32_e32 vcc, s44, v0
	s_and_saveexec_b64 s[2:3], vcc
	s_cbranch_execz .LBB111_25
; %bb.19:                               ;   in Loop: Header=BB111_8 Depth=1
	s_ashr_i32 s9, s8, 31
	s_ashr_i32 s13, s12, 31
	s_lshl_b64 s[24:25], s[8:9], 3
	s_lshl_b64 s[14:15], s[12:13], 3
	s_add_u32 s14, s38, s14
	s_addc_u32 s15, s39, s15
	s_cmp_gt_i32 s46, 0
	s_cselect_b64 s[16:17], -1, 0
	s_lshl_b64 s[20:21], s[4:5], 3
	s_add_u32 s20, s22, s20
	s_addc_u32 s21, s31, s21
	s_load_dwordx2 s[20:21], s[20:21], 0x0
	s_add_i32 s9, s45, 8
	s_add_u32 s13, s38, s24
	s_addc_u32 s47, s39, s25
	s_mov_b64 s[24:25], 0
	v_mov_b32_e32 v4, v10
	v_mov_b32_e32 v12, v0
	s_branch .LBB111_22
.LBB111_20:                             ;   in Loop: Header=BB111_22 Depth=2
	v_pk_mov_b32 v[6:7], 0, 0
.LBB111_21:                             ;   in Loop: Header=BB111_22 Depth=2
	v_lshlrev_b32_e32 v5, 3, v12
	v_add_u32_e32 v8, s9, v5
	ds_read_b64 v[8:9], v8
	v_add_u32_e32 v12, s19, v12
	v_cmp_le_i32_e32 vcc, s44, v12
	v_add_u32_e32 v5, 0, v5
	s_or_b64 s[24:25], vcc, s[24:25]
	s_waitcnt lgkmcnt(0)
	v_fmac_f64_e32 v[8:9], s[20:21], v[6:7]
	v_add_u32_e32 v4, s42, v4
	ds_write_b64 v5, v[8:9]
	s_andn2_b64 exec, exec, s[24:25]
	s_cbranch_execz .LBB111_25
.LBB111_22:                             ;   Parent Loop BB111_8 Depth=1
                                        ; =>  This Loop Header: Depth=2
                                        ;       Child Loop BB111_24 Depth 3
	s_andn2_b64 vcc, exec, s[16:17]
	s_cbranch_vccnz .LBB111_20
; %bb.23:                               ;   in Loop: Header=BB111_22 Depth=2
	v_ashrrev_i32_e32 v5, 31, v4
	v_lshlrev_b64 v[6:7], 3, v[4:5]
	v_mov_b32_e32 v5, s47
	v_add_co_u32_e32 v8, vcc, s13, v6
	v_addc_co_u32_e32 v9, vcc, v5, v7, vcc
	s_mov_b32 s48, 0
	v_pk_mov_b32 v[6:7], 0, 0
	s_mov_b64 s[26:27], s[14:15]
.LBB111_24:                             ;   Parent Loop BB111_8 Depth=1
                                        ;     Parent Loop BB111_22 Depth=2
                                        ; =>    This Inner Loop Header: Depth=3
	global_load_dwordx2 v[14:15], v[8:9], off
	s_load_dwordx2 s[50:51], s[26:27], 0x0
	s_add_i32 s48, s48, 1
	s_add_u32 s26, s26, 8
	v_add_co_u32_e32 v8, vcc, 8, v8
	s_addc_u32 s27, s27, 0
	v_addc_co_u32_e32 v9, vcc, 0, v9, vcc
	s_cmp_ge_i32 s48, s46
	s_waitcnt vmcnt(0) lgkmcnt(0)
	v_fmac_f64_e32 v[6:7], s[50:51], v[14:15]
	s_cbranch_scc0 .LBB111_24
	s_branch .LBB111_21
.LBB111_25:                             ;   in Loop: Header=BB111_8 Depth=1
	s_or_b64 exec, exec, s[2:3]
.LBB111_26:                             ;   in Loop: Header=BB111_8 Depth=1
	v_cmp_gt_i32_e32 vcc, s44, v0
	s_waitcnt lgkmcnt(0)
	s_barrier
	s_and_saveexec_b64 s[2:3], vcc
	s_cbranch_execz .LBB111_7
; %bb.27:                               ;   in Loop: Header=BB111_8 Depth=1
	s_add_i32 s45, s45, 8
	s_mov_b64 s[14:15], 0
	v_mov_b32_e32 v6, v11
	v_mov_b32_e32 v7, v0
.LBB111_28:                             ;   Parent Loop BB111_8 Depth=1
                                        ; =>  This Loop Header: Depth=2
                                        ;       Child Loop BB111_29 Depth 3
	s_mov_b32 s9, -1
	s_mov_b32 s13, 0
	v_pk_mov_b32 v[4:5], 0, 0
	s_mov_b64 s[16:17], 0
	v_mov_b32_e32 v8, v6
.LBB111_29:                             ;   Parent Loop BB111_8 Depth=1
                                        ;     Parent Loop BB111_28 Depth=2
                                        ; =>    This Inner Loop Header: Depth=3
	v_mov_b32_e32 v9, s13
	ds_read_b64 v[12:13], v8
	ds_read_b64 v[14:15], v9
	s_add_i32 s9, s9, 1
	s_add_i32 s13, s13, 8
	v_cmp_eq_u32_e32 vcc, s9, v7
	v_add_u32_e32 v8, s33, v8
	s_or_b64 s[16:17], vcc, s[16:17]
	s_waitcnt lgkmcnt(0)
	v_fmac_f64_e32 v[4:5], v[12:13], v[14:15]
	s_andn2_b64 exec, exec, s[16:17]
	s_cbranch_execnz .LBB111_29
; %bb.30:                               ;   in Loop: Header=BB111_28 Depth=2
	s_or_b64 exec, exec, s[16:17]
	v_lshl_add_u32 v8, v7, 3, s45
	v_add_u32_e32 v7, s19, v7
	v_cmp_le_i32_e32 vcc, s44, v7
	s_or_b64 s[14:15], vcc, s[14:15]
	v_add_u32_e32 v6, s40, v6
	ds_write_b64 v8, v[4:5]
	s_andn2_b64 exec, exec, s[14:15]
	s_cbranch_execnz .LBB111_28
	s_branch .LBB111_7
.LBB111_31:
	s_and_saveexec_b64 s[2:3], s[0:1]
	s_cbranch_execz .LBB111_36
; %bb.32:
	s_lshl_b32 s6, s18, 3
	s_add_i32 s0, s6, 0
	v_lshl_add_u32 v4, v0, 3, s0
	s_lshl_b32 s7, s19, 3
	s_mov_b64 s[2:3], 0
	v_mov_b32_e32 v5, s30
.LBB111_33:                             ; =>This Loop Header: Depth=1
                                        ;     Child Loop BB111_34 Depth 2
	s_mov_b64 s[4:5], 0
	v_mov_b32_e32 v6, v4
	v_mov_b32_e32 v2, v0
	s_mov_b32 s8, 0
.LBB111_34:                             ;   Parent Loop BB111_33 Depth=1
                                        ; =>  This Inner Loop Header: Depth=2
	ds_read_b64 v[8:9], v6
	v_ashrrev_i32_e32 v3, 31, v2
	s_add_i32 s8, s8, 1
	v_lshlrev_b64 v[10:11], 3, v[2:3]
	v_cmp_eq_u32_e32 vcc, s8, v1
	v_add_co_u32_e64 v10, s[0:1], s29, v10
	v_add_u32_e32 v6, s6, v6
	v_add_u32_e32 v2, s28, v2
	v_addc_co_u32_e64 v11, s[0:1], v5, v11, s[0:1]
	s_or_b64 s[4:5], vcc, s[4:5]
	s_waitcnt lgkmcnt(0)
	global_store_dwordx2 v[10:11], v[8:9], off
	s_andn2_b64 exec, exec, s[4:5]
	s_cbranch_execnz .LBB111_34
; %bb.35:                               ;   in Loop: Header=BB111_33 Depth=1
	s_or_b64 exec, exec, s[4:5]
	v_add_u32_e32 v0, s19, v0
	v_cmp_le_i32_e32 vcc, s18, v0
	v_add_u32_e32 v1, s19, v1
	s_or_b64 s[2:3], vcc, s[2:3]
	v_add_u32_e32 v4, s7, v4
	s_andn2_b64 exec, exec, s[2:3]
	s_cbranch_execnz .LBB111_33
.LBB111_36:
	s_endpgm
	.section	.rodata,"a",@progbits
	.p2align	6, 0x0
	.amdhsa_kernel _ZN9rocsolver6v33100L21larft_kernel_backwardIdPdEEv15rocblas_storev_iiT0_iilPT_lS6_il
		.amdhsa_group_segment_fixed_size 0
		.amdhsa_private_segment_fixed_size 0
		.amdhsa_kernarg_size 336
		.amdhsa_user_sgpr_count 6
		.amdhsa_user_sgpr_private_segment_buffer 1
		.amdhsa_user_sgpr_dispatch_ptr 0
		.amdhsa_user_sgpr_queue_ptr 0
		.amdhsa_user_sgpr_kernarg_segment_ptr 1
		.amdhsa_user_sgpr_dispatch_id 0
		.amdhsa_user_sgpr_flat_scratch_init 0
		.amdhsa_user_sgpr_kernarg_preload_length 0
		.amdhsa_user_sgpr_kernarg_preload_offset 0
		.amdhsa_user_sgpr_private_segment_size 0
		.amdhsa_uses_dynamic_stack 0
		.amdhsa_system_sgpr_private_segment_wavefront_offset 0
		.amdhsa_system_sgpr_workgroup_id_x 1
		.amdhsa_system_sgpr_workgroup_id_y 1
		.amdhsa_system_sgpr_workgroup_id_z 0
		.amdhsa_system_sgpr_workgroup_info 0
		.amdhsa_system_vgpr_workitem_id 0
		.amdhsa_next_free_vgpr 16
		.amdhsa_next_free_sgpr 52
		.amdhsa_accum_offset 16
		.amdhsa_reserve_vcc 1
		.amdhsa_reserve_flat_scratch 0
		.amdhsa_float_round_mode_32 0
		.amdhsa_float_round_mode_16_64 0
		.amdhsa_float_denorm_mode_32 3
		.amdhsa_float_denorm_mode_16_64 3
		.amdhsa_dx10_clamp 1
		.amdhsa_ieee_mode 1
		.amdhsa_fp16_overflow 0
		.amdhsa_tg_split 0
		.amdhsa_exception_fp_ieee_invalid_op 0
		.amdhsa_exception_fp_denorm_src 0
		.amdhsa_exception_fp_ieee_div_zero 0
		.amdhsa_exception_fp_ieee_overflow 0
		.amdhsa_exception_fp_ieee_underflow 0
		.amdhsa_exception_fp_ieee_inexact 0
		.amdhsa_exception_int_div_zero 0
	.end_amdhsa_kernel
	.section	.text._ZN9rocsolver6v33100L21larft_kernel_backwardIdPdEEv15rocblas_storev_iiT0_iilPT_lS6_il,"axG",@progbits,_ZN9rocsolver6v33100L21larft_kernel_backwardIdPdEEv15rocblas_storev_iiT0_iilPT_lS6_il,comdat
.Lfunc_end111:
	.size	_ZN9rocsolver6v33100L21larft_kernel_backwardIdPdEEv15rocblas_storev_iiT0_iilPT_lS6_il, .Lfunc_end111-_ZN9rocsolver6v33100L21larft_kernel_backwardIdPdEEv15rocblas_storev_iiT0_iilPT_lS6_il
                                        ; -- End function
	.section	.AMDGPU.csdata,"",@progbits
; Kernel info:
; codeLenInByte = 1488
; NumSgprs: 56
; NumVgprs: 16
; NumAgprs: 0
; TotalNumVgprs: 16
; ScratchSize: 0
; MemoryBound: 0
; FloatMode: 240
; IeeeMode: 1
; LDSByteSize: 0 bytes/workgroup (compile time only)
; SGPRBlocks: 6
; VGPRBlocks: 1
; NumSGPRsForWavesPerEU: 56
; NumVGPRsForWavesPerEU: 16
; AccumOffset: 16
; Occupancy: 8
; WaveLimiterHint : 0
; COMPUTE_PGM_RSRC2:SCRATCH_EN: 0
; COMPUTE_PGM_RSRC2:USER_SGPR: 6
; COMPUTE_PGM_RSRC2:TRAP_HANDLER: 0
; COMPUTE_PGM_RSRC2:TGID_X_EN: 1
; COMPUTE_PGM_RSRC2:TGID_Y_EN: 1
; COMPUTE_PGM_RSRC2:TGID_Z_EN: 0
; COMPUTE_PGM_RSRC2:TIDIG_COMP_CNT: 0
; COMPUTE_PGM_RSRC3_GFX90A:ACCUM_OFFSET: 3
; COMPUTE_PGM_RSRC3_GFX90A:TG_SPLIT: 0
	.section	.text._ZN9rocsolver6v33100L9copymatA1IdPdEEviiT0_iilPT_,"axG",@progbits,_ZN9rocsolver6v33100L9copymatA1IdPdEEviiT0_iilPT_,comdat
	.globl	_ZN9rocsolver6v33100L9copymatA1IdPdEEviiT0_iilPT_ ; -- Begin function _ZN9rocsolver6v33100L9copymatA1IdPdEEviiT0_iilPT_
	.p2align	8
	.type	_ZN9rocsolver6v33100L9copymatA1IdPdEEviiT0_iilPT_,@function
_ZN9rocsolver6v33100L9copymatA1IdPdEEviiT0_iilPT_: ; @_ZN9rocsolver6v33100L9copymatA1IdPdEEviiT0_iilPT_
; %bb.0:
	s_load_dword s0, s[4:5], 0x34
	s_load_dwordx2 s[2:3], s[4:5], 0x0
	v_and_b32_e32 v1, 0x3ff, v0
	v_bfe_u32 v0, v0, 10, 10
	s_waitcnt lgkmcnt(0)
	s_lshr_b32 s1, s0, 16
	s_and_b32 s0, s0, 0xffff
	s_mul_i32 s6, s6, s0
	s_mul_i32 s7, s7, s1
	v_add_u32_e32 v1, s6, v1
	v_add_u32_e32 v0, s7, v0
	v_cmp_gt_u32_e32 vcc, s2, v0
	v_cmp_gt_u32_e64 s[0:1], s3, v1
	s_and_b64 s[0:1], s[0:1], vcc
	s_and_saveexec_b64 s[6:7], s[0:1]
	s_cbranch_execz .LBB112_2
; %bb.1:
	s_ashr_i32 s0, s2, 31
	s_load_dwordx8 s[12:19], s[4:5], 0x8
	s_mul_hi_u32 s4, s2, s8
	s_mul_i32 s0, s0, s8
	s_ashr_i32 s1, s3, 31
	s_add_i32 s0, s4, s0
	s_mul_i32 s4, s2, s8
	s_mul_i32 s1, s4, s1
	s_mul_hi_u32 s5, s4, s3
	s_add_i32 s1, s5, s1
	s_mul_i32 s0, s0, s3
	s_add_i32 s1, s1, s0
	s_mul_i32 s0, s4, s3
	s_lshl_b64 s[0:1], s[0:1], 3
	s_waitcnt lgkmcnt(0)
	s_add_u32 s3, s18, s0
	s_mul_i32 s4, s8, s17
	s_mul_hi_u32 s5, s8, s16
	s_addc_u32 s6, s19, s1
	s_add_i32 s5, s5, s4
	s_mul_i32 s4, s8, s16
	s_ashr_i32 s1, s14, 31
	s_lshl_b64 s[4:5], s[4:5], 3
	s_mov_b32 s0, s14
	s_add_u32 s4, s12, s4
	s_addc_u32 s5, s13, s5
	s_lshl_b64 s[0:1], s[0:1], 3
	s_add_u32 s4, s4, s0
	s_addc_u32 s5, s5, s1
	v_mad_u64_u32 v[2:3], s[0:1], v1, s15, v[0:1]
	v_mov_b32_e32 v3, 0
	v_lshlrev_b64 v[4:5], 3, v[2:3]
	v_mov_b32_e32 v2, s5
	v_add_co_u32_e32 v4, vcc, s4, v4
	v_addc_co_u32_e32 v5, vcc, v2, v5, vcc
	global_load_dwordx2 v[4:5], v[4:5], off
	v_mad_u64_u32 v[0:1], s[0:1], v1, s2, v[0:1]
	v_mov_b32_e32 v1, v3
	v_lshlrev_b64 v[0:1], 3, v[0:1]
	v_mov_b32_e32 v2, s6
	v_add_co_u32_e32 v0, vcc, s3, v0
	v_addc_co_u32_e32 v1, vcc, v2, v1, vcc
	s_waitcnt vmcnt(0)
	global_store_dwordx2 v[0:1], v[4:5], off
.LBB112_2:
	s_endpgm
	.section	.rodata,"a",@progbits
	.p2align	6, 0x0
	.amdhsa_kernel _ZN9rocsolver6v33100L9copymatA1IdPdEEviiT0_iilPT_
		.amdhsa_group_segment_fixed_size 0
		.amdhsa_private_segment_fixed_size 0
		.amdhsa_kernarg_size 296
		.amdhsa_user_sgpr_count 6
		.amdhsa_user_sgpr_private_segment_buffer 1
		.amdhsa_user_sgpr_dispatch_ptr 0
		.amdhsa_user_sgpr_queue_ptr 0
		.amdhsa_user_sgpr_kernarg_segment_ptr 1
		.amdhsa_user_sgpr_dispatch_id 0
		.amdhsa_user_sgpr_flat_scratch_init 0
		.amdhsa_user_sgpr_kernarg_preload_length 0
		.amdhsa_user_sgpr_kernarg_preload_offset 0
		.amdhsa_user_sgpr_private_segment_size 0
		.amdhsa_uses_dynamic_stack 0
		.amdhsa_system_sgpr_private_segment_wavefront_offset 0
		.amdhsa_system_sgpr_workgroup_id_x 1
		.amdhsa_system_sgpr_workgroup_id_y 1
		.amdhsa_system_sgpr_workgroup_id_z 1
		.amdhsa_system_sgpr_workgroup_info 0
		.amdhsa_system_vgpr_workitem_id 1
		.amdhsa_next_free_vgpr 6
		.amdhsa_next_free_sgpr 20
		.amdhsa_accum_offset 8
		.amdhsa_reserve_vcc 1
		.amdhsa_reserve_flat_scratch 0
		.amdhsa_float_round_mode_32 0
		.amdhsa_float_round_mode_16_64 0
		.amdhsa_float_denorm_mode_32 3
		.amdhsa_float_denorm_mode_16_64 3
		.amdhsa_dx10_clamp 1
		.amdhsa_ieee_mode 1
		.amdhsa_fp16_overflow 0
		.amdhsa_tg_split 0
		.amdhsa_exception_fp_ieee_invalid_op 0
		.amdhsa_exception_fp_denorm_src 0
		.amdhsa_exception_fp_ieee_div_zero 0
		.amdhsa_exception_fp_ieee_overflow 0
		.amdhsa_exception_fp_ieee_underflow 0
		.amdhsa_exception_fp_ieee_inexact 0
		.amdhsa_exception_int_div_zero 0
	.end_amdhsa_kernel
	.section	.text._ZN9rocsolver6v33100L9copymatA1IdPdEEviiT0_iilPT_,"axG",@progbits,_ZN9rocsolver6v33100L9copymatA1IdPdEEviiT0_iilPT_,comdat
.Lfunc_end112:
	.size	_ZN9rocsolver6v33100L9copymatA1IdPdEEviiT0_iilPT_, .Lfunc_end112-_ZN9rocsolver6v33100L9copymatA1IdPdEEviiT0_iilPT_
                                        ; -- End function
	.section	.AMDGPU.csdata,"",@progbits
; Kernel info:
; codeLenInByte = 296
; NumSgprs: 24
; NumVgprs: 6
; NumAgprs: 0
; TotalNumVgprs: 6
; ScratchSize: 0
; MemoryBound: 0
; FloatMode: 240
; IeeeMode: 1
; LDSByteSize: 0 bytes/workgroup (compile time only)
; SGPRBlocks: 2
; VGPRBlocks: 0
; NumSGPRsForWavesPerEU: 24
; NumVGPRsForWavesPerEU: 6
; AccumOffset: 8
; Occupancy: 8
; WaveLimiterHint : 0
; COMPUTE_PGM_RSRC2:SCRATCH_EN: 0
; COMPUTE_PGM_RSRC2:USER_SGPR: 6
; COMPUTE_PGM_RSRC2:TRAP_HANDLER: 0
; COMPUTE_PGM_RSRC2:TGID_X_EN: 1
; COMPUTE_PGM_RSRC2:TGID_Y_EN: 1
; COMPUTE_PGM_RSRC2:TGID_Z_EN: 1
; COMPUTE_PGM_RSRC2:TIDIG_COMP_CNT: 1
; COMPUTE_PGM_RSRC3_GFX90A:ACCUM_OFFSET: 1
; COMPUTE_PGM_RSRC3_GFX90A:TG_SPLIT: 0
	.section	.text._ZN9rocsolver6v33100L8addmatA1IdPdEEviiT0_iilPT_,"axG",@progbits,_ZN9rocsolver6v33100L8addmatA1IdPdEEviiT0_iilPT_,comdat
	.globl	_ZN9rocsolver6v33100L8addmatA1IdPdEEviiT0_iilPT_ ; -- Begin function _ZN9rocsolver6v33100L8addmatA1IdPdEEviiT0_iilPT_
	.p2align	8
	.type	_ZN9rocsolver6v33100L8addmatA1IdPdEEviiT0_iilPT_,@function
_ZN9rocsolver6v33100L8addmatA1IdPdEEviiT0_iilPT_: ; @_ZN9rocsolver6v33100L8addmatA1IdPdEEviiT0_iilPT_
; %bb.0:
	s_load_dword s0, s[4:5], 0x34
	s_load_dwordx2 s[10:11], s[4:5], 0x0
	v_and_b32_e32 v1, 0x3ff, v0
	v_bfe_u32 v0, v0, 10, 10
	s_waitcnt lgkmcnt(0)
	s_lshr_b32 s1, s0, 16
	s_and_b32 s0, s0, 0xffff
	s_mul_i32 s6, s6, s0
	s_mul_i32 s7, s7, s1
	v_add_u32_e32 v1, s6, v1
	v_add_u32_e32 v0, s7, v0
	v_cmp_gt_u32_e32 vcc, s10, v0
	v_cmp_gt_u32_e64 s[0:1], s11, v1
	s_and_b64 s[0:1], s[0:1], vcc
	s_and_saveexec_b64 s[2:3], s[0:1]
	s_cbranch_execz .LBB113_2
; %bb.1:
	s_ashr_i32 s9, s10, 31
	s_load_dwordx8 s[0:7], s[4:5], 0x8
	s_ashr_i32 s12, s11, 31
	s_mul_hi_u32 s13, s10, s8
	s_mul_i32 s9, s9, s8
	s_mul_i32 s14, s10, s8
	s_add_i32 s9, s13, s9
	s_mul_i32 s12, s14, s12
	s_mul_hi_u32 s13, s14, s11
	s_add_i32 s12, s13, s12
	s_mul_i32 s9, s9, s11
	s_add_i32 s13, s12, s9
	s_mul_i32 s12, s14, s11
	s_lshl_b64 s[12:13], s[12:13], 3
	s_waitcnt lgkmcnt(0)
	s_add_u32 s9, s6, s12
	s_addc_u32 s11, s7, s13
	s_ashr_i32 s7, s2, 31
	s_mov_b32 s6, s2
	s_mul_i32 s2, s8, s5
	s_mul_hi_u32 s5, s8, s4
	s_add_i32 s5, s5, s2
	s_mul_i32 s4, s8, s4
	s_lshl_b64 s[4:5], s[4:5], 3
	s_add_u32 s2, s0, s4
	s_addc_u32 s4, s1, s5
	s_lshl_b64 s[0:1], s[6:7], 3
	s_add_u32 s2, s2, s0
	s_addc_u32 s4, s4, s1
	v_mad_u64_u32 v[2:3], s[0:1], v1, s10, v[0:1]
	v_mov_b32_e32 v3, 0
	v_lshlrev_b64 v[4:5], 3, v[2:3]
	v_mad_u64_u32 v[0:1], s[0:1], v1, s3, v[0:1]
	v_mov_b32_e32 v2, s11
	v_add_co_u32_e32 v4, vcc, s9, v4
	v_mov_b32_e32 v1, v3
	v_addc_co_u32_e32 v5, vcc, v2, v5, vcc
	v_lshlrev_b64 v[0:1], 3, v[0:1]
	v_mov_b32_e32 v2, s4
	v_add_co_u32_e32 v0, vcc, s2, v0
	v_addc_co_u32_e32 v1, vcc, v2, v1, vcc
	global_load_dwordx2 v[4:5], v[4:5], off
	s_nop 0
	global_load_dwordx2 v[2:3], v[0:1], off
	s_waitcnt vmcnt(0)
	v_add_f64 v[2:3], v[2:3], -v[4:5]
	global_store_dwordx2 v[0:1], v[2:3], off
.LBB113_2:
	s_endpgm
	.section	.rodata,"a",@progbits
	.p2align	6, 0x0
	.amdhsa_kernel _ZN9rocsolver6v33100L8addmatA1IdPdEEviiT0_iilPT_
		.amdhsa_group_segment_fixed_size 0
		.amdhsa_private_segment_fixed_size 0
		.amdhsa_kernarg_size 296
		.amdhsa_user_sgpr_count 6
		.amdhsa_user_sgpr_private_segment_buffer 1
		.amdhsa_user_sgpr_dispatch_ptr 0
		.amdhsa_user_sgpr_queue_ptr 0
		.amdhsa_user_sgpr_kernarg_segment_ptr 1
		.amdhsa_user_sgpr_dispatch_id 0
		.amdhsa_user_sgpr_flat_scratch_init 0
		.amdhsa_user_sgpr_kernarg_preload_length 0
		.amdhsa_user_sgpr_kernarg_preload_offset 0
		.amdhsa_user_sgpr_private_segment_size 0
		.amdhsa_uses_dynamic_stack 0
		.amdhsa_system_sgpr_private_segment_wavefront_offset 0
		.amdhsa_system_sgpr_workgroup_id_x 1
		.amdhsa_system_sgpr_workgroup_id_y 1
		.amdhsa_system_sgpr_workgroup_id_z 1
		.amdhsa_system_sgpr_workgroup_info 0
		.amdhsa_system_vgpr_workitem_id 1
		.amdhsa_next_free_vgpr 6
		.amdhsa_next_free_sgpr 15
		.amdhsa_accum_offset 8
		.amdhsa_reserve_vcc 1
		.amdhsa_reserve_flat_scratch 0
		.amdhsa_float_round_mode_32 0
		.amdhsa_float_round_mode_16_64 0
		.amdhsa_float_denorm_mode_32 3
		.amdhsa_float_denorm_mode_16_64 3
		.amdhsa_dx10_clamp 1
		.amdhsa_ieee_mode 1
		.amdhsa_fp16_overflow 0
		.amdhsa_tg_split 0
		.amdhsa_exception_fp_ieee_invalid_op 0
		.amdhsa_exception_fp_denorm_src 0
		.amdhsa_exception_fp_ieee_div_zero 0
		.amdhsa_exception_fp_ieee_overflow 0
		.amdhsa_exception_fp_ieee_underflow 0
		.amdhsa_exception_fp_ieee_inexact 0
		.amdhsa_exception_int_div_zero 0
	.end_amdhsa_kernel
	.section	.text._ZN9rocsolver6v33100L8addmatA1IdPdEEviiT0_iilPT_,"axG",@progbits,_ZN9rocsolver6v33100L8addmatA1IdPdEEviiT0_iilPT_,comdat
.Lfunc_end113:
	.size	_ZN9rocsolver6v33100L8addmatA1IdPdEEviiT0_iilPT_, .Lfunc_end113-_ZN9rocsolver6v33100L8addmatA1IdPdEEviiT0_iilPT_
                                        ; -- End function
	.section	.AMDGPU.csdata,"",@progbits
; Kernel info:
; codeLenInByte = 316
; NumSgprs: 19
; NumVgprs: 6
; NumAgprs: 0
; TotalNumVgprs: 6
; ScratchSize: 0
; MemoryBound: 0
; FloatMode: 240
; IeeeMode: 1
; LDSByteSize: 0 bytes/workgroup (compile time only)
; SGPRBlocks: 2
; VGPRBlocks: 0
; NumSGPRsForWavesPerEU: 19
; NumVGPRsForWavesPerEU: 6
; AccumOffset: 8
; Occupancy: 8
; WaveLimiterHint : 0
; COMPUTE_PGM_RSRC2:SCRATCH_EN: 0
; COMPUTE_PGM_RSRC2:USER_SGPR: 6
; COMPUTE_PGM_RSRC2:TRAP_HANDLER: 0
; COMPUTE_PGM_RSRC2:TGID_X_EN: 1
; COMPUTE_PGM_RSRC2:TGID_Y_EN: 1
; COMPUTE_PGM_RSRC2:TGID_Z_EN: 1
; COMPUTE_PGM_RSRC2:TIDIG_COMP_CNT: 1
; COMPUTE_PGM_RSRC3_GFX90A:ACCUM_OFFSET: 1
; COMPUTE_PGM_RSRC3_GFX90A:TG_SPLIT: 0
	.section	.text._ZN9rocsolver6v33100L16orgl2_init_identIdPdEEviiiT0_iil,"axG",@progbits,_ZN9rocsolver6v33100L16orgl2_init_identIdPdEEviiiT0_iil,comdat
	.globl	_ZN9rocsolver6v33100L16orgl2_init_identIdPdEEviiiT0_iil ; -- Begin function _ZN9rocsolver6v33100L16orgl2_init_identIdPdEEviiiT0_iil
	.p2align	8
	.type	_ZN9rocsolver6v33100L16orgl2_init_identIdPdEEviiiT0_iil,@function
_ZN9rocsolver6v33100L16orgl2_init_identIdPdEEviiiT0_iil: ; @_ZN9rocsolver6v33100L16orgl2_init_identIdPdEEviiiT0_iil
; %bb.0:
	s_load_dword s9, s[4:5], 0x34
	s_load_dwordx4 s[0:3], s[4:5], 0x0
	v_bfe_u32 v1, v0, 10, 10
	v_and_b32_e32 v0, 0x3ff, v0
	s_waitcnt lgkmcnt(0)
	s_lshr_b32 s3, s9, 16
	s_and_b32 s9, s9, 0xffff
	s_mul_i32 s7, s7, s3
	s_mul_i32 s6, s6, s9
	v_add_u32_e32 v2, s7, v1
	v_add_u32_e32 v6, s6, v0
	v_cmp_gt_u32_e32 vcc, s0, v6
	v_cmp_gt_u32_e64 s[0:1], s1, v2
	s_and_b64 s[0:1], vcc, s[0:1]
	s_and_saveexec_b64 s[6:7], s[0:1]
	s_cbranch_execz .LBB114_5
; %bb.1:
	s_load_dwordx2 s[0:1], s[4:5], 0x18
	v_cmp_ne_u32_e32 vcc, v6, v2
	s_mov_b64 s[10:11], 0
                                        ; implicit-def: $vgpr4_vgpr5
                                        ; implicit-def: $vgpr0
	s_and_saveexec_b64 s[6:7], vcc
	s_xor_b64 s[6:7], exec, s[6:7]
	s_cbranch_execnz .LBB114_6
; %bb.2:
	s_andn2_saveexec_b64 s[2:3], s[6:7]
	s_cbranch_execnz .LBB114_13
.LBB114_3:
	s_or_b64 exec, exec, s[2:3]
	s_and_b64 exec, exec, s[10:11]
	s_cbranch_execz .LBB114_5
.LBB114_4:
	s_load_dwordx2 s[2:3], s[4:5], 0x20
	s_load_dwordx2 s[6:7], s[4:5], 0x10
	s_waitcnt lgkmcnt(0)
	s_ashr_i32 s1, s0, 31
	v_mov_b32_e32 v1, 0
	v_lshlrev_b64 v[0:1], 3, v[0:1]
	s_mul_i32 s3, s8, s3
	s_mul_hi_u32 s4, s8, s2
	s_mul_i32 s2, s8, s2
	s_add_i32 s3, s4, s3
	s_lshl_b64 s[2:3], s[2:3], 3
	s_add_u32 s2, s6, s2
	s_addc_u32 s3, s7, s3
	s_lshl_b64 s[0:1], s[0:1], 3
	s_add_u32 s0, s2, s0
	s_addc_u32 s1, s3, s1
	v_mov_b32_e32 v2, s1
	v_add_co_u32_e32 v0, vcc, s0, v0
	v_addc_co_u32_e32 v1, vcc, v2, v1, vcc
	global_store_dwordx2 v[0:1], v[4:5], off
.LBB114_5:
	s_endpgm
.LBB114_6:
	v_cmp_ge_u32_e32 vcc, v2, v6
                                        ; implicit-def: $sgpr12_sgpr13
                                        ; implicit-def: $vgpr0
	s_and_saveexec_b64 s[14:15], vcc
	s_xor_b64 s[14:15], exec, s[14:15]
	s_cbranch_execz .LBB114_10
; %bb.7:
	v_cmp_le_u32_e32 vcc, s2, v6
	s_mov_b64 s[2:3], 0
                                        ; implicit-def: $sgpr12_sgpr13
                                        ; implicit-def: $vgpr0
	s_and_saveexec_b64 s[10:11], vcc
	s_xor_b64 s[10:11], exec, s[10:11]
	s_cbranch_execz .LBB114_9
; %bb.8:
	s_waitcnt lgkmcnt(0)
	v_mad_u64_u32 v[0:1], s[12:13], v2, s1, v[6:7]
	s_mov_b64 s[2:3], exec
	s_mov_b64 s[12:13], 0
.LBB114_9:
	s_or_b64 exec, exec, s[10:11]
	s_and_b64 s[10:11], s[2:3], exec
                                        ; implicit-def: $vgpr6
                                        ; implicit-def: $vgpr2
.LBB114_10:
	s_or_saveexec_b64 s[2:3], s[14:15]
	v_pk_mov_b32 v[4:5], s[12:13], s[12:13] op_sel:[0,1]
	s_xor_b64 exec, exec, s[2:3]
	s_cbranch_execz .LBB114_12
; %bb.11:
	s_waitcnt lgkmcnt(0)
	v_mad_u64_u32 v[0:1], s[12:13], v2, s1, v[6:7]
	v_pk_mov_b32 v[4:5], 0, 0
	s_or_b64 s[10:11], s[10:11], exec
.LBB114_12:
	s_or_b64 exec, exec, s[2:3]
	s_and_b64 s[10:11], s[10:11], exec
                                        ; implicit-def: $vgpr2
	s_andn2_saveexec_b64 s[2:3], s[6:7]
	s_cbranch_execz .LBB114_3
.LBB114_13:
	v_mov_b32_e32 v4, 0
	s_waitcnt lgkmcnt(0)
	v_mad_u64_u32 v[0:1], s[6:7], v2, s1, v[2:3]
	v_mov_b32_e32 v5, 0x3ff00000
	s_or_b64 s[10:11], s[10:11], exec
	s_or_b64 exec, exec, s[2:3]
	s_and_b64 exec, exec, s[10:11]
	s_cbranch_execnz .LBB114_4
	s_branch .LBB114_5
	.section	.rodata,"a",@progbits
	.p2align	6, 0x0
	.amdhsa_kernel _ZN9rocsolver6v33100L16orgl2_init_identIdPdEEviiiT0_iil
		.amdhsa_group_segment_fixed_size 0
		.amdhsa_private_segment_fixed_size 0
		.amdhsa_kernarg_size 296
		.amdhsa_user_sgpr_count 6
		.amdhsa_user_sgpr_private_segment_buffer 1
		.amdhsa_user_sgpr_dispatch_ptr 0
		.amdhsa_user_sgpr_queue_ptr 0
		.amdhsa_user_sgpr_kernarg_segment_ptr 1
		.amdhsa_user_sgpr_dispatch_id 0
		.amdhsa_user_sgpr_flat_scratch_init 0
		.amdhsa_user_sgpr_kernarg_preload_length 0
		.amdhsa_user_sgpr_kernarg_preload_offset 0
		.amdhsa_user_sgpr_private_segment_size 0
		.amdhsa_uses_dynamic_stack 0
		.amdhsa_system_sgpr_private_segment_wavefront_offset 0
		.amdhsa_system_sgpr_workgroup_id_x 1
		.amdhsa_system_sgpr_workgroup_id_y 1
		.amdhsa_system_sgpr_workgroup_id_z 1
		.amdhsa_system_sgpr_workgroup_info 0
		.amdhsa_system_vgpr_workitem_id 1
		.amdhsa_next_free_vgpr 8
		.amdhsa_next_free_sgpr 16
		.amdhsa_accum_offset 8
		.amdhsa_reserve_vcc 1
		.amdhsa_reserve_flat_scratch 0
		.amdhsa_float_round_mode_32 0
		.amdhsa_float_round_mode_16_64 0
		.amdhsa_float_denorm_mode_32 3
		.amdhsa_float_denorm_mode_16_64 3
		.amdhsa_dx10_clamp 1
		.amdhsa_ieee_mode 1
		.amdhsa_fp16_overflow 0
		.amdhsa_tg_split 0
		.amdhsa_exception_fp_ieee_invalid_op 0
		.amdhsa_exception_fp_denorm_src 0
		.amdhsa_exception_fp_ieee_div_zero 0
		.amdhsa_exception_fp_ieee_overflow 0
		.amdhsa_exception_fp_ieee_underflow 0
		.amdhsa_exception_fp_ieee_inexact 0
		.amdhsa_exception_int_div_zero 0
	.end_amdhsa_kernel
	.section	.text._ZN9rocsolver6v33100L16orgl2_init_identIdPdEEviiiT0_iil,"axG",@progbits,_ZN9rocsolver6v33100L16orgl2_init_identIdPdEEviiiT0_iil,comdat
.Lfunc_end114:
	.size	_ZN9rocsolver6v33100L16orgl2_init_identIdPdEEviiiT0_iil, .Lfunc_end114-_ZN9rocsolver6v33100L16orgl2_init_identIdPdEEviiiT0_iil
                                        ; -- End function
	.section	.AMDGPU.csdata,"",@progbits
; Kernel info:
; codeLenInByte = 404
; NumSgprs: 20
; NumVgprs: 8
; NumAgprs: 0
; TotalNumVgprs: 8
; ScratchSize: 0
; MemoryBound: 0
; FloatMode: 240
; IeeeMode: 1
; LDSByteSize: 0 bytes/workgroup (compile time only)
; SGPRBlocks: 2
; VGPRBlocks: 0
; NumSGPRsForWavesPerEU: 20
; NumVGPRsForWavesPerEU: 8
; AccumOffset: 8
; Occupancy: 8
; WaveLimiterHint : 0
; COMPUTE_PGM_RSRC2:SCRATCH_EN: 0
; COMPUTE_PGM_RSRC2:USER_SGPR: 6
; COMPUTE_PGM_RSRC2:TRAP_HANDLER: 0
; COMPUTE_PGM_RSRC2:TGID_X_EN: 1
; COMPUTE_PGM_RSRC2:TGID_Y_EN: 1
; COMPUTE_PGM_RSRC2:TGID_Z_EN: 1
; COMPUTE_PGM_RSRC2:TIDIG_COMP_CNT: 1
; COMPUTE_PGM_RSRC3_GFX90A:ACCUM_OFFSET: 1
; COMPUTE_PGM_RSRC3_GFX90A:TG_SPLIT: 0
	.section	.text._ZN9rocsolver6v33100L8set_zeroIdPdEEviiT0_iil13rocblas_fill_,"axG",@progbits,_ZN9rocsolver6v33100L8set_zeroIdPdEEviiT0_iil13rocblas_fill_,comdat
	.globl	_ZN9rocsolver6v33100L8set_zeroIdPdEEviiT0_iil13rocblas_fill_ ; -- Begin function _ZN9rocsolver6v33100L8set_zeroIdPdEEviiT0_iil13rocblas_fill_
	.p2align	8
	.type	_ZN9rocsolver6v33100L8set_zeroIdPdEEviiT0_iil13rocblas_fill_,@function
_ZN9rocsolver6v33100L8set_zeroIdPdEEviiT0_iil13rocblas_fill_: ; @_ZN9rocsolver6v33100L8set_zeroIdPdEEviiT0_iil13rocblas_fill_
; %bb.0:
	s_load_dword s2, s[4:5], 0x34
	s_load_dwordx2 s[0:1], s[4:5], 0x0
	v_and_b32_e32 v1, 0x3ff, v0
	v_bfe_u32 v0, v0, 10, 10
	s_waitcnt lgkmcnt(0)
	s_lshr_b32 s3, s2, 16
	s_and_b32 s2, s2, 0xffff
	s_mul_i32 s6, s6, s2
	s_mul_i32 s7, s7, s3
	v_add_u32_e32 v2, s6, v1
	v_add_u32_e32 v0, s7, v0
	v_cmp_gt_u32_e32 vcc, s0, v2
	v_cmp_gt_u32_e64 s[0:1], s1, v0
	s_and_b64 s[0:1], vcc, s[0:1]
	s_and_saveexec_b64 s[2:3], s[0:1]
	s_cbranch_execz .LBB115_12
; %bb.1:
	s_load_dword s6, s[4:5], 0x20
	s_waitcnt lgkmcnt(0)
	s_cmpk_lt_i32 s6, 0x7a
	s_cbranch_scc1 .LBB115_4
; %bb.2:
	s_cmpk_gt_i32 s6, 0x7a
	s_cbranch_scc0 .LBB115_5
; %bb.3:
	s_cmpk_eq_i32 s6, 0x7b
	s_cselect_b64 s[0:1], -1, 0
	s_cbranch_execz .LBB115_6
	s_branch .LBB115_7
.LBB115_4:
	s_mov_b64 s[0:1], 0
	s_cbranch_execnz .LBB115_8
	s_branch .LBB115_10
.LBB115_5:
	s_mov_b64 s[0:1], 0
.LBB115_6:
	v_cmp_gt_u32_e32 vcc, v0, v2
	s_andn2_b64 s[0:1], s[0:1], exec
	s_and_b64 s[2:3], vcc, exec
	s_or_b64 s[0:1], s[0:1], s[2:3]
.LBB115_7:
	s_branch .LBB115_10
.LBB115_8:
	s_cmpk_eq_i32 s6, 0x79
	s_cbranch_scc0 .LBB115_10
; %bb.9:
	v_cmp_gt_u32_e32 vcc, v2, v0
	s_andn2_b64 s[0:1], s[0:1], exec
	s_and_b64 s[2:3], vcc, exec
	s_or_b64 s[0:1], s[0:1], s[2:3]
.LBB115_10:
	s_and_b64 exec, exec, s[0:1]
	s_cbranch_execz .LBB115_12
; %bb.11:
	s_load_dwordx4 s[0:3], s[4:5], 0x8
	s_load_dwordx2 s[6:7], s[4:5], 0x18
	s_waitcnt lgkmcnt(0)
	s_ashr_i32 s5, s2, 31
	s_mov_b32 s4, s2
	s_mul_i32 s2, s8, s7
	s_mul_hi_u32 s7, s8, s6
	s_add_i32 s7, s7, s2
	s_mul_i32 s6, s8, s6
	s_lshl_b64 s[6:7], s[6:7], 3
	s_add_u32 s2, s0, s6
	s_addc_u32 s6, s1, s7
	s_lshl_b64 s[0:1], s[4:5], 3
	s_add_u32 s2, s2, s0
	s_addc_u32 s4, s6, s1
	v_mad_u64_u32 v[0:1], s[0:1], v0, s3, v[2:3]
	v_mov_b32_e32 v1, 0
	v_lshlrev_b64 v[2:3], 3, v[0:1]
	v_mov_b32_e32 v0, s4
	v_add_co_u32_e32 v2, vcc, s2, v2
	v_addc_co_u32_e32 v3, vcc, v0, v3, vcc
	v_mov_b32_e32 v0, v1
	global_store_dwordx2 v[2:3], v[0:1], off
.LBB115_12:
	s_endpgm
	.section	.rodata,"a",@progbits
	.p2align	6, 0x0
	.amdhsa_kernel _ZN9rocsolver6v33100L8set_zeroIdPdEEviiT0_iil13rocblas_fill_
		.amdhsa_group_segment_fixed_size 0
		.amdhsa_private_segment_fixed_size 0
		.amdhsa_kernarg_size 296
		.amdhsa_user_sgpr_count 6
		.amdhsa_user_sgpr_private_segment_buffer 1
		.amdhsa_user_sgpr_dispatch_ptr 0
		.amdhsa_user_sgpr_queue_ptr 0
		.amdhsa_user_sgpr_kernarg_segment_ptr 1
		.amdhsa_user_sgpr_dispatch_id 0
		.amdhsa_user_sgpr_flat_scratch_init 0
		.amdhsa_user_sgpr_kernarg_preload_length 0
		.amdhsa_user_sgpr_kernarg_preload_offset 0
		.amdhsa_user_sgpr_private_segment_size 0
		.amdhsa_uses_dynamic_stack 0
		.amdhsa_system_sgpr_private_segment_wavefront_offset 0
		.amdhsa_system_sgpr_workgroup_id_x 1
		.amdhsa_system_sgpr_workgroup_id_y 1
		.amdhsa_system_sgpr_workgroup_id_z 1
		.amdhsa_system_sgpr_workgroup_info 0
		.amdhsa_system_vgpr_workitem_id 1
		.amdhsa_next_free_vgpr 4
		.amdhsa_next_free_sgpr 9
		.amdhsa_accum_offset 4
		.amdhsa_reserve_vcc 1
		.amdhsa_reserve_flat_scratch 0
		.amdhsa_float_round_mode_32 0
		.amdhsa_float_round_mode_16_64 0
		.amdhsa_float_denorm_mode_32 3
		.amdhsa_float_denorm_mode_16_64 3
		.amdhsa_dx10_clamp 1
		.amdhsa_ieee_mode 1
		.amdhsa_fp16_overflow 0
		.amdhsa_tg_split 0
		.amdhsa_exception_fp_ieee_invalid_op 0
		.amdhsa_exception_fp_denorm_src 0
		.amdhsa_exception_fp_ieee_div_zero 0
		.amdhsa_exception_fp_ieee_overflow 0
		.amdhsa_exception_fp_ieee_underflow 0
		.amdhsa_exception_fp_ieee_inexact 0
		.amdhsa_exception_int_div_zero 0
	.end_amdhsa_kernel
	.section	.text._ZN9rocsolver6v33100L8set_zeroIdPdEEviiT0_iil13rocblas_fill_,"axG",@progbits,_ZN9rocsolver6v33100L8set_zeroIdPdEEviiT0_iil13rocblas_fill_,comdat
.Lfunc_end115:
	.size	_ZN9rocsolver6v33100L8set_zeroIdPdEEviiT0_iil13rocblas_fill_, .Lfunc_end115-_ZN9rocsolver6v33100L8set_zeroIdPdEEviiT0_iil13rocblas_fill_
                                        ; -- End function
	.section	.AMDGPU.csdata,"",@progbits
; Kernel info:
; codeLenInByte = 316
; NumSgprs: 13
; NumVgprs: 4
; NumAgprs: 0
; TotalNumVgprs: 4
; ScratchSize: 0
; MemoryBound: 0
; FloatMode: 240
; IeeeMode: 1
; LDSByteSize: 0 bytes/workgroup (compile time only)
; SGPRBlocks: 1
; VGPRBlocks: 0
; NumSGPRsForWavesPerEU: 13
; NumVGPRsForWavesPerEU: 4
; AccumOffset: 4
; Occupancy: 8
; WaveLimiterHint : 0
; COMPUTE_PGM_RSRC2:SCRATCH_EN: 0
; COMPUTE_PGM_RSRC2:USER_SGPR: 6
; COMPUTE_PGM_RSRC2:TRAP_HANDLER: 0
; COMPUTE_PGM_RSRC2:TGID_X_EN: 1
; COMPUTE_PGM_RSRC2:TGID_Y_EN: 1
; COMPUTE_PGM_RSRC2:TGID_Z_EN: 1
; COMPUTE_PGM_RSRC2:TIDIG_COMP_CNT: 1
; COMPUTE_PGM_RSRC3_GFX90A:ACCUM_OFFSET: 0
; COMPUTE_PGM_RSRC3_GFX90A:TG_SPLIT: 0
	.section	.text._ZN9rocsolver6v33100L11set_taubetaIdidPdEEvPT_lS4_T2_llPT1_ll,"axG",@progbits,_ZN9rocsolver6v33100L11set_taubetaIdidPdEEvPT_lS4_T2_llPT1_ll,comdat
	.globl	_ZN9rocsolver6v33100L11set_taubetaIdidPdEEvPT_lS4_T2_llPT1_ll ; -- Begin function _ZN9rocsolver6v33100L11set_taubetaIdidPdEEvPT_lS4_T2_llPT1_ll
	.p2align	8
	.type	_ZN9rocsolver6v33100L11set_taubetaIdidPdEEvPT_lS4_T2_llPT1_ll,@function
_ZN9rocsolver6v33100L11set_taubetaIdidPdEEvPT_lS4_T2_llPT1_ll: ; @_ZN9rocsolver6v33100L11set_taubetaIdidPdEEvPT_lS4_T2_llPT1_ll
; %bb.0:
	s_load_dwordx16 s[8:23], s[4:5], 0x0
	s_ashr_i32 s7, s6, 31
	s_mov_b64 s[24:25], 0
	s_mov_b64 s[0:1], 0
	s_waitcnt lgkmcnt(0)
	s_cmp_eq_u64 s[20:21], 0
	s_cbranch_scc1 .LBB116_2
; %bb.1:
	s_load_dwordx2 s[0:1], s[4:5], 0x40
	s_waitcnt lgkmcnt(0)
	s_mul_i32 s1, s6, s1
	s_mul_hi_u32 s2, s6, s0
	s_mul_i32 s3, s7, s0
	s_add_i32 s1, s2, s1
	s_mul_i32 s0, s6, s0
	s_add_i32 s1, s1, s3
	s_lshl_b64 s[0:1], s[0:1], 3
	s_add_u32 s2, s20, s0
	s_addc_u32 s3, s21, s1
	s_lshl_b64 s[0:1], s[22:23], 3
	s_add_u32 s0, s2, s0
	s_addc_u32 s1, s3, s1
.LBB116_2:
	s_mul_i32 s2, s6, s19
	s_mul_hi_u32 s3, s6, s18
	s_add_i32 s2, s3, s2
	s_mul_i32 s3, s7, s18
	s_add_i32 s3, s2, s3
	s_mul_i32 s2, s6, s18
	s_lshl_b64 s[2:3], s[2:3], 3
	s_add_u32 s4, s14, s2
	s_addc_u32 s5, s15, s3
	s_lshl_b64 s[2:3], s[16:17], 3
	s_add_u32 s2, s4, s2
	s_addc_u32 s3, s5, s3
	s_mul_i32 s4, s6, s11
	s_mul_hi_u32 s5, s6, s10
	s_add_i32 s4, s5, s4
	s_mul_i32 s5, s7, s10
	s_add_i32 s5, s4, s5
	s_mul_i32 s4, s6, s10
	s_lshl_b64 s[4:5], s[4:5], 3
	s_add_u32 s4, s8, s4
	s_addc_u32 s5, s9, s5
	s_lshl_b64 s[6:7], s[6:7], 3
	s_add_u32 s10, s12, s6
	s_addc_u32 s11, s13, s7
	s_load_dwordx2 s[12:13], s[10:11], 0x0
	s_cmp_eq_u64 s[0:1], 0
	s_cselect_b64 s[8:9], -1, 0
	s_cmp_lg_u64 s[0:1], 0
	s_cselect_b64 s[6:7], -1, 0
	s_waitcnt lgkmcnt(0)
	v_cmp_ngt_f64_e64 s[14:15], s[12:13], 0
	s_and_b64 vcc, exec, s[14:15]
	s_cbranch_vccz .LBB116_5
; %bb.3:
	v_mov_b32_e32 v0, 0
	v_mov_b32_e32 v1, 0x3ff00000
	global_store_dwordx2 v0, v[0:1], s[10:11]
	v_mov_b32_e32 v1, v0
	s_mov_b64 s[16:17], 0
	s_and_b64 vcc, exec, s[6:7]
	global_store_dwordx2 v0, v[0:1], s[4:5]
	s_cbranch_vccz .LBB116_6
; %bb.4:
	global_load_dwordx2 v[0:1], v0, s[2:3]
	s_mov_b64 s[14:15], -1
	s_and_b64 vcc, exec, s[16:17]
	s_cbranch_vccnz .LBB116_7
	s_branch .LBB116_8
.LBB116_5:
	s_mov_b64 s[16:17], -1
.LBB116_6:
	s_mov_b64 s[14:15], 0
                                        ; implicit-def: $vgpr0_vgpr1
	s_and_b64 vcc, exec, s[16:17]
	s_cbranch_vccz .LBB116_8
.LBB116_7:
	s_load_dwordx2 s[14:15], s[2:3], 0x0
	s_waitcnt vmcnt(0)
	v_pk_mov_b32 v[0:1], s[12:13], s[12:13] op_sel:[0,1]
	s_mov_b32 s12, 0
	s_brev_b32 s13, 8
	v_mov_b32_e32 v12, 0
	s_waitcnt lgkmcnt(0)
	v_fmac_f64_e64 v[0:1], s[14:15], s[14:15]
	v_cmp_gt_f64_e32 vcc, s[12:13], v[0:1]
	v_cndmask_b32_e64 v2, 0, 1, vcc
	v_lshlrev_b32_e32 v2, 8, v2
	v_ldexp_f64 v[0:1], v[0:1], v2
	v_rsq_f64_e32 v[2:3], v[0:1]
	s_and_b64 s[12:13], vcc, exec
	s_cselect_b32 s12, 0xffffff80, 0
	s_mov_b64 s[24:25], s[8:9]
	v_mul_f64 v[4:5], v[0:1], v[2:3]
	v_mul_f64 v[2:3], v[2:3], 0.5
	v_fma_f64 v[6:7], -v[2:3], v[4:5], 0.5
	v_fmac_f64_e32 v[4:5], v[4:5], v[6:7]
	v_fmac_f64_e32 v[2:3], v[2:3], v[6:7]
	v_fma_f64 v[6:7], -v[4:5], v[4:5], v[0:1]
	v_fmac_f64_e32 v[4:5], v[6:7], v[2:3]
	v_fma_f64 v[6:7], -v[4:5], v[4:5], v[0:1]
	v_fmac_f64_e32 v[4:5], v[6:7], v[2:3]
	v_ldexp_f64 v[2:3], v[4:5], s12
	v_mov_b32_e32 v4, 0x260
	v_cmp_class_f64_e32 vcc, v[0:1], v4
	v_cndmask_b32_e32 v1, v3, v1, vcc
	v_cndmask_b32_e32 v0, v2, v0, vcc
	v_xor_b32_e32 v2, 0x80000000, v1
	v_cmp_ge_f64_e64 vcc, s[14:15], 0
	v_cndmask_b32_e32 v1, v1, v2, vcc
	v_add_f64 v[2:3], s[14:15], -v[0:1]
	v_div_scale_f64 v[4:5], s[12:13], v[2:3], v[2:3], 1.0
	v_rcp_f64_e32 v[6:7], v[4:5]
	s_mov_b64 s[14:15], s[6:7]
	v_fma_f64 v[8:9], -v[4:5], v[6:7], 1.0
	v_fmac_f64_e32 v[6:7], v[6:7], v[8:9]
	v_fma_f64 v[8:9], -v[4:5], v[6:7], 1.0
	v_fmac_f64_e32 v[6:7], v[6:7], v[8:9]
	v_div_scale_f64 v[8:9], vcc, 1.0, v[2:3], 1.0
	v_mul_f64 v[10:11], v[8:9], v[6:7]
	v_fma_f64 v[4:5], -v[4:5], v[10:11], v[8:9]
	s_nop 1
	v_div_fmas_f64 v[4:5], v[4:5], v[6:7], v[10:11]
	v_div_fixup_f64 v[2:3], v[4:5], v[2:3], 1.0
	global_store_dwordx2 v12, v[2:3], s[10:11]
	global_load_dwordx2 v[2:3], v12, s[2:3]
	s_waitcnt vmcnt(0)
	v_add_f64 v[2:3], v[0:1], -v[2:3]
	v_div_scale_f64 v[4:5], s[10:11], v[0:1], v[0:1], v[2:3]
	v_rcp_f64_e32 v[6:7], v[4:5]
	v_div_scale_f64 v[8:9], vcc, v[2:3], v[0:1], v[2:3]
	v_fma_f64 v[10:11], -v[4:5], v[6:7], 1.0
	v_fmac_f64_e32 v[6:7], v[6:7], v[10:11]
	v_fma_f64 v[10:11], -v[4:5], v[6:7], 1.0
	v_fmac_f64_e32 v[6:7], v[6:7], v[10:11]
	v_mul_f64 v[10:11], v[8:9], v[6:7]
	v_fma_f64 v[4:5], -v[4:5], v[10:11], v[8:9]
	v_div_fmas_f64 v[4:5], v[4:5], v[6:7], v[10:11]
	v_div_fixup_f64 v[2:3], v[4:5], v[0:1], v[2:3]
	global_store_dwordx2 v12, v[2:3], s[4:5]
.LBB116_8:
	s_andn2_b64 vcc, exec, s[14:15]
	s_cbranch_vccz .LBB116_11
; %bb.9:
	s_andn2_b64 vcc, exec, s[24:25]
	s_cbranch_vccz .LBB116_12
; %bb.10:
	s_endpgm
.LBB116_11:
	v_pk_mov_b32 v[2:3], s[0:1], s[0:1] op_sel:[0,1]
	s_waitcnt vmcnt(0)
	flat_store_dwordx2 v[2:3], v[0:1]
	v_mov_b32_e32 v0, 0
	v_mov_b32_e32 v1, 0x3ff00000
.LBB116_12:
	v_mov_b32_e32 v2, 0
	s_waitcnt vmcnt(0) lgkmcnt(0)
	global_store_dwordx2 v2, v[0:1], s[2:3]
	s_endpgm
	.section	.rodata,"a",@progbits
	.p2align	6, 0x0
	.amdhsa_kernel _ZN9rocsolver6v33100L11set_taubetaIdidPdEEvPT_lS4_T2_llPT1_ll
		.amdhsa_group_segment_fixed_size 0
		.amdhsa_private_segment_fixed_size 0
		.amdhsa_kernarg_size 72
		.amdhsa_user_sgpr_count 6
		.amdhsa_user_sgpr_private_segment_buffer 1
		.amdhsa_user_sgpr_dispatch_ptr 0
		.amdhsa_user_sgpr_queue_ptr 0
		.amdhsa_user_sgpr_kernarg_segment_ptr 1
		.amdhsa_user_sgpr_dispatch_id 0
		.amdhsa_user_sgpr_flat_scratch_init 0
		.amdhsa_user_sgpr_kernarg_preload_length 0
		.amdhsa_user_sgpr_kernarg_preload_offset 0
		.amdhsa_user_sgpr_private_segment_size 0
		.amdhsa_uses_dynamic_stack 0
		.amdhsa_system_sgpr_private_segment_wavefront_offset 0
		.amdhsa_system_sgpr_workgroup_id_x 1
		.amdhsa_system_sgpr_workgroup_id_y 0
		.amdhsa_system_sgpr_workgroup_id_z 0
		.amdhsa_system_sgpr_workgroup_info 0
		.amdhsa_system_vgpr_workitem_id 0
		.amdhsa_next_free_vgpr 13
		.amdhsa_next_free_sgpr 26
		.amdhsa_accum_offset 16
		.amdhsa_reserve_vcc 1
		.amdhsa_reserve_flat_scratch 0
		.amdhsa_float_round_mode_32 0
		.amdhsa_float_round_mode_16_64 0
		.amdhsa_float_denorm_mode_32 3
		.amdhsa_float_denorm_mode_16_64 3
		.amdhsa_dx10_clamp 1
		.amdhsa_ieee_mode 1
		.amdhsa_fp16_overflow 0
		.amdhsa_tg_split 0
		.amdhsa_exception_fp_ieee_invalid_op 0
		.amdhsa_exception_fp_denorm_src 0
		.amdhsa_exception_fp_ieee_div_zero 0
		.amdhsa_exception_fp_ieee_overflow 0
		.amdhsa_exception_fp_ieee_underflow 0
		.amdhsa_exception_fp_ieee_inexact 0
		.amdhsa_exception_int_div_zero 0
	.end_amdhsa_kernel
	.section	.text._ZN9rocsolver6v33100L11set_taubetaIdidPdEEvPT_lS4_T2_llPT1_ll,"axG",@progbits,_ZN9rocsolver6v33100L11set_taubetaIdidPdEEvPT_lS4_T2_llPT1_ll,comdat
.Lfunc_end116:
	.size	_ZN9rocsolver6v33100L11set_taubetaIdidPdEEvPT_lS4_T2_llPT1_ll, .Lfunc_end116-_ZN9rocsolver6v33100L11set_taubetaIdidPdEEvPT_lS4_T2_llPT1_ll
                                        ; -- End function
	.section	.AMDGPU.csdata,"",@progbits
; Kernel info:
; codeLenInByte = 784
; NumSgprs: 30
; NumVgprs: 13
; NumAgprs: 0
; TotalNumVgprs: 13
; ScratchSize: 0
; MemoryBound: 0
; FloatMode: 240
; IeeeMode: 1
; LDSByteSize: 0 bytes/workgroup (compile time only)
; SGPRBlocks: 3
; VGPRBlocks: 1
; NumSGPRsForWavesPerEU: 30
; NumVGPRsForWavesPerEU: 13
; AccumOffset: 16
; Occupancy: 8
; WaveLimiterHint : 0
; COMPUTE_PGM_RSRC2:SCRATCH_EN: 0
; COMPUTE_PGM_RSRC2:USER_SGPR: 6
; COMPUTE_PGM_RSRC2:TRAP_HANDLER: 0
; COMPUTE_PGM_RSRC2:TGID_X_EN: 1
; COMPUTE_PGM_RSRC2:TGID_Y_EN: 0
; COMPUTE_PGM_RSRC2:TGID_Z_EN: 0
; COMPUTE_PGM_RSRC2:TIDIG_COMP_CNT: 0
; COMPUTE_PGM_RSRC3_GFX90A:ACCUM_OFFSET: 3
; COMPUTE_PGM_RSRC3_GFX90A:TG_SPLIT: 0
	.section	.text._ZN9rocsolver6v33100L8set_diagIdidPdTnNSt9enable_ifIXoont18rocblas_is_complexIT_E18rocblas_is_complexIT1_EEiE4typeELi0EEEvPS5_llT2_lT0_lSA_b,"axG",@progbits,_ZN9rocsolver6v33100L8set_diagIdidPdTnNSt9enable_ifIXoont18rocblas_is_complexIT_E18rocblas_is_complexIT1_EEiE4typeELi0EEEvPS5_llT2_lT0_lSA_b,comdat
	.globl	_ZN9rocsolver6v33100L8set_diagIdidPdTnNSt9enable_ifIXoont18rocblas_is_complexIT_E18rocblas_is_complexIT1_EEiE4typeELi0EEEvPS5_llT2_lT0_lSA_b ; -- Begin function _ZN9rocsolver6v33100L8set_diagIdidPdTnNSt9enable_ifIXoont18rocblas_is_complexIT_E18rocblas_is_complexIT1_EEiE4typeELi0EEEvPS5_llT2_lT0_lSA_b
	.p2align	8
	.type	_ZN9rocsolver6v33100L8set_diagIdidPdTnNSt9enable_ifIXoont18rocblas_is_complexIT_E18rocblas_is_complexIT1_EEiE4typeELi0EEEvPS5_llT2_lT0_lSA_b,@function
_ZN9rocsolver6v33100L8set_diagIdidPdTnNSt9enable_ifIXoont18rocblas_is_complexIT_E18rocblas_is_complexIT1_EEiE4typeELi0EEEvPS5_llT2_lT0_lSA_b: ; @_ZN9rocsolver6v33100L8set_diagIdidPdTnNSt9enable_ifIXoont18rocblas_is_complexIT_E18rocblas_is_complexIT1_EEiE4typeELi0EEEvPS5_llT2_lT0_lSA_b
; %bb.0:
	s_load_dword s2, s[4:5], 0x4c
	s_load_dwordx2 s[0:1], s[4:5], 0x38
	v_bfe_u32 v0, v0, 10, 10
	s_waitcnt lgkmcnt(0)
	s_lshr_b32 s2, s2, 16
	s_mul_i32 s7, s7, s2
	v_add_u32_e32 v0, s7, v0
	v_cmp_gt_i32_e32 vcc, s0, v0
	s_and_saveexec_b64 s[2:3], vcc
	s_cbranch_execz .LBB117_2
; %bb.1:
	s_load_dwordx8 s[8:15], s[4:5], 0x0
	s_load_dwordx2 s[2:3], s[4:5], 0x20
	s_load_dword s7, s[4:5], 0x28
	s_load_dwordx2 s[16:17], s[4:5], 0x30
	s_bitcmp1_b32 s1, 0
	s_cselect_b64 vcc, -1, 0
	s_ashr_i32 s4, s6, 31
	v_mov_b32_e32 v6, 0x3ff00000
	s_waitcnt lgkmcnt(0)
	s_mul_i32 s0, s6, s17
	s_mul_hi_u32 s1, s6, s16
	s_add_i32 s0, s1, s0
	s_mul_i32 s1, s4, s16
	s_add_i32 s1, s0, s1
	s_mul_i32 s0, s6, s16
	s_lshl_b64 s[0:1], s[0:1], 3
	s_add_u32 s5, s14, s0
	s_addc_u32 s14, s15, s1
	s_lshl_b64 s[0:1], s[2:3], 3
	s_add_u32 s2, s5, s0
	s_addc_u32 s3, s14, s1
	v_mad_u64_u32 v[2:3], s[0:1], v0, s7, v[0:1]
	v_ashrrev_i32_e32 v3, 31, v2
	v_lshlrev_b64 v[2:3], 3, v[2:3]
	v_mov_b32_e32 v1, s3
	v_add_co_u32_e64 v2, s[0:1], s2, v2
	v_addc_co_u32_e64 v3, s[0:1], v1, v3, s[0:1]
	global_load_dwordx2 v[4:5], v[2:3], off
	s_mul_i32 s1, s6, s13
	s_mul_hi_u32 s2, s6, s12
	s_mul_i32 s4, s4, s12
	s_add_i32 s1, s2, s1
	s_mul_i32 s0, s6, s12
	s_add_i32 s1, s1, s4
	s_lshl_b64 s[0:1], s[0:1], 3
	s_add_u32 s2, s8, s0
	s_addc_u32 s3, s9, s1
	s_lshl_b64 s[0:1], s[10:11], 3
	v_ashrrev_i32_e32 v1, 31, v0
	s_add_u32 s0, s2, s0
	v_lshlrev_b64 v[0:1], 3, v[0:1]
	s_addc_u32 s1, s3, s1
	v_mov_b32_e32 v7, s1
	v_add_co_u32_e64 v0, s[0:1], s0, v0
	v_addc_co_u32_e64 v1, s[0:1], v7, v1, s[0:1]
	s_waitcnt vmcnt(0)
	global_store_dwordx2 v[0:1], v[4:5], off
	v_cndmask_b32_e32 v1, v5, v6, vcc
	v_cndmask_b32_e64 v0, v4, 0, vcc
	global_store_dwordx2 v[2:3], v[0:1], off
.LBB117_2:
	s_endpgm
	.section	.rodata,"a",@progbits
	.p2align	6, 0x0
	.amdhsa_kernel _ZN9rocsolver6v33100L8set_diagIdidPdTnNSt9enable_ifIXoont18rocblas_is_complexIT_E18rocblas_is_complexIT1_EEiE4typeELi0EEEvPS5_llT2_lT0_lSA_b
		.amdhsa_group_segment_fixed_size 0
		.amdhsa_private_segment_fixed_size 0
		.amdhsa_kernarg_size 320
		.amdhsa_user_sgpr_count 6
		.amdhsa_user_sgpr_private_segment_buffer 1
		.amdhsa_user_sgpr_dispatch_ptr 0
		.amdhsa_user_sgpr_queue_ptr 0
		.amdhsa_user_sgpr_kernarg_segment_ptr 1
		.amdhsa_user_sgpr_dispatch_id 0
		.amdhsa_user_sgpr_flat_scratch_init 0
		.amdhsa_user_sgpr_kernarg_preload_length 0
		.amdhsa_user_sgpr_kernarg_preload_offset 0
		.amdhsa_user_sgpr_private_segment_size 0
		.amdhsa_uses_dynamic_stack 0
		.amdhsa_system_sgpr_private_segment_wavefront_offset 0
		.amdhsa_system_sgpr_workgroup_id_x 1
		.amdhsa_system_sgpr_workgroup_id_y 1
		.amdhsa_system_sgpr_workgroup_id_z 0
		.amdhsa_system_sgpr_workgroup_info 0
		.amdhsa_system_vgpr_workitem_id 1
		.amdhsa_next_free_vgpr 8
		.amdhsa_next_free_sgpr 18
		.amdhsa_accum_offset 8
		.amdhsa_reserve_vcc 1
		.amdhsa_reserve_flat_scratch 0
		.amdhsa_float_round_mode_32 0
		.amdhsa_float_round_mode_16_64 0
		.amdhsa_float_denorm_mode_32 3
		.amdhsa_float_denorm_mode_16_64 3
		.amdhsa_dx10_clamp 1
		.amdhsa_ieee_mode 1
		.amdhsa_fp16_overflow 0
		.amdhsa_tg_split 0
		.amdhsa_exception_fp_ieee_invalid_op 0
		.amdhsa_exception_fp_denorm_src 0
		.amdhsa_exception_fp_ieee_div_zero 0
		.amdhsa_exception_fp_ieee_overflow 0
		.amdhsa_exception_fp_ieee_underflow 0
		.amdhsa_exception_fp_ieee_inexact 0
		.amdhsa_exception_int_div_zero 0
	.end_amdhsa_kernel
	.section	.text._ZN9rocsolver6v33100L8set_diagIdidPdTnNSt9enable_ifIXoont18rocblas_is_complexIT_E18rocblas_is_complexIT1_EEiE4typeELi0EEEvPS5_llT2_lT0_lSA_b,"axG",@progbits,_ZN9rocsolver6v33100L8set_diagIdidPdTnNSt9enable_ifIXoont18rocblas_is_complexIT_E18rocblas_is_complexIT1_EEiE4typeELi0EEEvPS5_llT2_lT0_lSA_b,comdat
.Lfunc_end117:
	.size	_ZN9rocsolver6v33100L8set_diagIdidPdTnNSt9enable_ifIXoont18rocblas_is_complexIT_E18rocblas_is_complexIT1_EEiE4typeELi0EEEvPS5_llT2_lT0_lSA_b, .Lfunc_end117-_ZN9rocsolver6v33100L8set_diagIdidPdTnNSt9enable_ifIXoont18rocblas_is_complexIT_E18rocblas_is_complexIT1_EEiE4typeELi0EEEvPS5_llT2_lT0_lSA_b
                                        ; -- End function
	.section	.AMDGPU.csdata,"",@progbits
; Kernel info:
; codeLenInByte = 320
; NumSgprs: 22
; NumVgprs: 8
; NumAgprs: 0
; TotalNumVgprs: 8
; ScratchSize: 0
; MemoryBound: 0
; FloatMode: 240
; IeeeMode: 1
; LDSByteSize: 0 bytes/workgroup (compile time only)
; SGPRBlocks: 2
; VGPRBlocks: 0
; NumSGPRsForWavesPerEU: 22
; NumVGPRsForWavesPerEU: 8
; AccumOffset: 8
; Occupancy: 8
; WaveLimiterHint : 0
; COMPUTE_PGM_RSRC2:SCRATCH_EN: 0
; COMPUTE_PGM_RSRC2:USER_SGPR: 6
; COMPUTE_PGM_RSRC2:TRAP_HANDLER: 0
; COMPUTE_PGM_RSRC2:TGID_X_EN: 1
; COMPUTE_PGM_RSRC2:TGID_Y_EN: 1
; COMPUTE_PGM_RSRC2:TGID_Z_EN: 0
; COMPUTE_PGM_RSRC2:TIDIG_COMP_CNT: 1
; COMPUTE_PGM_RSRC3_GFX90A:ACCUM_OFFSET: 1
; COMPUTE_PGM_RSRC3_GFX90A:TG_SPLIT: 0
	.section	.text._ZN9rocsolver6v33100L12restore_diagIdidPdEEvPT1_llT2_lT0_lS6_,"axG",@progbits,_ZN9rocsolver6v33100L12restore_diagIdidPdEEvPT1_llT2_lT0_lS6_,comdat
	.globl	_ZN9rocsolver6v33100L12restore_diagIdidPdEEvPT1_llT2_lT0_lS6_ ; -- Begin function _ZN9rocsolver6v33100L12restore_diagIdidPdEEvPT1_llT2_lT0_lS6_
	.p2align	8
	.type	_ZN9rocsolver6v33100L12restore_diagIdidPdEEvPT1_llT2_lT0_lS6_,@function
_ZN9rocsolver6v33100L12restore_diagIdidPdEEvPT1_llT2_lT0_lS6_: ; @_ZN9rocsolver6v33100L12restore_diagIdidPdEEvPT1_llT2_lT0_lS6_
; %bb.0:
	s_load_dword s0, s[4:5], 0x4c
	s_load_dword s1, s[4:5], 0x38
	v_bfe_u32 v0, v0, 10, 10
	s_waitcnt lgkmcnt(0)
	s_lshr_b32 s0, s0, 16
	s_mul_i32 s7, s7, s0
	v_add_u32_e32 v0, s7, v0
	v_cmp_gt_i32_e32 vcc, s1, v0
	s_and_saveexec_b64 s[0:1], vcc
	s_cbranch_execz .LBB118_2
; %bb.1:
	s_load_dwordx2 s[0:1], s[4:5], 0x30
	s_load_dwordx2 s[2:3], s[4:5], 0x20
	s_load_dword s7, s[4:5], 0x28
	s_load_dwordx8 s[8:15], s[4:5], 0x0
	s_ashr_i32 s4, s6, 31
	s_waitcnt lgkmcnt(0)
	s_mul_i32 s1, s6, s1
	s_mul_hi_u32 s5, s6, s0
	s_add_i32 s1, s5, s1
	s_mul_i32 s5, s4, s0
	s_add_i32 s1, s1, s5
	s_mul_i32 s0, s6, s0
	s_lshl_b64 s[0:1], s[0:1], 3
	s_add_u32 s5, s14, s0
	s_addc_u32 s14, s15, s1
	s_lshl_b64 s[0:1], s[2:3], 3
	s_add_u32 s2, s5, s0
	s_addc_u32 s3, s14, s1
	s_mul_i32 s0, s6, s13
	s_mul_hi_u32 s1, s6, s12
	s_add_i32 s0, s1, s0
	s_mul_i32 s4, s4, s12
	s_add_i32 s1, s0, s4
	s_mul_i32 s0, s6, s12
	s_lshl_b64 s[0:1], s[0:1], 3
	s_add_u32 s4, s8, s0
	s_addc_u32 s5, s9, s1
	s_lshl_b64 s[0:1], s[10:11], 3
	s_add_u32 s4, s4, s0
	s_addc_u32 s5, s5, s1
	v_mad_u64_u32 v[2:3], s[0:1], v0, s7, v[0:1]
	v_ashrrev_i32_e32 v1, 31, v0
	v_lshlrev_b64 v[0:1], 3, v[0:1]
	v_mov_b32_e32 v3, s5
	v_add_co_u32_e32 v0, vcc, s4, v0
	v_addc_co_u32_e32 v1, vcc, v3, v1, vcc
	global_load_dwordx2 v[0:1], v[0:1], off
	v_ashrrev_i32_e32 v3, 31, v2
	v_lshlrev_b64 v[2:3], 3, v[2:3]
	v_mov_b32_e32 v4, s3
	v_add_co_u32_e32 v2, vcc, s2, v2
	v_addc_co_u32_e32 v3, vcc, v4, v3, vcc
	s_waitcnt vmcnt(0)
	global_store_dwordx2 v[2:3], v[0:1], off
.LBB118_2:
	s_endpgm
	.section	.rodata,"a",@progbits
	.p2align	6, 0x0
	.amdhsa_kernel _ZN9rocsolver6v33100L12restore_diagIdidPdEEvPT1_llT2_lT0_lS6_
		.amdhsa_group_segment_fixed_size 0
		.amdhsa_private_segment_fixed_size 0
		.amdhsa_kernarg_size 320
		.amdhsa_user_sgpr_count 6
		.amdhsa_user_sgpr_private_segment_buffer 1
		.amdhsa_user_sgpr_dispatch_ptr 0
		.amdhsa_user_sgpr_queue_ptr 0
		.amdhsa_user_sgpr_kernarg_segment_ptr 1
		.amdhsa_user_sgpr_dispatch_id 0
		.amdhsa_user_sgpr_flat_scratch_init 0
		.amdhsa_user_sgpr_kernarg_preload_length 0
		.amdhsa_user_sgpr_kernarg_preload_offset 0
		.amdhsa_user_sgpr_private_segment_size 0
		.amdhsa_uses_dynamic_stack 0
		.amdhsa_system_sgpr_private_segment_wavefront_offset 0
		.amdhsa_system_sgpr_workgroup_id_x 1
		.amdhsa_system_sgpr_workgroup_id_y 1
		.amdhsa_system_sgpr_workgroup_id_z 0
		.amdhsa_system_sgpr_workgroup_info 0
		.amdhsa_system_vgpr_workitem_id 1
		.amdhsa_next_free_vgpr 5
		.amdhsa_next_free_sgpr 16
		.amdhsa_accum_offset 8
		.amdhsa_reserve_vcc 1
		.amdhsa_reserve_flat_scratch 0
		.amdhsa_float_round_mode_32 0
		.amdhsa_float_round_mode_16_64 0
		.amdhsa_float_denorm_mode_32 3
		.amdhsa_float_denorm_mode_16_64 3
		.amdhsa_dx10_clamp 1
		.amdhsa_ieee_mode 1
		.amdhsa_fp16_overflow 0
		.amdhsa_tg_split 0
		.amdhsa_exception_fp_ieee_invalid_op 0
		.amdhsa_exception_fp_denorm_src 0
		.amdhsa_exception_fp_ieee_div_zero 0
		.amdhsa_exception_fp_ieee_overflow 0
		.amdhsa_exception_fp_ieee_underflow 0
		.amdhsa_exception_fp_ieee_inexact 0
		.amdhsa_exception_int_div_zero 0
	.end_amdhsa_kernel
	.section	.text._ZN9rocsolver6v33100L12restore_diagIdidPdEEvPT1_llT2_lT0_lS6_,"axG",@progbits,_ZN9rocsolver6v33100L12restore_diagIdidPdEEvPT1_llT2_lT0_lS6_,comdat
.Lfunc_end118:
	.size	_ZN9rocsolver6v33100L12restore_diagIdidPdEEvPT1_llT2_lT0_lS6_, .Lfunc_end118-_ZN9rocsolver6v33100L12restore_diagIdidPdEEvPT1_llT2_lT0_lS6_
                                        ; -- End function
	.section	.AMDGPU.csdata,"",@progbits
; Kernel info:
; codeLenInByte = 268
; NumSgprs: 20
; NumVgprs: 5
; NumAgprs: 0
; TotalNumVgprs: 5
; ScratchSize: 0
; MemoryBound: 0
; FloatMode: 240
; IeeeMode: 1
; LDSByteSize: 0 bytes/workgroup (compile time only)
; SGPRBlocks: 2
; VGPRBlocks: 0
; NumSGPRsForWavesPerEU: 20
; NumVGPRsForWavesPerEU: 5
; AccumOffset: 8
; Occupancy: 8
; WaveLimiterHint : 0
; COMPUTE_PGM_RSRC2:SCRATCH_EN: 0
; COMPUTE_PGM_RSRC2:USER_SGPR: 6
; COMPUTE_PGM_RSRC2:TRAP_HANDLER: 0
; COMPUTE_PGM_RSRC2:TGID_X_EN: 1
; COMPUTE_PGM_RSRC2:TGID_Y_EN: 1
; COMPUTE_PGM_RSRC2:TGID_Z_EN: 0
; COMPUTE_PGM_RSRC2:TIDIG_COMP_CNT: 1
; COMPUTE_PGM_RSRC3_GFX90A:ACCUM_OFFSET: 1
; COMPUTE_PGM_RSRC3_GFX90A:TG_SPLIT: 0
	.section	.text._ZN9rocsolver6v33100L8copy_matIdPdS2_NS0_7no_maskEEEviiT0_iilT1_iilT2_13rocblas_fill_17rocblas_diagonal_,"axG",@progbits,_ZN9rocsolver6v33100L8copy_matIdPdS2_NS0_7no_maskEEEviiT0_iilT1_iilT2_13rocblas_fill_17rocblas_diagonal_,comdat
	.globl	_ZN9rocsolver6v33100L8copy_matIdPdS2_NS0_7no_maskEEEviiT0_iilT1_iilT2_13rocblas_fill_17rocblas_diagonal_ ; -- Begin function _ZN9rocsolver6v33100L8copy_matIdPdS2_NS0_7no_maskEEEviiT0_iilT1_iilT2_13rocblas_fill_17rocblas_diagonal_
	.p2align	8
	.type	_ZN9rocsolver6v33100L8copy_matIdPdS2_NS0_7no_maskEEEviiT0_iilT1_iilT2_13rocblas_fill_17rocblas_diagonal_,@function
_ZN9rocsolver6v33100L8copy_matIdPdS2_NS0_7no_maskEEEviiT0_iilT1_iilT2_13rocblas_fill_17rocblas_diagonal_: ; @_ZN9rocsolver6v33100L8copy_matIdPdS2_NS0_7no_maskEEEviiT0_iilT1_iilT2_13rocblas_fill_17rocblas_diagonal_
; %bb.0:
	s_load_dword s2, s[4:5], 0x54
	s_load_dwordx2 s[0:1], s[4:5], 0x0
	v_bfe_u32 v1, v0, 10, 10
	v_and_b32_e32 v0, 0x3ff, v0
	s_waitcnt lgkmcnt(0)
	s_lshr_b32 s3, s2, 16
	s_and_b32 s2, s2, 0xffff
	s_mul_i32 s7, s7, s3
	s_mul_i32 s6, s6, s2
	v_add_u32_e32 v1, s7, v1
	v_add_u32_e32 v0, s6, v0
	v_cmp_gt_u32_e32 vcc, s0, v0
	v_cmp_gt_u32_e64 s[0:1], s1, v1
	s_and_b64 s[0:1], s[0:1], vcc
	s_and_saveexec_b64 s[2:3], s[0:1]
	s_cbranch_execz .LBB119_14
; %bb.1:
	s_load_dwordx2 s[2:3], s[4:5], 0x3c
	s_waitcnt lgkmcnt(0)
	s_cmpk_lt_i32 s2, 0x7a
	s_cbranch_scc1 .LBB119_4
; %bb.2:
	s_cmpk_gt_i32 s2, 0x7a
	s_cbranch_scc0 .LBB119_5
; %bb.3:
	s_cmpk_lg_i32 s2, 0x7b
	s_mov_b64 s[6:7], -1
	s_cselect_b64 s[10:11], -1, 0
	s_cbranch_execz .LBB119_6
	s_branch .LBB119_7
.LBB119_4:
	s_mov_b64 s[10:11], 0
	s_mov_b64 s[6:7], 0
	s_cbranch_execnz .LBB119_8
	s_branch .LBB119_10
.LBB119_5:
	s_mov_b64 s[6:7], 0
	s_mov_b64 s[10:11], 0
.LBB119_6:
	v_cmp_gt_u32_e32 vcc, v0, v1
	v_cmp_le_u32_e64 s[0:1], v0, v1
	s_andn2_b64 s[6:7], s[6:7], exec
	s_and_b64 s[12:13], vcc, exec
	s_andn2_b64 s[10:11], s[10:11], exec
	s_and_b64 s[0:1], s[0:1], exec
	s_or_b64 s[6:7], s[6:7], s[12:13]
	s_or_b64 s[10:11], s[10:11], s[0:1]
.LBB119_7:
	s_branch .LBB119_10
.LBB119_8:
	s_cmpk_eq_i32 s2, 0x79
	s_mov_b64 s[10:11], -1
	s_cbranch_scc0 .LBB119_10
; %bb.9:
	v_cmp_gt_u32_e32 vcc, v1, v0
	v_cmp_le_u32_e64 s[0:1], v1, v0
	s_andn2_b64 s[6:7], s[6:7], exec
	s_and_b64 s[10:11], vcc, exec
	s_or_b64 s[6:7], s[6:7], s[10:11]
	s_orn2_b64 s[10:11], s[0:1], exec
.LBB119_10:
	s_and_saveexec_b64 s[0:1], s[10:11]
; %bb.11:
	s_cmpk_eq_i32 s3, 0x83
	s_cselect_b64 s[2:3], -1, 0
	v_cmp_eq_u32_e32 vcc, v0, v1
	s_and_b64 s[2:3], s[2:3], vcc
	s_andn2_b64 s[6:7], s[6:7], exec
	s_and_b64 s[2:3], s[2:3], exec
	s_or_b64 s[6:7], s[6:7], s[2:3]
; %bb.12:
	s_or_b64 exec, exec, s[0:1]
	s_and_b64 exec, exec, s[6:7]
	s_cbranch_execz .LBB119_14
; %bb.13:
	s_load_dwordx8 s[12:19], s[4:5], 0x8
	s_waitcnt lgkmcnt(0)
	s_mul_i32 s3, s8, s17
	s_mul_hi_u32 s6, s8, s16
	s_mul_i32 s2, s8, s16
	s_add_i32 s3, s6, s3
	s_ashr_i32 s1, s14, 31
	s_lshl_b64 s[2:3], s[2:3], 3
	s_mov_b32 s0, s14
	s_add_u32 s2, s12, s2
	s_addc_u32 s3, s13, s3
	s_lshl_b64 s[0:1], s[0:1], 3
	s_add_u32 s2, s2, s0
	s_addc_u32 s3, s3, s1
	v_mad_u64_u32 v[2:3], s[0:1], v1, s15, v[0:1]
	v_mov_b32_e32 v3, 0
	v_lshlrev_b64 v[4:5], 3, v[2:3]
	v_mov_b32_e32 v2, s3
	v_add_co_u32_e32 v4, vcc, s2, v4
	v_addc_co_u32_e32 v5, vcc, v2, v5, vcc
	global_load_dwordx2 v[4:5], v[4:5], off
	s_load_dwordx4 s[0:3], s[4:5], 0x28
	s_waitcnt lgkmcnt(0)
	s_ashr_i32 s5, s0, 31
	s_mov_b32 s4, s0
	s_mul_i32 s0, s8, s3
	s_mul_hi_u32 s3, s8, s2
	s_add_i32 s3, s3, s0
	s_mul_i32 s2, s8, s2
	s_lshl_b64 s[2:3], s[2:3], 3
	s_add_u32 s0, s18, s2
	s_addc_u32 s6, s19, s3
	s_lshl_b64 s[2:3], s[4:5], 3
	s_add_u32 s2, s0, s2
	v_mad_u64_u32 v[0:1], s[0:1], v1, s1, v[0:1]
	v_mov_b32_e32 v1, v3
	s_addc_u32 s3, s6, s3
	v_lshlrev_b64 v[0:1], 3, v[0:1]
	v_mov_b32_e32 v2, s3
	v_add_co_u32_e32 v0, vcc, s2, v0
	v_addc_co_u32_e32 v1, vcc, v2, v1, vcc
	s_waitcnt vmcnt(0)
	global_store_dwordx2 v[0:1], v[4:5], off
.LBB119_14:
	s_endpgm
	.section	.rodata,"a",@progbits
	.p2align	6, 0x0
	.amdhsa_kernel _ZN9rocsolver6v33100L8copy_matIdPdS2_NS0_7no_maskEEEviiT0_iilT1_iilT2_13rocblas_fill_17rocblas_diagonal_
		.amdhsa_group_segment_fixed_size 0
		.amdhsa_private_segment_fixed_size 0
		.amdhsa_kernarg_size 328
		.amdhsa_user_sgpr_count 6
		.amdhsa_user_sgpr_private_segment_buffer 1
		.amdhsa_user_sgpr_dispatch_ptr 0
		.amdhsa_user_sgpr_queue_ptr 0
		.amdhsa_user_sgpr_kernarg_segment_ptr 1
		.amdhsa_user_sgpr_dispatch_id 0
		.amdhsa_user_sgpr_flat_scratch_init 0
		.amdhsa_user_sgpr_kernarg_preload_length 0
		.amdhsa_user_sgpr_kernarg_preload_offset 0
		.amdhsa_user_sgpr_private_segment_size 0
		.amdhsa_uses_dynamic_stack 0
		.amdhsa_system_sgpr_private_segment_wavefront_offset 0
		.amdhsa_system_sgpr_workgroup_id_x 1
		.amdhsa_system_sgpr_workgroup_id_y 1
		.amdhsa_system_sgpr_workgroup_id_z 1
		.amdhsa_system_sgpr_workgroup_info 0
		.amdhsa_system_vgpr_workitem_id 1
		.amdhsa_next_free_vgpr 6
		.amdhsa_next_free_sgpr 20
		.amdhsa_accum_offset 8
		.amdhsa_reserve_vcc 1
		.amdhsa_reserve_flat_scratch 0
		.amdhsa_float_round_mode_32 0
		.amdhsa_float_round_mode_16_64 0
		.amdhsa_float_denorm_mode_32 3
		.amdhsa_float_denorm_mode_16_64 3
		.amdhsa_dx10_clamp 1
		.amdhsa_ieee_mode 1
		.amdhsa_fp16_overflow 0
		.amdhsa_tg_split 0
		.amdhsa_exception_fp_ieee_invalid_op 0
		.amdhsa_exception_fp_denorm_src 0
		.amdhsa_exception_fp_ieee_div_zero 0
		.amdhsa_exception_fp_ieee_overflow 0
		.amdhsa_exception_fp_ieee_underflow 0
		.amdhsa_exception_fp_ieee_inexact 0
		.amdhsa_exception_int_div_zero 0
	.end_amdhsa_kernel
	.section	.text._ZN9rocsolver6v33100L8copy_matIdPdS2_NS0_7no_maskEEEviiT0_iilT1_iilT2_13rocblas_fill_17rocblas_diagonal_,"axG",@progbits,_ZN9rocsolver6v33100L8copy_matIdPdS2_NS0_7no_maskEEEviiT0_iilT1_iilT2_13rocblas_fill_17rocblas_diagonal_,comdat
.Lfunc_end119:
	.size	_ZN9rocsolver6v33100L8copy_matIdPdS2_NS0_7no_maskEEEviiT0_iilT1_iilT2_13rocblas_fill_17rocblas_diagonal_, .Lfunc_end119-_ZN9rocsolver6v33100L8copy_matIdPdS2_NS0_7no_maskEEEviiT0_iilT1_iilT2_13rocblas_fill_17rocblas_diagonal_
                                        ; -- End function
	.section	.AMDGPU.csdata,"",@progbits
; Kernel info:
; codeLenInByte = 492
; NumSgprs: 24
; NumVgprs: 6
; NumAgprs: 0
; TotalNumVgprs: 6
; ScratchSize: 0
; MemoryBound: 0
; FloatMode: 240
; IeeeMode: 1
; LDSByteSize: 0 bytes/workgroup (compile time only)
; SGPRBlocks: 2
; VGPRBlocks: 0
; NumSGPRsForWavesPerEU: 24
; NumVGPRsForWavesPerEU: 6
; AccumOffset: 8
; Occupancy: 8
; WaveLimiterHint : 0
; COMPUTE_PGM_RSRC2:SCRATCH_EN: 0
; COMPUTE_PGM_RSRC2:USER_SGPR: 6
; COMPUTE_PGM_RSRC2:TRAP_HANDLER: 0
; COMPUTE_PGM_RSRC2:TGID_X_EN: 1
; COMPUTE_PGM_RSRC2:TGID_Y_EN: 1
; COMPUTE_PGM_RSRC2:TGID_Z_EN: 1
; COMPUTE_PGM_RSRC2:TIDIG_COMP_CNT: 1
; COMPUTE_PGM_RSRC3_GFX90A:ACCUM_OFFSET: 1
; COMPUTE_PGM_RSRC3_GFX90A:TG_SPLIT: 0
	.section	.text._ZN9rocsolver6v33100L15copyshift_rightIdPdEEvbiT0_iilPT_iil,"axG",@progbits,_ZN9rocsolver6v33100L15copyshift_rightIdPdEEvbiT0_iilPT_iil,comdat
	.globl	_ZN9rocsolver6v33100L15copyshift_rightIdPdEEvbiT0_iilPT_iil ; -- Begin function _ZN9rocsolver6v33100L15copyshift_rightIdPdEEvbiT0_iilPT_iil
	.p2align	8
	.type	_ZN9rocsolver6v33100L15copyshift_rightIdPdEEvbiT0_iilPT_iil,@function
_ZN9rocsolver6v33100L15copyshift_rightIdPdEEvbiT0_iilPT_iil: ; @_ZN9rocsolver6v33100L15copyshift_rightIdPdEEvbiT0_iilPT_iil
; %bb.0:
	s_load_dwordx4 s[12:15], s[4:5], 0x0
	s_load_dwordx4 s[0:3], s[4:5], 0x18
	s_load_dword s9, s[4:5], 0x44
	s_load_dwordx2 s[16:17], s[4:5], 0x10
	v_and_b32_e32 v1, 0x3ff, v0
	s_waitcnt lgkmcnt(0)
	s_bitcmp1_b32 s12, 0
	s_cselect_b64 s[10:11], -1, 0
	s_xor_b64 s[18:19], s[10:11], -1
	s_and_b32 s10, s9, 0xffff
	s_lshr_b32 s9, s9, 16
	s_mul_i32 s7, s7, s9
	s_mul_i32 s1, s8, s1
	s_mul_hi_u32 s9, s8, s0
	v_bfe_u32 v0, v0, 10, 10
	s_add_i32 s1, s9, s1
	s_mul_i32 s0, s8, s0
	s_mul_i32 s6, s6, s10
	v_add_u32_e32 v0, s7, v0
	s_ashr_i32 s7, s16, 31
	s_lshl_b64 s[0:1], s[0:1], 3
	v_add_u32_e32 v2, s6, v1
	s_mov_b32 s6, s16
	s_add_u32 s9, s14, s0
	s_addc_u32 s11, s15, s1
	s_lshl_b64 s[0:1], s[6:7], 3
	v_or_b32_e32 v1, v2, v0
	s_add_u32 s10, s9, s0
	v_cmp_eq_u32_e32 vcc, 0, v1
	s_addc_u32 s11, s11, s1
	s_and_b64 s[6:7], vcc, s[18:19]
	s_and_saveexec_b64 s[0:1], s[6:7]
	s_cbranch_execz .LBB120_2
; %bb.1:
	v_mov_b32_e32 v4, 0
	v_mov_b32_e32 v5, 0x3ff00000
	global_store_dwordx2 v4, v[4:5], s[10:11]
.LBB120_2:
	s_or_b64 exec, exec, s[0:1]
	v_max_u32_e32 v1, v0, v2
	v_cmp_gt_u32_e32 vcc, s13, v1
	v_cmp_le_u32_e64 s[0:1], v0, v2
	s_and_b64 s[0:1], s[0:1], vcc
	s_and_saveexec_b64 s[6:7], s[0:1]
	s_cbranch_execz .LBB120_13
; %bb.3:
	s_load_dwordx4 s[4:7], s[4:5], 0x28
	s_waitcnt lgkmcnt(0)
	s_ashr_i32 s1, s4, 31
	s_mov_b32 s0, s4
	s_mul_i32 s4, s8, s7
	s_mul_hi_u32 s7, s8, s6
	s_mul_i32 s6, s8, s6
	s_add_i32 s7, s7, s4
	s_lshl_b64 s[6:7], s[6:7], 3
	s_add_u32 s2, s2, s6
	s_addc_u32 s3, s3, s7
	s_lshl_b64 s[0:1], s[0:1], 3
	s_add_u32 s2, s2, s0
	s_addc_u32 s3, s3, s1
	v_mad_u64_u32 v[4:5], s[0:1], v0, v0, v[0:1]
	v_lshrrev_b32_e32 v1, 1, v4
	s_and_b64 vcc, exec, s[18:19]
	s_cbranch_vccz .LBB120_7
; %bb.4:
	v_mad_u64_u32 v[4:5], s[0:1], v0, s5, v[2:3]
	v_sub_u32_e32 v4, v4, v1
	v_mov_b32_e32 v5, 0
	v_lshlrev_b64 v[6:7], 3, v[4:5]
	v_mov_b32_e32 v3, s3
	v_add_co_u32_e32 v6, vcc, s2, v6
	v_addc_co_u32_e32 v7, vcc, v3, v7, vcc
	global_load_dwordx2 v[6:7], v[6:7], off
	v_mul_lo_u32 v3, v0, s17
	v_add3_u32 v4, v2, v3, 1
	v_lshlrev_b64 v[4:5], 3, v[4:5]
	v_mov_b32_e32 v8, s11
	v_add_co_u32_e64 v4, s[0:1], s10, v4
	v_addc_co_u32_e64 v5, s[0:1], v8, v5, s[0:1]
	v_cmp_eq_u32_e32 vcc, v2, v0
	s_mov_b64 s[6:7], 0
	s_mov_b64 s[0:1], 0
                                        ; implicit-def: $sgpr8_sgpr9
	s_waitcnt vmcnt(0)
	global_store_dwordx2 v[4:5], v[6:7], off
                                        ; implicit-def: $vgpr4
	s_and_saveexec_b64 s[12:13], vcc
	s_xor_b64 s[12:13], exec, s[12:13]
; %bb.5:
	s_mov_b64 s[0:1], exec
	v_add_u32_e32 v4, s17, v3
	s_mov_b64 s[8:9], 0
; %bb.6:
	s_or_b64 exec, exec, s[12:13]
	s_and_b64 vcc, exec, s[6:7]
	v_pk_mov_b32 v[6:7], s[8:9], s[8:9] op_sel:[0,1]
	s_cbranch_vccnz .LBB120_8
	s_branch .LBB120_11
.LBB120_7:
	s_mov_b64 s[0:1], 0
                                        ; implicit-def: $sgpr8_sgpr9
                                        ; implicit-def: $vgpr4
	v_pk_mov_b32 v[6:7], s[8:9], s[8:9] op_sel:[0,1]
	s_cbranch_execz .LBB120_11
.LBB120_8:
	v_cmp_ne_u32_e32 vcc, 0, v0
	v_pk_mov_b32 v[6:7], 0, 0
	s_and_saveexec_b64 s[0:1], vcc
	s_cbranch_execz .LBB120_10
; %bb.9:
	v_add_u32_e32 v3, -1, v0
	v_mul_lo_u32 v3, v3, s17
	v_add3_u32 v4, v2, v3, 1
	v_mov_b32_e32 v5, 0
	v_lshlrev_b64 v[4:5], 3, v[4:5]
	v_mov_b32_e32 v3, s11
	v_add_co_u32_e32 v4, vcc, s10, v4
	v_addc_co_u32_e32 v5, vcc, v3, v5, vcc
	global_load_dwordx2 v[6:7], v[4:5], off
.LBB120_10:
	s_or_b64 exec, exec, s[0:1]
	v_mad_u64_u32 v[2:3], s[0:1], v0, s5, v[2:3]
	v_sub_u32_e32 v4, v2, v1
	s_mov_b64 s[0:1], -1
	s_mov_b64 s[10:11], s[2:3]
.LBB120_11:
	s_and_b64 exec, exec, s[0:1]
	s_cbranch_execz .LBB120_13
; %bb.12:
	v_mov_b32_e32 v5, 0
	v_lshlrev_b64 v[0:1], 3, v[4:5]
	v_mov_b32_e32 v2, s11
	v_add_co_u32_e32 v0, vcc, s10, v0
	v_addc_co_u32_e32 v1, vcc, v2, v1, vcc
	s_waitcnt vmcnt(0)
	global_store_dwordx2 v[0:1], v[6:7], off
.LBB120_13:
	s_endpgm
	.section	.rodata,"a",@progbits
	.p2align	6, 0x0
	.amdhsa_kernel _ZN9rocsolver6v33100L15copyshift_rightIdPdEEvbiT0_iilPT_iil
		.amdhsa_group_segment_fixed_size 0
		.amdhsa_private_segment_fixed_size 0
		.amdhsa_kernarg_size 312
		.amdhsa_user_sgpr_count 6
		.amdhsa_user_sgpr_private_segment_buffer 1
		.amdhsa_user_sgpr_dispatch_ptr 0
		.amdhsa_user_sgpr_queue_ptr 0
		.amdhsa_user_sgpr_kernarg_segment_ptr 1
		.amdhsa_user_sgpr_dispatch_id 0
		.amdhsa_user_sgpr_flat_scratch_init 0
		.amdhsa_user_sgpr_kernarg_preload_length 0
		.amdhsa_user_sgpr_kernarg_preload_offset 0
		.amdhsa_user_sgpr_private_segment_size 0
		.amdhsa_uses_dynamic_stack 0
		.amdhsa_system_sgpr_private_segment_wavefront_offset 0
		.amdhsa_system_sgpr_workgroup_id_x 1
		.amdhsa_system_sgpr_workgroup_id_y 1
		.amdhsa_system_sgpr_workgroup_id_z 1
		.amdhsa_system_sgpr_workgroup_info 0
		.amdhsa_system_vgpr_workitem_id 1
		.amdhsa_next_free_vgpr 9
		.amdhsa_next_free_sgpr 20
		.amdhsa_accum_offset 12
		.amdhsa_reserve_vcc 1
		.amdhsa_reserve_flat_scratch 0
		.amdhsa_float_round_mode_32 0
		.amdhsa_float_round_mode_16_64 0
		.amdhsa_float_denorm_mode_32 3
		.amdhsa_float_denorm_mode_16_64 3
		.amdhsa_dx10_clamp 1
		.amdhsa_ieee_mode 1
		.amdhsa_fp16_overflow 0
		.amdhsa_tg_split 0
		.amdhsa_exception_fp_ieee_invalid_op 0
		.amdhsa_exception_fp_denorm_src 0
		.amdhsa_exception_fp_ieee_div_zero 0
		.amdhsa_exception_fp_ieee_overflow 0
		.amdhsa_exception_fp_ieee_underflow 0
		.amdhsa_exception_fp_ieee_inexact 0
		.amdhsa_exception_int_div_zero 0
	.end_amdhsa_kernel
	.section	.text._ZN9rocsolver6v33100L15copyshift_rightIdPdEEvbiT0_iilPT_iil,"axG",@progbits,_ZN9rocsolver6v33100L15copyshift_rightIdPdEEvbiT0_iilPT_iil,comdat
.Lfunc_end120:
	.size	_ZN9rocsolver6v33100L15copyshift_rightIdPdEEvbiT0_iilPT_iil, .Lfunc_end120-_ZN9rocsolver6v33100L15copyshift_rightIdPdEEvbiT0_iilPT_iil
                                        ; -- End function
	.section	.AMDGPU.csdata,"",@progbits
; Kernel info:
; codeLenInByte = 608
; NumSgprs: 24
; NumVgprs: 9
; NumAgprs: 0
; TotalNumVgprs: 9
; ScratchSize: 0
; MemoryBound: 0
; FloatMode: 240
; IeeeMode: 1
; LDSByteSize: 0 bytes/workgroup (compile time only)
; SGPRBlocks: 2
; VGPRBlocks: 1
; NumSGPRsForWavesPerEU: 24
; NumVGPRsForWavesPerEU: 9
; AccumOffset: 12
; Occupancy: 8
; WaveLimiterHint : 0
; COMPUTE_PGM_RSRC2:SCRATCH_EN: 0
; COMPUTE_PGM_RSRC2:USER_SGPR: 6
; COMPUTE_PGM_RSRC2:TRAP_HANDLER: 0
; COMPUTE_PGM_RSRC2:TGID_X_EN: 1
; COMPUTE_PGM_RSRC2:TGID_Y_EN: 1
; COMPUTE_PGM_RSRC2:TGID_Z_EN: 1
; COMPUTE_PGM_RSRC2:TIDIG_COMP_CNT: 1
; COMPUTE_PGM_RSRC3_GFX90A:ACCUM_OFFSET: 2
; COMPUTE_PGM_RSRC3_GFX90A:TG_SPLIT: 0
	.section	.text._ZN9rocsolver6v33100L14copyshift_downIdPdEEvbiT0_iilPT_iil,"axG",@progbits,_ZN9rocsolver6v33100L14copyshift_downIdPdEEvbiT0_iilPT_iil,comdat
	.globl	_ZN9rocsolver6v33100L14copyshift_downIdPdEEvbiT0_iilPT_iil ; -- Begin function _ZN9rocsolver6v33100L14copyshift_downIdPdEEvbiT0_iilPT_iil
	.p2align	8
	.type	_ZN9rocsolver6v33100L14copyshift_downIdPdEEvbiT0_iilPT_iil,@function
_ZN9rocsolver6v33100L14copyshift_downIdPdEEvbiT0_iilPT_iil: ; @_ZN9rocsolver6v33100L14copyshift_downIdPdEEvbiT0_iilPT_iil
; %bb.0:
	s_load_dwordx4 s[12:15], s[4:5], 0x0
	s_load_dwordx4 s[0:3], s[4:5], 0x18
	s_load_dword s9, s[4:5], 0x44
	s_load_dwordx2 s[10:11], s[4:5], 0x10
	v_and_b32_e32 v1, 0x3ff, v0
	s_waitcnt lgkmcnt(0)
	s_bitcmp1_b32 s12, 0
	s_cselect_b64 s[16:17], -1, 0
	s_and_b32 s12, s9, 0xffff
	s_lshr_b32 s9, s9, 16
	s_mul_i32 s7, s7, s9
	s_mul_i32 s1, s8, s1
	s_mul_hi_u32 s9, s8, s0
	v_bfe_u32 v0, v0, 10, 10
	s_add_i32 s1, s9, s1
	s_mul_i32 s0, s8, s0
	s_xor_b64 s[16:17], s[16:17], -1
	s_mul_i32 s6, s6, s12
	v_add_u32_e32 v3, s7, v0
	s_ashr_i32 s7, s10, 31
	s_lshl_b64 s[0:1], s[0:1], 3
	v_add_u32_e32 v2, s6, v1
	s_mov_b32 s6, s10
	s_add_u32 s9, s14, s0
	s_addc_u32 s10, s15, s1
	s_lshl_b64 s[0:1], s[6:7], 3
	v_or_b32_e32 v0, v2, v3
	s_add_u32 s6, s9, s0
	v_cmp_eq_u32_e32 vcc, 0, v0
	s_addc_u32 s7, s10, s1
	s_and_b64 s[14:15], vcc, s[16:17]
	s_and_saveexec_b64 s[0:1], s[14:15]
	s_cbranch_execz .LBB121_2
; %bb.1:
	v_mov_b32_e32 v0, 0
	v_mov_b32_e32 v1, 0x3ff00000
	global_store_dwordx2 v0, v[0:1], s[6:7]
.LBB121_2:
	s_or_b64 exec, exec, s[0:1]
	v_max_u32_e32 v0, v3, v2
	v_cmp_gt_u32_e32 vcc, s13, v0
	v_cmp_le_u32_e64 s[0:1], v2, v3
	s_and_b64 s[0:1], s[0:1], vcc
	s_and_saveexec_b64 s[12:13], s[0:1]
	s_cbranch_execz .LBB121_11
; %bb.3:
	s_load_dword s0, s[4:5], 0x28
	s_load_dwordx2 s[12:13], s[4:5], 0x30
	v_add_u32_e32 v0, 1, v3
	v_mul_lo_u32 v1, v0, v3
	v_lshrrev_b32_e32 v4, 1, v1
	s_waitcnt lgkmcnt(0)
	s_ashr_i32 s1, s0, 31
	s_mul_i32 s5, s8, s13
	s_mul_hi_u32 s9, s8, s12
	s_mul_i32 s4, s8, s12
	s_add_i32 s5, s9, s5
	s_lshl_b64 s[4:5], s[4:5], 3
	s_add_u32 s2, s2, s4
	s_addc_u32 s3, s3, s5
	s_lshl_b64 s[0:1], s[0:1], 3
	s_add_u32 s2, s2, s0
	s_addc_u32 s3, s3, s1
	s_and_b64 vcc, exec, s[16:17]
	v_add_u32_e32 v1, v2, v4
	s_cbranch_vccz .LBB121_5
; %bb.4:
	v_add_u32_e32 v4, v2, v4
	v_mov_b32_e32 v5, 0
	v_lshlrev_b64 v[6:7], 3, v[4:5]
	v_mov_b32_e32 v4, s3
	v_add_co_u32_e32 v6, vcc, s2, v6
	v_addc_co_u32_e32 v7, vcc, v4, v7, vcc
	global_load_dwordx2 v[6:7], v[6:7], off
	v_mad_u64_u32 v[8:9], s[0:1], v0, s11, v[2:3]
	v_mov_b32_e32 v9, v5
	v_lshlrev_b64 v[4:5], 3, v[8:9]
	v_mov_b32_e32 v10, s7
	v_add_co_u32_e64 v4, s[0:1], s6, v4
	v_cmp_eq_u32_e32 vcc, v2, v3
	v_addc_co_u32_e64 v5, s[0:1], v10, v5, s[0:1]
	s_mov_b64 s[8:9], 0
	s_and_b64 s[0:1], vcc, exec
	s_waitcnt vmcnt(0)
	global_store_dwordx2 v[4:5], v[6:7], off
	v_pk_mov_b32 v[4:5], s[8:9], s[8:9] op_sel:[0,1]
	s_cbranch_execz .LBB121_6
	s_branch .LBB121_9
.LBB121_5:
	s_mov_b64 s[0:1], 0
                                        ; implicit-def: $sgpr8_sgpr9
	v_pk_mov_b32 v[4:5], s[8:9], s[8:9] op_sel:[0,1]
.LBB121_6:
	v_cmp_ne_u32_e32 vcc, 0, v2
	v_pk_mov_b32 v[4:5], 0, 0
	s_and_saveexec_b64 s[0:1], vcc
	s_cbranch_execz .LBB121_8
; %bb.7:
	v_mul_lo_u32 v0, v0, s11
	v_add3_u32 v2, v2, v0, -1
	v_mov_b32_e32 v3, 0
	v_lshlrev_b64 v[2:3], 3, v[2:3]
	v_mov_b32_e32 v0, s7
	v_add_co_u32_e32 v2, vcc, s6, v2
	v_addc_co_u32_e32 v3, vcc, v0, v3, vcc
	global_load_dwordx2 v[4:5], v[2:3], off
.LBB121_8:
	s_or_b64 exec, exec, s[0:1]
	s_mov_b64 s[0:1], -1
	s_mov_b64 s[6:7], s[2:3]
	v_mov_b32_e32 v0, v1
.LBB121_9:
	s_and_b64 exec, exec, s[0:1]
	s_cbranch_execz .LBB121_11
; %bb.10:
	v_mov_b32_e32 v1, 0
	v_lshlrev_b64 v[0:1], 3, v[0:1]
	v_mov_b32_e32 v2, s7
	v_add_co_u32_e32 v0, vcc, s6, v0
	v_addc_co_u32_e32 v1, vcc, v2, v1, vcc
	s_waitcnt vmcnt(0)
	global_store_dwordx2 v[0:1], v[4:5], off
.LBB121_11:
	s_endpgm
	.section	.rodata,"a",@progbits
	.p2align	6, 0x0
	.amdhsa_kernel _ZN9rocsolver6v33100L14copyshift_downIdPdEEvbiT0_iilPT_iil
		.amdhsa_group_segment_fixed_size 0
		.amdhsa_private_segment_fixed_size 0
		.amdhsa_kernarg_size 312
		.amdhsa_user_sgpr_count 6
		.amdhsa_user_sgpr_private_segment_buffer 1
		.amdhsa_user_sgpr_dispatch_ptr 0
		.amdhsa_user_sgpr_queue_ptr 0
		.amdhsa_user_sgpr_kernarg_segment_ptr 1
		.amdhsa_user_sgpr_dispatch_id 0
		.amdhsa_user_sgpr_flat_scratch_init 0
		.amdhsa_user_sgpr_kernarg_preload_length 0
		.amdhsa_user_sgpr_kernarg_preload_offset 0
		.amdhsa_user_sgpr_private_segment_size 0
		.amdhsa_uses_dynamic_stack 0
		.amdhsa_system_sgpr_private_segment_wavefront_offset 0
		.amdhsa_system_sgpr_workgroup_id_x 1
		.amdhsa_system_sgpr_workgroup_id_y 1
		.amdhsa_system_sgpr_workgroup_id_z 1
		.amdhsa_system_sgpr_workgroup_info 0
		.amdhsa_system_vgpr_workitem_id 1
		.amdhsa_next_free_vgpr 11
		.amdhsa_next_free_sgpr 18
		.amdhsa_accum_offset 12
		.amdhsa_reserve_vcc 1
		.amdhsa_reserve_flat_scratch 0
		.amdhsa_float_round_mode_32 0
		.amdhsa_float_round_mode_16_64 0
		.amdhsa_float_denorm_mode_32 3
		.amdhsa_float_denorm_mode_16_64 3
		.amdhsa_dx10_clamp 1
		.amdhsa_ieee_mode 1
		.amdhsa_fp16_overflow 0
		.amdhsa_tg_split 0
		.amdhsa_exception_fp_ieee_invalid_op 0
		.amdhsa_exception_fp_denorm_src 0
		.amdhsa_exception_fp_ieee_div_zero 0
		.amdhsa_exception_fp_ieee_overflow 0
		.amdhsa_exception_fp_ieee_underflow 0
		.amdhsa_exception_fp_ieee_inexact 0
		.amdhsa_exception_int_div_zero 0
	.end_amdhsa_kernel
	.section	.text._ZN9rocsolver6v33100L14copyshift_downIdPdEEvbiT0_iilPT_iil,"axG",@progbits,_ZN9rocsolver6v33100L14copyshift_downIdPdEEvbiT0_iilPT_iil,comdat
.Lfunc_end121:
	.size	_ZN9rocsolver6v33100L14copyshift_downIdPdEEvbiT0_iilPT_iil, .Lfunc_end121-_ZN9rocsolver6v33100L14copyshift_downIdPdEEvbiT0_iilPT_iil
                                        ; -- End function
	.section	.AMDGPU.csdata,"",@progbits
; Kernel info:
; codeLenInByte = 564
; NumSgprs: 22
; NumVgprs: 11
; NumAgprs: 0
; TotalNumVgprs: 11
; ScratchSize: 0
; MemoryBound: 0
; FloatMode: 240
; IeeeMode: 1
; LDSByteSize: 0 bytes/workgroup (compile time only)
; SGPRBlocks: 2
; VGPRBlocks: 1
; NumSGPRsForWavesPerEU: 22
; NumVGPRsForWavesPerEU: 11
; AccumOffset: 12
; Occupancy: 8
; WaveLimiterHint : 0
; COMPUTE_PGM_RSRC2:SCRATCH_EN: 0
; COMPUTE_PGM_RSRC2:USER_SGPR: 6
; COMPUTE_PGM_RSRC2:TRAP_HANDLER: 0
; COMPUTE_PGM_RSRC2:TGID_X_EN: 1
; COMPUTE_PGM_RSRC2:TGID_Y_EN: 1
; COMPUTE_PGM_RSRC2:TGID_Z_EN: 1
; COMPUTE_PGM_RSRC2:TIDIG_COMP_CNT: 1
; COMPUTE_PGM_RSRC3_GFX90A:ACCUM_OFFSET: 2
; COMPUTE_PGM_RSRC3_GFX90A:TG_SPLIT: 0
	.section	.text._ZN9rocsolver6v33100L17bdsqr_lower2upperIddPdS2_EEviiiPT0_lS4_lT1_iilT2_iilPiS4_lS7_,"axG",@progbits,_ZN9rocsolver6v33100L17bdsqr_lower2upperIddPdS2_EEviiiPT0_lS4_lT1_iilT2_iilPiS4_lS7_,comdat
	.globl	_ZN9rocsolver6v33100L17bdsqr_lower2upperIddPdS2_EEviiiPT0_lS4_lT1_iilT2_iilPiS4_lS7_ ; -- Begin function _ZN9rocsolver6v33100L17bdsqr_lower2upperIddPdS2_EEviiiPT0_lS4_lT1_iilT2_iilPiS4_lS7_
	.p2align	8
	.type	_ZN9rocsolver6v33100L17bdsqr_lower2upperIddPdS2_EEviiiPT0_lS4_lT1_iilT2_iilPiS4_lS7_,@function
_ZN9rocsolver6v33100L17bdsqr_lower2upperIddPdS2_EEviiiPT0_lS4_lT1_iilT2_iilPiS4_lS7_: ; @_ZN9rocsolver6v33100L17bdsqr_lower2upperIddPdS2_EEviiiPT0_lS4_lT1_iilT2_iilPiS4_lS7_
; %bb.0:
	s_load_dwordx2 s[0:1], s[4:5], 0x78
	s_mov_b32 s26, s7
	s_ashr_i32 s27, s7, 31
	s_lshl_b64 s[2:3], s[26:27], 2
	s_waitcnt lgkmcnt(0)
	s_add_u32 s0, s0, s2
	s_addc_u32 s1, s1, s3
	s_load_dword s0, s[0:1], 0x8
	s_waitcnt lgkmcnt(0)
	s_cmp_lg_u32 s0, 0
	s_cbranch_scc1 .LBB122_34
; %bb.1:
	s_load_dwordx8 s[8:15], s[4:5], 0x30
	s_load_dwordx4 s[0:3], s[4:5], 0x68
	s_mov_b64 s[6:7], 0
	s_mov_b64 s[24:25], 0
	s_waitcnt lgkmcnt(0)
	s_cmp_eq_u64 s[8:9], 0
	s_cbranch_scc1 .LBB122_3
; %bb.2:
	s_ashr_i32 s17, s10, 31
	s_mov_b32 s16, s10
	s_mul_i32 s10, s26, s13
	s_mul_hi_u32 s13, s26, s12
	s_add_i32 s10, s13, s10
	s_mul_i32 s13, s27, s12
	s_add_i32 s13, s10, s13
	s_mul_i32 s12, s26, s12
	s_lshl_b64 s[12:13], s[12:13], 3
	s_add_u32 s10, s8, s12
	s_addc_u32 s12, s9, s13
	s_lshl_b64 s[8:9], s[16:17], 3
	s_add_u32 s24, s10, s8
	s_addc_u32 s25, s12, s9
.LBB122_3:
	s_load_dwordx2 s[8:9], s[4:5], 0x50
	s_cmp_eq_u64 s[14:15], 0
	s_cbranch_scc1 .LBB122_5
; %bb.4:
	s_load_dwordx2 s[6:7], s[4:5], 0x58
	s_waitcnt lgkmcnt(0)
	s_ashr_i32 s13, s8, 31
	s_mov_b32 s12, s8
	s_mul_i32 s7, s26, s7
	s_mul_hi_u32 s8, s26, s6
	s_mul_i32 s10, s27, s6
	s_add_i32 s7, s8, s7
	s_add_i32 s7, s7, s10
	s_mul_i32 s6, s26, s6
	s_lshl_b64 s[6:7], s[6:7], 3
	s_add_u32 s8, s14, s6
	s_addc_u32 s10, s15, s7
	s_lshl_b64 s[6:7], s[12:13], 3
	s_add_u32 s6, s8, s6
	s_addc_u32 s7, s10, s7
.LBB122_5:
	s_mul_i32 s3, s26, s3
	s_waitcnt lgkmcnt(0)
	s_mul_hi_u32 s8, s26, s2
	s_load_dwordx4 s[20:23], s[4:5], 0x0
	s_add_i32 s3, s8, s3
	s_mul_i32 s8, s27, s2
	s_add_i32 s3, s3, s8
	s_mul_i32 s2, s26, s2
	s_lshl_b64 s[2:3], s[2:3], 3
	s_add_u32 s8, s0, s2
	s_waitcnt lgkmcnt(0)
	s_addc_u32 s23, s1, s3
	v_cmp_eq_u32_e32 vcc, 0, v0
	s_and_saveexec_b64 s[0:1], vcc
	s_cbranch_execz .LBB122_22
; %bb.6:
	s_load_dwordx8 s[12:19], s[4:5], 0x10
	s_waitcnt lgkmcnt(0)
	s_mul_i32 s2, s26, s15
	s_mul_hi_u32 s3, s26, s14
	s_mul_i32 s10, s27, s14
	s_add_i32 s2, s3, s2
	s_add_i32 s3, s2, s10
	s_mul_i32 s2, s26, s14
	s_lshl_b64 s[28:29], s[2:3], 3
	s_add_u32 s2, s12, s28
	s_addc_u32 s3, s13, s29
	s_load_dwordx2 s[30:31], s[2:3], 0x0
	s_add_i32 s14, s20, -1
	s_cmp_lt_i32 s20, 2
	s_waitcnt lgkmcnt(0)
	v_pk_mov_b32 v[4:5], s[30:31], s[30:31] op_sel:[0,1]
	s_cbranch_scc1 .LBB122_21
; %bb.7:
	s_mul_i32 s10, s26, s19
	s_mul_hi_u32 s15, s26, s18
	s_add_i32 s10, s15, s10
	s_mul_i32 s15, s27, s18
	s_add_i32 s19, s10, s15
	s_mul_i32 s18, s26, s18
	s_lshl_b64 s[18:19], s[18:19], 3
	s_add_u32 s34, s18, s16
	s_addc_u32 s35, s19, s17
	s_or_b32 s10, s22, s21
	s_cmp_lg_u32 s10, 0
	s_cselect_b64 s[18:19], -1, 0
	s_add_u32 s26, s8, 32
	s_addc_u32 s27, s23, 0
	s_load_dwordx2 s[36:37], s[34:35], 0x0
	s_add_u32 s10, s28, s12
	s_addc_u32 s13, s29, s13
	s_add_u32 s12, s10, 8
	s_addc_u32 s13, s13, 0
	s_add_u32 s28, s34, 8
	v_pk_mov_b32 v[4:5], s[30:31], s[30:31] op_sel:[0,1]
	s_mov_b32 s30, 0
	s_mov_b32 s17, 0
	s_addc_u32 s29, s35, 0
	s_waitcnt lgkmcnt(0)
	v_pk_mov_b32 v[2:3], s[36:37], s[36:37] op_sel:[0,1]
	s_brev_b32 s31, 8
	v_mov_b32_e32 v1, 0x260
	v_mov_b32_e32 v10, 0
	s_mov_b64 s[34:35], s[26:27]
	s_mov_b32 s10, 0
	s_branch .LBB122_9
.LBB122_8:                              ;   in Loop: Header=BB122_9 Depth=1
	s_add_i32 s10, s10, 1
	s_add_u32 s34, s34, 8
	s_addc_u32 s35, s35, 0
	s_add_u32 s12, s12, 8
	s_addc_u32 s13, s13, 0
	;; [unrolled: 2-line block ×3, first 2 shown]
	s_cmp_lg_u32 s14, s10
	s_waitcnt vmcnt(0)
	v_mul_f64 v[4:5], v[6:7], v[4:5]
	s_cbranch_scc0 .LBB122_21
.LBB122_9:                              ; =>This Inner Loop Header: Depth=1
	v_cmp_eq_f64_e32 vcc, 0, v[2:3]
	v_pk_mov_b32 v[8:9], 0, 0
	s_cbranch_vccnz .LBB122_13
; %bb.10:                               ;   in Loop: Header=BB122_9 Depth=1
	v_cmp_neq_f64_e32 vcc, 0, v[4:5]
	s_cbranch_vccz .LBB122_14
; %bb.11:                               ;   in Loop: Header=BB122_9 Depth=1
	v_cmp_ngt_f64_e64 s[36:37], |v[2:3]|, |v[4:5]|
	s_and_b64 vcc, exec, s[36:37]
	s_cbranch_vccz .LBB122_15
; %bb.12:                               ;   in Loop: Header=BB122_9 Depth=1
	v_div_scale_f64 v[6:7], s[36:37], v[4:5], v[4:5], -v[2:3]
	v_rcp_f64_e32 v[8:9], v[6:7]
	v_div_scale_f64 v[12:13], vcc, -v[2:3], v[4:5], -v[2:3]
	v_fma_f64 v[14:15], -v[6:7], v[8:9], 1.0
	v_fmac_f64_e32 v[8:9], v[8:9], v[14:15]
	v_fma_f64 v[14:15], -v[6:7], v[8:9], 1.0
	v_fmac_f64_e32 v[8:9], v[8:9], v[14:15]
	v_mul_f64 v[14:15], v[12:13], v[8:9]
	v_fma_f64 v[6:7], -v[6:7], v[14:15], v[12:13]
	v_div_fmas_f64 v[6:7], v[6:7], v[8:9], v[14:15]
	v_div_fixup_f64 v[8:9], v[6:7], v[4:5], -v[2:3]
	v_fma_f64 v[6:7], v[8:9], v[8:9], 1.0
	v_cmp_gt_f64_e32 vcc, s[30:31], v[6:7]
	v_cndmask_b32_e64 v11, 0, 1, vcc
	v_lshlrev_b32_e32 v11, 8, v11
	v_ldexp_f64 v[6:7], v[6:7], v11
	v_rsq_f64_e32 v[12:13], v[6:7]
	s_and_b64 s[36:37], vcc, exec
	s_cselect_b32 s15, 0xffffff80, 0
	v_cmp_class_f64_e32 vcc, v[6:7], v1
	v_mul_f64 v[14:15], v[6:7], v[12:13]
	v_mul_f64 v[12:13], v[12:13], 0.5
	v_fma_f64 v[16:17], -v[12:13], v[14:15], 0.5
	v_fmac_f64_e32 v[14:15], v[14:15], v[16:17]
	v_fma_f64 v[18:19], -v[14:15], v[14:15], v[6:7]
	v_fmac_f64_e32 v[12:13], v[12:13], v[16:17]
	v_fmac_f64_e32 v[14:15], v[18:19], v[12:13]
	v_fma_f64 v[16:17], -v[14:15], v[14:15], v[6:7]
	v_fmac_f64_e32 v[14:15], v[16:17], v[12:13]
	v_ldexp_f64 v[12:13], v[14:15], s15
	v_cndmask_b32_e32 v7, v13, v7, vcc
	v_cndmask_b32_e32 v6, v12, v6, vcc
	v_div_scale_f64 v[12:13], s[36:37], v[6:7], v[6:7], 1.0
	v_rcp_f64_e32 v[14:15], v[12:13]
	v_fma_f64 v[16:17], -v[12:13], v[14:15], 1.0
	v_fmac_f64_e32 v[14:15], v[14:15], v[16:17]
	v_fma_f64 v[16:17], -v[12:13], v[14:15], 1.0
	v_fmac_f64_e32 v[14:15], v[14:15], v[16:17]
	v_div_scale_f64 v[16:17], vcc, 1.0, v[6:7], 1.0
	v_mul_f64 v[18:19], v[16:17], v[14:15]
	v_fma_f64 v[12:13], -v[12:13], v[18:19], v[16:17]
	s_nop 1
	v_div_fmas_f64 v[12:13], v[12:13], v[14:15], v[18:19]
	v_div_fixup_f64 v[6:7], v[12:13], v[6:7], 1.0
	v_mul_f64 v[8:9], v[8:9], v[6:7]
	s_cbranch_execz .LBB122_16
	s_branch .LBB122_17
.LBB122_13:                             ;   in Loop: Header=BB122_9 Depth=1
	v_mov_b32_e32 v6, 0
	v_mov_b32_e32 v7, 0x3ff00000
	s_branch .LBB122_19
.LBB122_14:                             ;   in Loop: Header=BB122_9 Depth=1
                                        ; implicit-def: $vgpr4_vgpr5
                                        ; implicit-def: $vgpr8_vgpr9
                                        ; implicit-def: $vgpr6_vgpr7
	s_cbranch_execnz .LBB122_18
	s_branch .LBB122_19
.LBB122_15:                             ;   in Loop: Header=BB122_9 Depth=1
                                        ; implicit-def: $vgpr8_vgpr9
                                        ; implicit-def: $vgpr6_vgpr7
.LBB122_16:                             ;   in Loop: Header=BB122_9 Depth=1
	v_div_scale_f64 v[6:7], s[36:37], v[2:3], v[2:3], -v[4:5]
	v_rcp_f64_e32 v[8:9], v[6:7]
	v_div_scale_f64 v[12:13], vcc, -v[4:5], v[2:3], -v[4:5]
	v_fma_f64 v[14:15], -v[6:7], v[8:9], 1.0
	v_fmac_f64_e32 v[8:9], v[8:9], v[14:15]
	v_fma_f64 v[14:15], -v[6:7], v[8:9], 1.0
	v_fmac_f64_e32 v[8:9], v[8:9], v[14:15]
	v_mul_f64 v[14:15], v[12:13], v[8:9]
	v_fma_f64 v[6:7], -v[6:7], v[14:15], v[12:13]
	v_div_fmas_f64 v[6:7], v[6:7], v[8:9], v[14:15]
	v_div_fixup_f64 v[6:7], v[6:7], v[2:3], -v[4:5]
	v_fma_f64 v[8:9], v[6:7], v[6:7], 1.0
	v_cmp_gt_f64_e32 vcc, s[30:31], v[8:9]
	v_cndmask_b32_e64 v11, 0, 1, vcc
	v_lshlrev_b32_e32 v11, 8, v11
	v_ldexp_f64 v[8:9], v[8:9], v11
	v_rsq_f64_e32 v[12:13], v[8:9]
	s_and_b64 s[36:37], vcc, exec
	s_cselect_b32 s15, 0xffffff80, 0
	v_cmp_class_f64_e32 vcc, v[8:9], v1
	v_mul_f64 v[14:15], v[8:9], v[12:13]
	v_mul_f64 v[12:13], v[12:13], 0.5
	v_fma_f64 v[16:17], -v[12:13], v[14:15], 0.5
	v_fmac_f64_e32 v[14:15], v[14:15], v[16:17]
	v_fma_f64 v[18:19], -v[14:15], v[14:15], v[8:9]
	v_fmac_f64_e32 v[12:13], v[12:13], v[16:17]
	v_fmac_f64_e32 v[14:15], v[18:19], v[12:13]
	v_fma_f64 v[16:17], -v[14:15], v[14:15], v[8:9]
	v_fmac_f64_e32 v[14:15], v[16:17], v[12:13]
	v_ldexp_f64 v[12:13], v[14:15], s15
	v_cndmask_b32_e32 v9, v13, v9, vcc
	v_cndmask_b32_e32 v8, v12, v8, vcc
	v_div_scale_f64 v[12:13], s[36:37], v[8:9], v[8:9], 1.0
	v_rcp_f64_e32 v[14:15], v[12:13]
	v_fma_f64 v[16:17], -v[12:13], v[14:15], 1.0
	v_fmac_f64_e32 v[14:15], v[14:15], v[16:17]
	v_fma_f64 v[16:17], -v[12:13], v[14:15], 1.0
	v_fmac_f64_e32 v[14:15], v[14:15], v[16:17]
	v_div_scale_f64 v[16:17], vcc, 1.0, v[8:9], 1.0
	v_mul_f64 v[18:19], v[16:17], v[14:15]
	v_fma_f64 v[12:13], -v[12:13], v[18:19], v[16:17]
	s_nop 1
	v_div_fmas_f64 v[12:13], v[12:13], v[14:15], v[18:19]
	v_div_fixup_f64 v[8:9], v[12:13], v[8:9], 1.0
	v_mul_f64 v[6:7], v[6:7], v[8:9]
.LBB122_17:                             ;   in Loop: Header=BB122_9 Depth=1
	v_mul_f64 v[12:13], v[2:3], v[8:9]
	v_fma_f64 v[4:5], v[4:5], v[6:7], -v[12:13]
	s_branch .LBB122_19
.LBB122_18:                             ;   in Loop: Header=BB122_9 Depth=1
	v_xor_b32_e32 v3, 0x80000000, v3
	v_mov_b32_e32 v8, 0
	v_pk_mov_b32 v[6:7], 0, 0
	v_mov_b32_e32 v9, 0x3ff00000
	v_pk_mov_b32 v[4:5], v[2:3], v[2:3] op_sel:[0,1]
.LBB122_19:                             ;   in Loop: Header=BB122_9 Depth=1
	global_load_dwordx2 v[12:13], v10, s[12:13]
	s_andn2_b64 vcc, exec, s[18:19]
	global_store_dwordx2 v10, v[4:5], s[12:13] offset:-8
	global_load_dwordx2 v[2:3], v10, s[28:29]
	s_waitcnt vmcnt(2)
	v_mul_f64 v[4:5], v[12:13], -v[8:9]
	global_store_dwordx2 v10, v[4:5], s[28:29] offset:-8
	global_load_dwordx2 v[4:5], v10, s[12:13]
	s_cbranch_vccnz .LBB122_8
; %bb.20:                               ;   in Loop: Header=BB122_9 Depth=1
	s_add_i32 s16, s20, s10
	s_lshl_b64 s[36:37], s[16:17], 3
	s_add_u32 s36, s26, s36
	s_addc_u32 s37, s27, s37
	global_store_dwordx2 v10, v[6:7], s[34:35]
	global_store_dwordx2 v10, v[8:9], s[36:37]
	s_branch .LBB122_8
.LBB122_21:
	s_ashr_i32 s15, s14, 31
	s_lshl_b64 s[12:13], s[14:15], 3
	s_add_u32 s2, s2, s12
	s_addc_u32 s3, s3, s13
	v_mov_b32_e32 v1, 0
	global_store_dwordx2 v1, v[4:5], s[2:3]
.LBB122_22:
	s_or_b64 exec, exec, s[0:1]
	v_cmp_gt_i32_e32 vcc, s21, v0
	s_barrier
	s_and_saveexec_b64 s[2:3], vcc
	s_cbranch_execz .LBB122_28
; %bb.23:
	s_load_dword s10, s[4:5], 0x8c
	s_add_i32 s28, s20, -1
	s_cmp_gt_i32 s20, 1
	s_cselect_b64 s[0:1], -1, 0
	s_mul_i32 s18, s28, s11
	s_waitcnt lgkmcnt(0)
	s_and_b32 s29, s10, 0xffff
	s_add_u32 s12, s8, 32
	s_addc_u32 s13, s23, 0
	s_ashr_i32 s19, s18, 31
	s_ashr_i32 s15, s11, 31
	s_mov_b32 s14, s11
	s_lshl_b64 s[10:11], s[14:15], 3
	s_mov_b32 s15, 0
	s_mov_b32 s14, s20
	v_cndmask_b32_e64 v2, 0, 1, s[0:1]
	s_lshl_b64 s[18:19], s[18:19], 3
	s_lshl_b64 s[14:15], s[14:15], 3
	s_mov_b64 s[16:17], 0
	v_mov_b32_e32 v1, s25
	v_cmp_ne_u32_e64 s[0:1], 1, v2
	v_mov_b32_e32 v10, 0
	v_mov_b32_e32 v11, s19
	;; [unrolled: 1-line block ×3, first 2 shown]
	s_branch .LBB122_25
.LBB122_24:                             ;   in Loop: Header=BB122_25 Depth=1
	v_add_co_u32_e32 v6, vcc, s18, v6
	v_addc_co_u32_e32 v7, vcc, v7, v11, vcc
	v_add_u32_e32 v2, s29, v2
	v_cmp_le_i32_e32 vcc, s21, v2
	s_or_b64 s[16:17], vcc, s[16:17]
	s_waitcnt vmcnt(0) lgkmcnt(0)
	flat_store_dwordx2 v[6:7], v[4:5]
	s_andn2_b64 exec, exec, s[16:17]
	s_cbranch_execz .LBB122_28
.LBB122_25:                             ; =>This Loop Header: Depth=1
                                        ;     Child Loop BB122_27 Depth 2
	v_ashrrev_i32_e32 v3, 31, v2
	v_lshlrev_b64 v[4:5], 3, v[2:3]
	v_add_co_u32_e32 v6, vcc, s24, v4
	v_addc_co_u32_e32 v7, vcc, v1, v5, vcc
	flat_load_dwordx2 v[4:5], v[6:7]
	s_and_b64 vcc, exec, s[0:1]
	s_cbranch_vccnz .LBB122_24
; %bb.26:                               ;   in Loop: Header=BB122_25 Depth=1
	s_mov_b32 s19, s28
	s_mov_b64 s[26:27], s[12:13]
	v_pk_mov_b32 v[8:9], v[6:7], v[6:7] op_sel:[0,1]
.LBB122_27:                             ;   Parent Loop BB122_25 Depth=1
                                        ; =>  This Inner Loop Header: Depth=2
	v_mov_b32_e32 v3, s11
	v_add_co_u32_e32 v12, vcc, s10, v8
	v_addc_co_u32_e32 v13, vcc, v9, v3, vcc
	s_add_u32 s30, s26, s14
	flat_load_dwordx2 v[14:15], v[12:13]
	s_addc_u32 s31, s27, s15
	global_load_dwordx2 v[16:17], v10, s[30:31]
	global_load_dwordx2 v[18:19], v10, s[26:27]
	s_add_u32 s26, s26, 8
	s_addc_u32 s27, s27, 0
	s_add_i32 s19, s19, -1
	s_cmp_lg_u32 s19, 0
	s_waitcnt vmcnt(0) lgkmcnt(0)
	v_mul_f64 v[20:21], v[14:15], v[16:17]
	v_fma_f64 v[20:21], v[4:5], v[18:19], -v[20:21]
	v_mul_f64 v[4:5], v[4:5], v[16:17]
	flat_store_dwordx2 v[8:9], v[20:21]
	v_fmac_f64_e32 v[4:5], v[14:15], v[18:19]
	v_pk_mov_b32 v[8:9], v[12:13], v[12:13] op_sel:[0,1]
	s_cbranch_scc1 .LBB122_27
	s_branch .LBB122_24
.LBB122_28:
	s_or_b64 exec, exec, s[2:3]
	v_cmp_gt_i32_e32 vcc, s22, v0
	s_and_saveexec_b64 s[0:1], vcc
	s_cbranch_execz .LBB122_34
; %bb.29:
	s_load_dword s3, s[4:5], 0x8c
	s_add_i32 s2, s20, -1
	s_cmp_gt_i32 s20, 1
	s_cselect_b64 s[0:1], -1, 0
	s_mov_b32 s21, 0
	s_waitcnt lgkmcnt(0)
	s_and_b32 s18, s3, 0xffff
	s_add_u32 s4, s8, 32
	s_addc_u32 s5, s23, 0
	s_ashr_i32 s3, s2, 31
	v_cndmask_b32_e64 v3, 0, 1, s[0:1]
	s_lshl_b64 s[14:15], s[2:3], 3
	v_mul_lo_u32 v2, v0, s9
	s_mul_i32 s8, s9, s18
	s_lshl_b64 s[10:11], s[20:21], 3
	s_mov_b64 s[12:13], 0
	v_mov_b32_e32 v1, s7
	v_cmp_ne_u32_e64 s[0:1], 1, v3
	v_mov_b32_e32 v10, 0
	v_mov_b32_e32 v11, s15
	s_branch .LBB122_31
.LBB122_30:                             ;   in Loop: Header=BB122_31 Depth=1
	v_add_co_u32_e32 v4, vcc, s14, v4
	v_addc_co_u32_e32 v5, vcc, v5, v11, vcc
	v_add_u32_e32 v0, s18, v0
	v_cmp_le_i32_e32 vcc, s22, v0
	s_or_b64 s[12:13], vcc, s[12:13]
	v_add_u32_e32 v2, s8, v2
	s_waitcnt vmcnt(0) lgkmcnt(0)
	flat_store_dwordx2 v[4:5], v[6:7]
	s_andn2_b64 exec, exec, s[12:13]
	s_cbranch_execz .LBB122_34
.LBB122_31:                             ; =>This Loop Header: Depth=1
                                        ;     Child Loop BB122_33 Depth 2
	v_mul_lo_u32 v4, v0, s9
	v_ashrrev_i32_e32 v5, 31, v4
	v_lshlrev_b64 v[4:5], 3, v[4:5]
	v_add_co_u32_e32 v4, vcc, s6, v4
	v_addc_co_u32_e32 v5, vcc, v1, v5, vcc
	flat_load_dwordx2 v[6:7], v[4:5]
	s_and_b64 vcc, exec, s[0:1]
	s_cbranch_vccnz .LBB122_30
; %bb.32:                               ;   in Loop: Header=BB122_31 Depth=1
	v_ashrrev_i32_e32 v3, 31, v2
	v_lshlrev_b64 v[8:9], 3, v[2:3]
	v_add_co_u32_e32 v8, vcc, s6, v8
	v_addc_co_u32_e32 v9, vcc, v1, v9, vcc
	s_mov_b32 s3, s2
	s_mov_b64 s[16:17], s[4:5]
.LBB122_33:                             ;   Parent Loop BB122_31 Depth=1
                                        ; =>  This Inner Loop Header: Depth=2
	s_add_u32 s20, s16, s10
	s_addc_u32 s21, s17, s11
	flat_load_dwordx2 v[12:13], v[8:9] offset:8
	global_load_dwordx2 v[14:15], v10, s[16:17]
	global_load_dwordx2 v[16:17], v10, s[20:21]
	v_add_co_u32_e32 v18, vcc, 8, v8
	s_add_u32 s16, s16, 8
	v_addc_co_u32_e32 v19, vcc, 0, v9, vcc
	s_addc_u32 s17, s17, 0
	s_add_i32 s3, s3, -1
	s_cmp_lg_u32 s3, 0
	s_waitcnt vmcnt(0) lgkmcnt(0)
	v_mul_f64 v[20:21], v[12:13], v[16:17]
	v_fma_f64 v[20:21], v[6:7], v[14:15], -v[20:21]
	v_mul_f64 v[6:7], v[6:7], v[16:17]
	flat_store_dwordx2 v[8:9], v[20:21]
	v_fmac_f64_e32 v[6:7], v[12:13], v[14:15]
	v_pk_mov_b32 v[8:9], v[18:19], v[18:19] op_sel:[0,1]
	s_cbranch_scc1 .LBB122_33
	s_branch .LBB122_30
.LBB122_34:
	s_endpgm
	.section	.rodata,"a",@progbits
	.p2align	6, 0x0
	.amdhsa_kernel _ZN9rocsolver6v33100L17bdsqr_lower2upperIddPdS2_EEviiiPT0_lS4_lT1_iilT2_iilPiS4_lS7_
		.amdhsa_group_segment_fixed_size 0
		.amdhsa_private_segment_fixed_size 0
		.amdhsa_kernarg_size 384
		.amdhsa_user_sgpr_count 6
		.amdhsa_user_sgpr_private_segment_buffer 1
		.amdhsa_user_sgpr_dispatch_ptr 0
		.amdhsa_user_sgpr_queue_ptr 0
		.amdhsa_user_sgpr_kernarg_segment_ptr 1
		.amdhsa_user_sgpr_dispatch_id 0
		.amdhsa_user_sgpr_flat_scratch_init 0
		.amdhsa_user_sgpr_kernarg_preload_length 0
		.amdhsa_user_sgpr_kernarg_preload_offset 0
		.amdhsa_user_sgpr_private_segment_size 0
		.amdhsa_uses_dynamic_stack 0
		.amdhsa_system_sgpr_private_segment_wavefront_offset 0
		.amdhsa_system_sgpr_workgroup_id_x 1
		.amdhsa_system_sgpr_workgroup_id_y 1
		.amdhsa_system_sgpr_workgroup_id_z 0
		.amdhsa_system_sgpr_workgroup_info 0
		.amdhsa_system_vgpr_workitem_id 0
		.amdhsa_next_free_vgpr 22
		.amdhsa_next_free_sgpr 38
		.amdhsa_accum_offset 24
		.amdhsa_reserve_vcc 1
		.amdhsa_reserve_flat_scratch 0
		.amdhsa_float_round_mode_32 0
		.amdhsa_float_round_mode_16_64 0
		.amdhsa_float_denorm_mode_32 3
		.amdhsa_float_denorm_mode_16_64 3
		.amdhsa_dx10_clamp 1
		.amdhsa_ieee_mode 1
		.amdhsa_fp16_overflow 0
		.amdhsa_tg_split 0
		.amdhsa_exception_fp_ieee_invalid_op 0
		.amdhsa_exception_fp_denorm_src 0
		.amdhsa_exception_fp_ieee_div_zero 0
		.amdhsa_exception_fp_ieee_overflow 0
		.amdhsa_exception_fp_ieee_underflow 0
		.amdhsa_exception_fp_ieee_inexact 0
		.amdhsa_exception_int_div_zero 0
	.end_amdhsa_kernel
	.section	.text._ZN9rocsolver6v33100L17bdsqr_lower2upperIddPdS2_EEviiiPT0_lS4_lT1_iilT2_iilPiS4_lS7_,"axG",@progbits,_ZN9rocsolver6v33100L17bdsqr_lower2upperIddPdS2_EEviiiPT0_lS4_lT1_iilT2_iilPiS4_lS7_,comdat
.Lfunc_end122:
	.size	_ZN9rocsolver6v33100L17bdsqr_lower2upperIddPdS2_EEviiiPT0_lS4_lT1_iilT2_iilPiS4_lS7_, .Lfunc_end122-_ZN9rocsolver6v33100L17bdsqr_lower2upperIddPdS2_EEviiiPT0_lS4_lT1_iilT2_iilPiS4_lS7_
                                        ; -- End function
	.section	.AMDGPU.csdata,"",@progbits
; Kernel info:
; codeLenInByte = 2088
; NumSgprs: 42
; NumVgprs: 22
; NumAgprs: 0
; TotalNumVgprs: 22
; ScratchSize: 0
; MemoryBound: 0
; FloatMode: 240
; IeeeMode: 1
; LDSByteSize: 0 bytes/workgroup (compile time only)
; SGPRBlocks: 5
; VGPRBlocks: 2
; NumSGPRsForWavesPerEU: 42
; NumVGPRsForWavesPerEU: 22
; AccumOffset: 24
; Occupancy: 8
; WaveLimiterHint : 0
; COMPUTE_PGM_RSRC2:SCRATCH_EN: 0
; COMPUTE_PGM_RSRC2:USER_SGPR: 6
; COMPUTE_PGM_RSRC2:TRAP_HANDLER: 0
; COMPUTE_PGM_RSRC2:TGID_X_EN: 1
; COMPUTE_PGM_RSRC2:TGID_Y_EN: 1
; COMPUTE_PGM_RSRC2:TGID_Z_EN: 0
; COMPUTE_PGM_RSRC2:TIDIG_COMP_CNT: 0
; COMPUTE_PGM_RSRC3_GFX90A:ACCUM_OFFSET: 5
; COMPUTE_PGM_RSRC3_GFX90A:TG_SPLIT: 0
	.section	.text._ZN9rocsolver6v33100L13bdsqr_computeILi256EddPdS2_S2_EEviiiiPT1_lS4_lT2_iilT3_iilT4_iiliS3_S3_S3_S3_PiS4_ilS8_,"axG",@progbits,_ZN9rocsolver6v33100L13bdsqr_computeILi256EddPdS2_S2_EEviiiiPT1_lS4_lT2_iilT3_iilT4_iiliS3_S3_S3_S3_PiS4_ilS8_,comdat
	.globl	_ZN9rocsolver6v33100L13bdsqr_computeILi256EddPdS2_S2_EEviiiiPT1_lS4_lT2_iilT3_iilT4_iiliS3_S3_S3_S3_PiS4_ilS8_ ; -- Begin function _ZN9rocsolver6v33100L13bdsqr_computeILi256EddPdS2_S2_EEviiiiPT1_lS4_lT2_iilT3_iilT4_iiliS3_S3_S3_S3_PiS4_ilS8_
	.p2align	8
	.type	_ZN9rocsolver6v33100L13bdsqr_computeILi256EddPdS2_S2_EEviiiiPT1_lS4_lT2_iilT3_iilT4_iiliS3_S3_S3_S3_PiS4_ilS8_,@function
_ZN9rocsolver6v33100L13bdsqr_computeILi256EddPdS2_S2_EEviiiiPT1_lS4_lT2_iilT3_iilT4_iiliS3_S3_S3_S3_PiS4_ilS8_: ; @_ZN9rocsolver6v33100L13bdsqr_computeILi256EddPdS2_S2_EEviiiiPT1_lS4_lT2_iilT3_iilT4_iiliS3_S3_S3_S3_PiS4_ilS8_
; %bb.0:
	s_load_dwordx4 s[0:3], s[4:5], 0xb8
	s_ashr_i32 s9, s8, 31
	s_lshl_b64 s[10:11], s[8:9], 2
	s_waitcnt lgkmcnt(0)
	s_add_u32 s2, s2, s10
	s_addc_u32 s3, s3, s11
	s_load_dword s2, s[2:3], 0x8
	s_waitcnt lgkmcnt(0)
	s_cmp_lg_u32 s2, 0
	s_cbranch_scc1 .LBB123_181
; %bb.1:
	s_load_dwordx8 s[20:27], s[4:5], 0x30
	s_mov_b64 s[34:35], 0
	s_mov_b64 s[48:49], 0
	s_waitcnt lgkmcnt(0)
	s_cmp_eq_u64 s[20:21], 0
	s_cbranch_scc1 .LBB123_3
; %bb.2:
	s_mul_i32 s6, s8, s25
	s_mul_hi_u32 s10, s8, s24
	s_add_i32 s6, s10, s6
	s_mul_i32 s10, s9, s24
	s_add_i32 s11, s6, s10
	s_mul_i32 s10, s8, s24
	s_ashr_i32 s3, s22, 31
	s_lshl_b64 s[10:11], s[10:11], 3
	s_mov_b32 s2, s22
	s_add_u32 s6, s20, s10
	s_addc_u32 s10, s21, s11
	s_lshl_b64 s[2:3], s[2:3], 3
	s_add_u32 s48, s6, s2
	s_addc_u32 s49, s10, s3
.LBB123_3:
	s_load_dwordx2 s[74:75], s[4:5], 0x50
	s_load_dwordx4 s[12:15], s[4:5], 0x58
	s_cmp_eq_u64 s[26:27], 0
	s_cbranch_scc1 .LBB123_5
; %bb.4:
	s_waitcnt lgkmcnt(0)
	s_mul_i32 s6, s8, s13
	s_mul_hi_u32 s10, s8, s12
	s_add_i32 s6, s10, s6
	s_mul_i32 s10, s9, s12
	s_add_i32 s11, s6, s10
	s_mul_i32 s10, s8, s12
	s_ashr_i32 s3, s74, 31
	s_lshl_b64 s[10:11], s[10:11], 3
	s_mov_b32 s2, s74
	s_add_u32 s6, s26, s10
	s_addc_u32 s10, s27, s11
	s_lshl_b64 s[2:3], s[2:3], 3
	s_add_u32 s34, s6, s2
	s_addc_u32 s35, s10, s3
.LBB123_5:
	s_load_dwordx2 s[50:51], s[4:5], 0x68
	s_waitcnt lgkmcnt(0)
	s_cmp_eq_u64 s[14:15], 0
	s_mov_b64 s[52:53], 0
	s_cbranch_scc1 .LBB123_7
; %bb.6:
	s_load_dwordx2 s[2:3], s[4:5], 0x70
	s_ashr_i32 s11, s50, 31
	s_mov_b32 s10, s50
	s_waitcnt lgkmcnt(0)
	s_mul_i32 s3, s8, s3
	s_mul_hi_u32 s6, s8, s2
	s_mul_i32 s12, s9, s2
	s_add_i32 s3, s6, s3
	s_add_i32 s3, s3, s12
	s_mul_i32 s2, s8, s2
	s_lshl_b64 s[2:3], s[2:3], 3
	s_add_u32 s6, s14, s2
	s_addc_u32 s12, s15, s3
	s_lshl_b64 s[2:3], s[10:11], 3
	s_add_u32 s52, s6, s2
	s_addc_u32 s53, s12, s3
.LBB123_7:
	s_load_dwordx8 s[24:31], s[4:5], 0x90
	s_mul_i32 s1, s8, s1
	s_mul_hi_u32 s2, s8, s0
	s_add_i32 s1, s2, s1
	s_mul_i32 s2, s9, s0
	s_add_i32 s1, s1, s2
	s_mul_i32 s0, s8, s0
	s_lshl_b64 s[10:11], s[0:1], 3
	s_waitcnt lgkmcnt(0)
	s_add_u32 s54, s30, s10
	s_addc_u32 s55, s31, s11
	s_load_dwordx2 s[0:1], s[54:55], 0x10
	s_waitcnt lgkmcnt(0)
	v_cvt_i32_f64_e32 v1, s[0:1]
	v_cmp_ge_i32_e32 vcc, s7, v1
	s_cbranch_vccnz .LBB123_181
; %bb.8:
	s_load_dwordx4 s[44:47], s[4:5], 0x0
	s_load_dwordx8 s[36:43], s[4:5], 0x10
                                        ; implicit-def: $vgpr36 : SGPR spill to VGPR lane
	v_lshlrev_b32_e32 v16, 3, v0
	v_mul_lo_u32 v21, v0, s23
	v_mul_lo_u32 v23, v0, s51
	s_waitcnt lgkmcnt(0)
	s_mul_i32 s0, s8, s44
	s_lshl_b32 s0, s0, 1
	s_ashr_i32 s1, s0, 31
	s_lshl_b64 s[0:1], s[0:1], 2
	s_mul_i32 s2, s8, s39
	s_mul_hi_u32 s3, s8, s38
	s_add_u32 s6, s28, s0
	s_addc_u32 s20, s29, s1
	s_add_i32 s0, s3, s2
	s_mul_i32 s1, s9, s38
	s_add_i32 s1, s0, s1
	s_mul_i32 s0, s8, s38
	s_lshl_b64 s[0:1], s[0:1], 3
	s_add_u32 s22, s36, s0
	s_addc_u32 s33, s37, s1
	s_mul_i32 s0, s8, s43
	s_mul_hi_u32 s1, s8, s42
	s_add_i32 s0, s1, s0
	s_mul_i32 s1, s9, s42
	s_add_i32 s1, s0, s1
	s_mul_i32 s0, s8, s42
	v_writelane_b32 v36, s0, 0
	s_lshl_b64 s[12:13], s[0:1], 3
	s_add_u32 s44, s40, s12
	s_addc_u32 s50, s41, s13
	s_cmp_lg_u32 s45, 0
	s_cselect_b64 s[36:37], -1, 0
	s_or_b32 s8, s47, s46
	s_cmp_eq_u32 s8, 0
	v_writelane_b32 v36, s1, 1
	s_cselect_b64 s[8:9], -1, 0
	v_writelane_b32 v36, s8, 2
	s_cmp_lg_u64 s[48:49], 0
	v_writelane_b32 v36, s9, 3
	s_cselect_b64 s[8:9], -1, 0
	s_and_b64 s[82:83], s[36:37], s[8:9]
	s_add_u32 s92, s4, 0xc8
	s_addc_u32 s93, s5, 0
	s_cmp_lg_u64 s[34:35], 0
	s_cselect_b64 s[8:9], -1, 0
	s_cmp_lg_u32 s46, 0
	s_cselect_b64 s[14:15], -1, 0
	s_and_b64 s[94:95], s[14:15], s[8:9]
	v_cmp_gt_i32_e64 s[8:9], s46, v0
	v_writelane_b32 v36, s8, 4
	s_cmp_lg_u64 s[52:53], 0
	v_writelane_b32 v36, s9, 5
	s_cselect_b64 s[8:9], -1, 0
	s_cmp_lg_u32 s47, 0
	s_cselect_b64 s[14:15], -1, 0
	s_and_b64 s[8:9], s[14:15], s[8:9]
	s_add_u32 s18, s30, s10
	v_writelane_b32 v36, s8, 6
	s_addc_u32 s19, s31, s11
	v_writelane_b32 v36, s9, 7
	s_add_u32 s8, s18, 24
	v_writelane_b32 v36, s8, 8
	s_addc_u32 s8, s19, 0
	v_writelane_b32 v36, s8, 9
	v_cmp_gt_i32_e64 s[8:9], s47, v0
	v_writelane_b32 v36, s8, 10
	v_writelane_b32 v36, s9, 11
	s_load_dword s8, s[4:5], 0x78
	s_load_dwordx2 s[14:15], s[4:5], 0x80
	s_add_u32 s10, s40, -8
	s_addc_u32 s11, s41, -1
	s_load_dword s79, s[4:5], 0xb0
	s_load_dword s9, s[4:5], 0xcc
	s_add_u32 s4, s10, s12
	s_waitcnt lgkmcnt(0)
	v_writelane_b32 v36, s14, 12
	v_writelane_b32 v36, s15, 13
	v_writelane_b32 v36, s10, 14
	v_writelane_b32 v36, s4, 15
	v_writelane_b32 v36, s11, 16
	s_addc_u32 s4, s11, s13
	v_mov_b32_e32 v3, s33
	v_add_co_u32_e32 v17, vcc, s22, v16
	v_writelane_b32 v36, s4, 17
	s_add_u32 s4, s22, -8
	v_addc_co_u32_e32 v18, vcc, 0, v3, vcc
	v_writelane_b32 v36, s4, 18
	s_addc_u32 s4, s33, -1
	s_movk_i32 s0, 0x80
	v_mov_b32_e32 v3, s50
	v_add_co_u32_e32 v19, vcc, s44, v16
	v_writelane_b32 v36, s4, 19
	s_add_u32 s4, s18, 40
	s_mov_b32 s40, 0
	v_cmp_gt_u32_e64 s[0:1], s0, v0
	v_cmp_gt_u32_e64 s[2:3], 64, v0
	v_cmp_eq_u32_e64 s[16:17], 0, v0
	v_cmp_gt_i32_e64 s[90:91], s45, v0
	v_mov_b32_e32 v2, 0
	v_addc_co_u32_e32 v20, vcc, 0, v3, vcc
	v_writelane_b32 v36, s4, 20
	v_add_u32_e32 v22, -1, v21
	v_add_u32_e32 v24, -1, v23
	v_mov_b32_e32 v25, 0x260
	v_mov_b32_e32 v26, 1
	s_addc_u32 s4, s19, 0
	s_brev_b32 s41, 8
	v_writelane_b32 v36, s4, 21
	s_branch .LBB123_11
.LBB123_9:                              ;   in Loop: Header=BB123_11 Depth=1
	s_or_b64 exec, exec, s[12:13]
.LBB123_10:                             ;   in Loop: Header=BB123_11 Depth=1
	s_add_i32 s7, s9, s7
	v_cmp_lt_i32_e32 vcc, s7, v1
	s_cbranch_vccz .LBB123_181
.LBB123_11:                             ; =>This Loop Header: Depth=1
                                        ;     Child Loop BB123_15 Depth 2
                                        ;     Child Loop BB123_40 Depth 2
	;; [unrolled: 1-line block ×5, first 2 shown]
                                        ;       Child Loop BB123_164 Depth 3
                                        ;     Child Loop BB123_170 Depth 2
                                        ;       Child Loop BB123_172 Depth 3
                                        ;     Child Loop BB123_178 Depth 2
                                        ;       Child Loop BB123_180 Depth 3
	s_lshl_b32 s4, s7, 2
	s_ashr_i32 s5, s4, 31
	s_lshl_b64 s[4:5], s[4:5], 2
	s_add_u32 s12, s6, s4
	s_addc_u32 s13, s20, s5
	global_load_dwordx2 v[4:5], v2, s[12:13] offset:4
	s_waitcnt vmcnt(0)
	v_readfirstlane_b32 s66, v4
	v_readfirstlane_b32 s64, v5
	s_cmp_le_i32 s64, s66
	s_cbranch_scc1 .LBB123_10
; %bb.12:                               ;   in Loop: Header=BB123_11 Depth=1
	global_load_dword v3, v2, s[12:13] offset:12
	s_waitcnt vmcnt(0)
	v_cmp_le_i32_e32 vcc, s8, v3
	s_cbranch_vccnz .LBB123_10
; %bb.13:                               ;   in Loop: Header=BB123_11 Depth=1
	s_sub_i32 s62, s64, s66
	s_ashr_i32 s67, s66, 31
	v_cmp_ge_i32_e32 vcc, s62, v0
	v_pk_mov_b32 v[4:5], 0, 0
	s_and_saveexec_b64 s[4:5], vcc
	s_cbranch_execz .LBB123_17
; %bb.14:                               ;   in Loop: Header=BB123_11 Depth=1
	s_lshl_b64 s[10:11], s[66:67], 3
	v_mov_b32_e32 v3, s11
	v_add_co_u32_e32 v6, vcc, s10, v17
	v_addc_co_u32_e32 v7, vcc, v18, v3, vcc
	s_mov_b64 s[14:15], 0
	v_pk_mov_b32 v[4:5], 0, 0
	v_mov_b32_e32 v3, v0
.LBB123_15:                             ;   Parent Loop BB123_11 Depth=1
                                        ; =>  This Inner Loop Header: Depth=2
	global_load_dwordx2 v[8:9], v[6:7], off
	v_add_co_u32_e32 v6, vcc, 0x800, v6
	v_add_u32_e32 v3, 0x100, v3
	v_addc_co_u32_e32 v7, vcc, 0, v7, vcc
	v_cmp_lt_i32_e32 vcc, s62, v3
	s_or_b64 s[14:15], vcc, s[14:15]
	s_waitcnt vmcnt(0)
	v_and_b32_e32 v10, 0x7fffffff, v9
	v_cmp_lt_f64_e64 vcc, v[4:5], |v[8:9]|
	v_cndmask_b32_e32 v5, v5, v10, vcc
	v_cndmask_b32_e32 v4, v4, v8, vcc
	s_andn2_b64 exec, exec, s[14:15]
	s_cbranch_execnz .LBB123_15
; %bb.16:                               ;   in Loop: Header=BB123_11 Depth=1
	s_or_b64 exec, exec, s[14:15]
.LBB123_17:                             ;   in Loop: Header=BB123_11 Depth=1
	s_or_b64 exec, exec, s[4:5]
	s_cmp_lt_i32 s62, 1
	ds_write_b64 v16, v[4:5]
	s_waitcnt lgkmcnt(0)
	s_barrier
	s_cbranch_scc1 .LBB123_38
; %bb.18:                               ;   in Loop: Header=BB123_11 Depth=1
	s_and_saveexec_b64 s[4:5], s[0:1]
	s_cbranch_execz .LBB123_22
; %bb.19:                               ;   in Loop: Header=BB123_11 Depth=1
	ds_read_b64 v[6:7], v16 offset:1024
	s_waitcnt lgkmcnt(0)
	v_cmp_lt_f64_e32 vcc, v[4:5], v[6:7]
	s_and_saveexec_b64 s[14:15], vcc
	s_cbranch_execz .LBB123_21
; %bb.20:                               ;   in Loop: Header=BB123_11 Depth=1
	v_pk_mov_b32 v[4:5], v[6:7], v[6:7] op_sel:[0,1]
	ds_write_b64 v16, v[6:7]
.LBB123_21:                             ;   in Loop: Header=BB123_11 Depth=1
	s_or_b64 exec, exec, s[14:15]
.LBB123_22:                             ;   in Loop: Header=BB123_11 Depth=1
	s_or_b64 exec, exec, s[4:5]
	s_waitcnt lgkmcnt(0)
	s_barrier
	s_and_saveexec_b64 s[4:5], s[2:3]
	s_cbranch_execz .LBB123_37
; %bb.23:                               ;   in Loop: Header=BB123_11 Depth=1
	ds_read_b64 v[6:7], v16 offset:512
	s_waitcnt lgkmcnt(0)
	v_cmp_lt_f64_e32 vcc, v[4:5], v[6:7]
	s_and_saveexec_b64 s[14:15], vcc
	s_cbranch_execz .LBB123_25
; %bb.24:                               ;   in Loop: Header=BB123_11 Depth=1
	v_pk_mov_b32 v[4:5], v[6:7], v[6:7] op_sel:[0,1]
	ds_write_b64 v16, v[6:7]
.LBB123_25:                             ;   in Loop: Header=BB123_11 Depth=1
	s_or_b64 exec, exec, s[14:15]
	ds_read_b64 v[6:7], v16 offset:256
	s_waitcnt lgkmcnt(0)
	v_cmp_lt_f64_e32 vcc, v[4:5], v[6:7]
	s_and_saveexec_b64 s[14:15], vcc
	s_cbranch_execz .LBB123_27
; %bb.26:                               ;   in Loop: Header=BB123_11 Depth=1
	v_pk_mov_b32 v[4:5], v[6:7], v[6:7] op_sel:[0,1]
	ds_write_b64 v16, v[6:7]
.LBB123_27:                             ;   in Loop: Header=BB123_11 Depth=1
	s_or_b64 exec, exec, s[14:15]
	ds_read_b64 v[6:7], v16 offset:128
	s_waitcnt lgkmcnt(0)
	v_cmp_lt_f64_e32 vcc, v[4:5], v[6:7]
	s_and_saveexec_b64 s[14:15], vcc
	s_cbranch_execz .LBB123_29
; %bb.28:                               ;   in Loop: Header=BB123_11 Depth=1
	v_pk_mov_b32 v[4:5], v[6:7], v[6:7] op_sel:[0,1]
	ds_write_b64 v16, v[6:7]
.LBB123_29:                             ;   in Loop: Header=BB123_11 Depth=1
	s_or_b64 exec, exec, s[14:15]
	ds_read_b64 v[6:7], v16 offset:64
	s_waitcnt lgkmcnt(0)
	v_cmp_lt_f64_e32 vcc, v[4:5], v[6:7]
	s_and_saveexec_b64 s[14:15], vcc
	s_cbranch_execz .LBB123_31
; %bb.30:                               ;   in Loop: Header=BB123_11 Depth=1
	v_pk_mov_b32 v[4:5], v[6:7], v[6:7] op_sel:[0,1]
	ds_write_b64 v16, v[6:7]
.LBB123_31:                             ;   in Loop: Header=BB123_11 Depth=1
	s_or_b64 exec, exec, s[14:15]
	ds_read_b64 v[6:7], v16 offset:32
	s_waitcnt lgkmcnt(0)
	v_cmp_lt_f64_e32 vcc, v[4:5], v[6:7]
	s_and_saveexec_b64 s[14:15], vcc
	s_cbranch_execz .LBB123_33
; %bb.32:                               ;   in Loop: Header=BB123_11 Depth=1
	v_pk_mov_b32 v[4:5], v[6:7], v[6:7] op_sel:[0,1]
	ds_write_b64 v16, v[6:7]
.LBB123_33:                             ;   in Loop: Header=BB123_11 Depth=1
	s_or_b64 exec, exec, s[14:15]
	ds_read_b64 v[6:7], v16 offset:16
	s_waitcnt lgkmcnt(0)
	v_cmp_lt_f64_e32 vcc, v[4:5], v[6:7]
	s_and_saveexec_b64 s[14:15], vcc
	s_cbranch_execz .LBB123_35
; %bb.34:                               ;   in Loop: Header=BB123_11 Depth=1
	v_pk_mov_b32 v[4:5], v[6:7], v[6:7] op_sel:[0,1]
	ds_write_b64 v16, v[6:7]
.LBB123_35:                             ;   in Loop: Header=BB123_11 Depth=1
	s_or_b64 exec, exec, s[14:15]
	ds_read_b64 v[6:7], v16 offset:8
	s_waitcnt lgkmcnt(0)
	v_cmp_lt_f64_e32 vcc, v[4:5], v[6:7]
	s_and_b64 exec, exec, vcc
	s_cbranch_execz .LBB123_37
; %bb.36:                               ;   in Loop: Header=BB123_11 Depth=1
	ds_write_b64 v16, v[6:7]
.LBB123_37:                             ;   in Loop: Header=BB123_11 Depth=1
	s_or_b64 exec, exec, s[4:5]
.LBB123_38:                             ;   in Loop: Header=BB123_11 Depth=1
	v_cmp_gt_i32_e32 vcc, s62, v0
	v_pk_mov_b32 v[4:5], 0, 0
	s_waitcnt lgkmcnt(0)
	s_barrier
	s_and_saveexec_b64 s[4:5], vcc
	s_cbranch_execz .LBB123_42
; %bb.39:                               ;   in Loop: Header=BB123_11 Depth=1
	s_lshl_b64 s[10:11], s[66:67], 3
	v_mov_b32_e32 v3, s11
	v_add_co_u32_e32 v6, vcc, s10, v19
	v_addc_co_u32_e32 v7, vcc, v20, v3, vcc
	s_mov_b64 s[14:15], 0
	v_pk_mov_b32 v[4:5], 0, 0
	v_mov_b32_e32 v3, v0
.LBB123_40:                             ;   Parent Loop BB123_11 Depth=1
                                        ; =>  This Inner Loop Header: Depth=2
	global_load_dwordx2 v[8:9], v[6:7], off
	v_add_co_u32_e32 v6, vcc, 0x800, v6
	v_add_u32_e32 v3, 0x100, v3
	v_addc_co_u32_e32 v7, vcc, 0, v7, vcc
	v_cmp_le_i32_e32 vcc, s62, v3
	s_or_b64 s[14:15], vcc, s[14:15]
	s_waitcnt vmcnt(0)
	v_and_b32_e32 v10, 0x7fffffff, v9
	v_cmp_lt_f64_e64 vcc, v[4:5], |v[8:9]|
	v_cndmask_b32_e32 v5, v5, v10, vcc
	v_cndmask_b32_e32 v4, v4, v8, vcc
	s_andn2_b64 exec, exec, s[14:15]
	s_cbranch_execnz .LBB123_40
; %bb.41:                               ;   in Loop: Header=BB123_11 Depth=1
	s_or_b64 exec, exec, s[14:15]
.LBB123_42:                             ;   in Loop: Header=BB123_11 Depth=1
	s_or_b64 exec, exec, s[4:5]
	s_cmp_lt_i32 s62, 2
	ds_write_b64 v16, v[4:5] offset:8
	s_waitcnt lgkmcnt(0)
	s_barrier
	s_cbranch_scc1 .LBB123_63
; %bb.43:                               ;   in Loop: Header=BB123_11 Depth=1
	s_and_saveexec_b64 s[4:5], s[0:1]
	s_cbranch_execz .LBB123_47
; %bb.44:                               ;   in Loop: Header=BB123_11 Depth=1
	ds_read_b64 v[6:7], v16 offset:1032
	s_waitcnt lgkmcnt(0)
	v_cmp_lt_f64_e32 vcc, v[4:5], v[6:7]
	s_and_saveexec_b64 s[14:15], vcc
	s_cbranch_execz .LBB123_46
; %bb.45:                               ;   in Loop: Header=BB123_11 Depth=1
	v_pk_mov_b32 v[4:5], v[6:7], v[6:7] op_sel:[0,1]
	ds_write_b64 v16, v[6:7] offset:8
.LBB123_46:                             ;   in Loop: Header=BB123_11 Depth=1
	s_or_b64 exec, exec, s[14:15]
.LBB123_47:                             ;   in Loop: Header=BB123_11 Depth=1
	s_or_b64 exec, exec, s[4:5]
	s_waitcnt lgkmcnt(0)
	s_barrier
	s_and_saveexec_b64 s[4:5], s[2:3]
	s_cbranch_execz .LBB123_62
; %bb.48:                               ;   in Loop: Header=BB123_11 Depth=1
	ds_read_b64 v[6:7], v16 offset:520
	s_waitcnt lgkmcnt(0)
	v_cmp_lt_f64_e32 vcc, v[4:5], v[6:7]
	s_and_saveexec_b64 s[14:15], vcc
	s_cbranch_execz .LBB123_50
; %bb.49:                               ;   in Loop: Header=BB123_11 Depth=1
	v_pk_mov_b32 v[4:5], v[6:7], v[6:7] op_sel:[0,1]
	ds_write_b64 v16, v[6:7] offset:8
.LBB123_50:                             ;   in Loop: Header=BB123_11 Depth=1
	s_or_b64 exec, exec, s[14:15]
	ds_read_b64 v[6:7], v16 offset:264
	s_waitcnt lgkmcnt(0)
	v_cmp_lt_f64_e32 vcc, v[4:5], v[6:7]
	s_and_saveexec_b64 s[14:15], vcc
	s_cbranch_execz .LBB123_52
; %bb.51:                               ;   in Loop: Header=BB123_11 Depth=1
	v_pk_mov_b32 v[4:5], v[6:7], v[6:7] op_sel:[0,1]
	ds_write_b64 v16, v[6:7] offset:8
.LBB123_52:                             ;   in Loop: Header=BB123_11 Depth=1
	s_or_b64 exec, exec, s[14:15]
	ds_read_b64 v[6:7], v16 offset:136
	s_waitcnt lgkmcnt(0)
	v_cmp_lt_f64_e32 vcc, v[4:5], v[6:7]
	s_and_saveexec_b64 s[14:15], vcc
	s_cbranch_execz .LBB123_54
; %bb.53:                               ;   in Loop: Header=BB123_11 Depth=1
	v_pk_mov_b32 v[4:5], v[6:7], v[6:7] op_sel:[0,1]
	ds_write_b64 v16, v[6:7] offset:8
.LBB123_54:                             ;   in Loop: Header=BB123_11 Depth=1
	s_or_b64 exec, exec, s[14:15]
	ds_read_b64 v[6:7], v16 offset:72
	s_waitcnt lgkmcnt(0)
	v_cmp_lt_f64_e32 vcc, v[4:5], v[6:7]
	s_and_saveexec_b64 s[14:15], vcc
	s_cbranch_execz .LBB123_56
; %bb.55:                               ;   in Loop: Header=BB123_11 Depth=1
	v_pk_mov_b32 v[4:5], v[6:7], v[6:7] op_sel:[0,1]
	ds_write_b64 v16, v[6:7] offset:8
.LBB123_56:                             ;   in Loop: Header=BB123_11 Depth=1
	s_or_b64 exec, exec, s[14:15]
	ds_read_b64 v[6:7], v16 offset:40
	s_waitcnt lgkmcnt(0)
	v_cmp_lt_f64_e32 vcc, v[4:5], v[6:7]
	s_and_saveexec_b64 s[14:15], vcc
	s_cbranch_execz .LBB123_58
; %bb.57:                               ;   in Loop: Header=BB123_11 Depth=1
	v_pk_mov_b32 v[4:5], v[6:7], v[6:7] op_sel:[0,1]
	ds_write_b64 v16, v[6:7] offset:8
.LBB123_58:                             ;   in Loop: Header=BB123_11 Depth=1
	s_or_b64 exec, exec, s[14:15]
	ds_read_b64 v[6:7], v16 offset:24
	s_waitcnt lgkmcnt(0)
	v_cmp_lt_f64_e32 vcc, v[4:5], v[6:7]
	s_and_saveexec_b64 s[14:15], vcc
	s_cbranch_execz .LBB123_60
; %bb.59:                               ;   in Loop: Header=BB123_11 Depth=1
	v_pk_mov_b32 v[4:5], v[6:7], v[6:7] op_sel:[0,1]
	ds_write_b64 v16, v[6:7] offset:8
.LBB123_60:                             ;   in Loop: Header=BB123_11 Depth=1
	s_or_b64 exec, exec, s[14:15]
	ds_read_b64 v[6:7], v16 offset:16
	s_waitcnt lgkmcnt(0)
	v_cmp_lt_f64_e32 vcc, v[4:5], v[6:7]
	s_and_b64 exec, exec, vcc
	s_cbranch_execz .LBB123_62
; %bb.61:                               ;   in Loop: Header=BB123_11 Depth=1
	ds_write_b64 v16, v[6:7] offset:8
.LBB123_62:                             ;   in Loop: Header=BB123_11 Depth=1
	s_or_b64 exec, exec, s[4:5]
.LBB123_63:                             ;   in Loop: Header=BB123_11 Depth=1
	s_lshl_b64 s[68:69], s[66:67], 3
	s_add_u32 s10, s44, s68
	s_addc_u32 s11, s50, s69
	s_add_u32 s14, s22, s68
	s_addc_u32 s15, s33, s69
	s_waitcnt lgkmcnt(0)
	s_barrier
	s_and_saveexec_b64 s[70:71], s[16:17]
	s_cbranch_execz .LBB123_78
; %bb.64:                               ;   in Loop: Header=BB123_11 Depth=1
	s_ashr_i32 s65, s64, 31
	s_lshl_b64 s[4:5], s[64:65], 3
	s_add_u32 s4, s22, s4
	s_addc_u32 s5, s33, s5
	global_load_dwordx2 v[4:5], v2, s[14:15]
	global_load_dwordx2 v[6:7], v2, s[4:5]
	s_ashr_i32 s63, s62, 31
	s_lshl_b64 s[4:5], s[62:63], 3
	s_add_u32 s21, s14, s4
	s_addc_u32 s30, s15, s5
	s_waitcnt vmcnt(0)
	v_cmp_ge_f64_e64 s[4:5], |v[4:5]|, |v[6:7]|
	s_and_b64 s[28:29], s[4:5], exec
	s_cselect_b32 s29, s15, s30
	s_cselect_b32 s28, s14, s21
	global_load_dwordx2 v[8:9], v2, s[28:29]
	v_cndmask_b32_e64 v3, 0, 1, s[4:5]
	s_cmp_lt_i32 s62, 1
	ds_write_b32 v2, v3 offset:2064
	s_waitcnt vmcnt(0)
	v_and_b32_e32 v9, 0x7fffffff, v9
	s_cbranch_scc1 .LBB123_71
; %bb.65:                               ;   in Loop: Header=BB123_11 Depth=1
	s_not_b32 s21, s66
	s_add_i32 s21, s21, s64
	s_mov_b32 s28, 0
	v_pk_mov_b32 v[10:11], v[8:9], v[8:9] op_sel:[0,1]
	s_branch .LBB123_67
.LBB123_66:                             ;   in Loop: Header=BB123_67 Depth=2
	s_add_i32 s28, s28, 1
	s_and_b64 s[38:39], s[4:5], exec
	s_cselect_b32 s38, s28, s21
	s_ashr_i32 s39, s38, 31
	s_lshl_b64 s[38:39], s[38:39], 3
	s_add_u32 s38, s14, s38
	s_addc_u32 s39, s15, s39
	global_load_dwordx2 v[14:15], v2, s[38:39]
	v_add_f64 v[12:13], v[10:11], |v[12:13]|
	v_div_scale_f64 v[28:29], s[38:39], v[12:13], v[12:13], v[10:11]
	v_rcp_f64_e32 v[30:31], v[28:29]
	v_div_scale_f64 v[32:33], vcc, v[10:11], v[12:13], v[10:11]
	s_add_i32 s21, s21, -1
	v_fma_f64 v[34:35], -v[28:29], v[30:31], 1.0
	v_fmac_f64_e32 v[30:31], v[30:31], v[34:35]
	v_fma_f64 v[34:35], -v[28:29], v[30:31], 1.0
	v_fmac_f64_e32 v[30:31], v[30:31], v[34:35]
	v_mul_f64 v[34:35], v[32:33], v[30:31]
	v_fma_f64 v[28:29], -v[28:29], v[34:35], v[32:33]
	v_div_fmas_f64 v[28:29], v[28:29], v[30:31], v[34:35]
	v_div_fixup_f64 v[10:11], v[28:29], v[12:13], v[10:11]
	s_cmp_eq_u32 s21, -1
	s_mov_b64 s[38:39], 0
	s_cselect_b64 s[72:73], -1, 0
	s_waitcnt vmcnt(0)
	v_mul_f64 v[10:11], v[10:11], |v[14:15]|
	v_cmp_lt_f64_e32 vcc, v[10:11], v[8:9]
	v_cndmask_b32_e32 v9, v9, v11, vcc
	v_cndmask_b32_e32 v8, v8, v10, vcc
	s_andn2_b64 vcc, exec, s[72:73]
	s_cbranch_vccz .LBB123_69
.LBB123_67:                             ;   Parent Loop BB123_11 Depth=1
                                        ; =>  This Inner Loop Header: Depth=2
	s_and_b64 s[30:31], s[4:5], exec
	s_cselect_b32 s30, s28, s21
	s_ashr_i32 s31, s30, 31
	s_lshl_b64 s[30:31], s[30:31], 3
	s_add_u32 s30, s10, s30
	s_addc_u32 s31, s11, s31
	global_load_dwordx2 v[12:13], v2, s[30:31]
	v_mul_f64 v[14:15], v[10:11], s[24:25]
	s_waitcnt vmcnt(0)
	v_cmp_nle_f64_e64 s[38:39], |v[12:13]|, v[14:15]
	s_and_b64 vcc, exec, s[38:39]
	s_cbranch_vccnz .LBB123_66
; %bb.68:                               ;   in Loop: Header=BB123_11 Depth=1
	s_mov_b64 s[38:39], -1
                                        ; implicit-def: $vgpr10_vgpr11
                                        ; implicit-def: $sgpr21
                                        ; implicit-def: $sgpr28
                                        ; implicit-def: $vgpr8_vgpr9
.LBB123_69:                             ;   in Loop: Header=BB123_11 Depth=1
	s_and_b64 vcc, exec, s[38:39]
	s_cbranch_vccz .LBB123_71
; %bb.70:                               ;   in Loop: Header=BB123_11 Depth=1
	v_mov_b32_e32 v8, 0
	v_mov_b32_e32 v3, v2
	;; [unrolled: 1-line block ×3, first 2 shown]
	global_store_dwordx2 v2, v[2:3], s[30:31]
.LBB123_71:                             ;   in Loop: Header=BB123_11 Depth=1
	v_cmp_nle_f64_e32 vcc, 0, v[8:9]
	v_and_b32_e32 v3, 0x7fffffff, v5
	v_and_b32_e32 v5, 0x7fffffff, v7
	ds_write_b64 v2, v[8:9] offset:2056
	ds_write_b8 v2, v2 offset:2068
	s_cbranch_vccnz .LBB123_78
; %bb.72:                               ;   in Loop: Header=BB123_11 Depth=1
	ds_read_b128 v[10:13], v2
	s_mov_b64 s[30:31], -1
	s_waitcnt lgkmcnt(0)
	v_cmp_lt_f64_e32 vcc, v[10:11], v[12:13]
	v_cndmask_b32_e32 v11, v11, v13, vcc
	v_cndmask_b32_e32 v10, v10, v12, vcc
	v_div_scale_f64 v[12:13], s[28:29], v[10:11], v[10:11], v[8:9]
	v_rcp_f64_e32 v[14:15], v[12:13]
	v_div_scale_f64 v[28:29], vcc, v[8:9], v[10:11], v[8:9]
	v_fma_f64 v[30:31], -v[12:13], v[14:15], 1.0
	v_fmac_f64_e32 v[14:15], v[14:15], v[30:31]
	v_fma_f64 v[30:31], -v[12:13], v[14:15], 1.0
	v_fmac_f64_e32 v[14:15], v[14:15], v[30:31]
	v_mul_f64 v[30:31], v[28:29], v[14:15]
	v_fma_f64 v[12:13], -v[12:13], v[30:31], v[28:29]
	v_div_fmas_f64 v[12:13], v[12:13], v[14:15], v[30:31]
	v_div_fixup_f64 v[10:11], v[12:13], v[10:11], v[8:9]
	v_cmp_ge_f64_e32 vcc, s[26:27], v[10:11]
	s_cbranch_vccnz .LBB123_75
; %bb.73:                               ;   in Loop: Header=BB123_11 Depth=1
	v_cndmask_b32_e64 v5, v5, v3, s[4:5]
	v_cndmask_b32_e64 v4, v6, v4, s[4:5]
	v_cmp_lt_f64_e32 vcc, 0, v[4:5]
	s_mov_b64 s[30:31], 0
	s_cbranch_vccz .LBB123_75
; %bb.74:                               ;   in Loop: Header=BB123_11 Depth=1
	v_mul_f64 v[6:7], v[8:9], v[8:9]
	v_div_scale_f64 v[8:9], s[4:5], v[4:5], v[4:5], v[6:7]
	v_rcp_f64_e32 v[10:11], v[8:9]
	v_div_scale_f64 v[12:13], vcc, v[6:7], v[4:5], v[6:7]
	v_fma_f64 v[14:15], -v[8:9], v[10:11], 1.0
	v_fmac_f64_e32 v[10:11], v[10:11], v[14:15]
	v_fma_f64 v[14:15], -v[8:9], v[10:11], 1.0
	v_fmac_f64_e32 v[10:11], v[10:11], v[14:15]
	v_mul_f64 v[14:15], v[12:13], v[10:11]
	v_fma_f64 v[8:9], -v[8:9], v[14:15], v[12:13]
	v_div_fmas_f64 v[8:9], v[8:9], v[10:11], v[14:15]
	v_div_fixup_f64 v[6:7], v[8:9], v[4:5], v[6:7]
	v_div_scale_f64 v[8:9], s[4:5], v[4:5], v[4:5], v[6:7]
	v_rcp_f64_e32 v[10:11], v[8:9]
	v_readlane_b32 s4, v36, 12
	v_readlane_b32 s5, v36, 13
	v_fma_f64 v[12:13], -v[8:9], v[10:11], 1.0
	v_fmac_f64_e32 v[10:11], v[10:11], v[12:13]
	v_fma_f64 v[12:13], -v[8:9], v[10:11], 1.0
	v_fmac_f64_e32 v[10:11], v[10:11], v[12:13]
	v_div_scale_f64 v[12:13], vcc, v[6:7], v[4:5], v[6:7]
	v_mul_f64 v[14:15], v[12:13], v[10:11]
	v_fma_f64 v[8:9], -v[8:9], v[14:15], v[12:13]
	s_nop 1
	v_div_fmas_f64 v[8:9], v[8:9], v[10:11], v[14:15]
	v_div_fixup_f64 v[4:5], v[8:9], v[4:5], v[6:7]
	v_cmp_gt_f64_e64 s[30:31], s[4:5], v[4:5]
.LBB123_75:                             ;   in Loop: Header=BB123_11 Depth=1
	s_and_b64 vcc, exec, s[30:31]
	s_cbranch_vccz .LBB123_77
; %bb.76:                               ;   in Loop: Header=BB123_11 Depth=1
	v_mov_b32_e32 v3, v2
	ds_write_b64 v2, v[2:3] offset:2056
.LBB123_77:                             ;   in Loop: Header=BB123_11 Depth=1
	ds_write_b8 v2, v26 offset:2068
.LBB123_78:                             ;   in Loop: Header=BB123_11 Depth=1
	s_or_b64 exec, exec, s[70:71]
	s_waitcnt lgkmcnt(0)
	s_barrier
	ds_read_u8 v3, v2 offset:2068
	s_mov_b64 s[4:5], -1
	s_waitcnt lgkmcnt(0)
	v_cmp_eq_u32_e32 vcc, 0, v3
	s_cbranch_vccz .LBB123_82
; %bb.79:                               ;   in Loop: Header=BB123_11 Depth=1
	s_and_saveexec_b64 s[4:5], s[16:17]
	s_cbranch_execz .LBB123_81
; %bb.80:                               ;   in Loop: Header=BB123_11 Depth=1
	global_store_dword v2, v2, s[12:13]
.LBB123_81:                             ;   in Loop: Header=BB123_11 Depth=1
	s_or_b64 exec, exec, s[4:5]
	s_mov_b64 s[4:5], 0
.LBB123_82:                             ;   in Loop: Header=BB123_11 Depth=1
	s_andn2_b64 vcc, exec, s[4:5]
	s_cbranch_vccnz .LBB123_10
; %bb.83:                               ;   in Loop: Header=BB123_11 Depth=1
	ds_read_b32 v3, v2 offset:2064
	s_waitcnt lgkmcnt(0)
	v_readfirstlane_b32 s70, v3
	s_and_saveexec_b64 s[4:5], s[16:17]
	s_cbranch_execz .LBB123_85
; %bb.84:                               ;   in Loop: Header=BB123_11 Depth=1
	s_cmp_eq_u32 s70, 0
	s_cselect_b32 s21, -1, 1
	v_mov_b32_e32 v3, s21
	global_store_dword v2, v3, s[12:13]
.LBB123_85:                             ;   in Loop: Header=BB123_11 Depth=1
	s_or_b64 exec, exec, s[4:5]
	s_add_i32 s80, s62, 1
	s_mul_i32 s72, s66, s79
	s_sub_i32 s78, 1, s70
	s_ashr_i32 s73, s72, 31
	s_sub_i32 s74, s70, s78
	s_lshl_b32 s12, s80, 1
	s_and_b64 s[4:5], s[36:37], exec
	s_cselect_b32 s63, s12, 0
	s_and_saveexec_b64 s[4:5], s[16:17]
	s_cbranch_execz .LBB123_158
; %bb.86:                               ;   in Loop: Header=BB123_11 Depth=1
	s_cmp_lg_u32 s70, 0
	s_cselect_b64 s[76:77], -1, 0
	s_and_b64 s[12:13], s[76:77], exec
	s_cselect_b32 s86, 0, s62
	s_ashr_i32 s87, s86, 31
	s_lshl_b64 s[12:13], s[86:87], 3
	s_add_u32 s14, s14, s12
	s_addc_u32 s15, s15, s13
	global_load_dwordx2 v[4:5], v2, s[14:15]
	v_pk_mov_b32 v[6:7], 0, 0
	s_waitcnt vmcnt(0)
	v_cmp_eq_f64_e32 vcc, 0, v[4:5]
	s_cbranch_vccnz .LBB123_88
; %bb.87:                               ;   in Loop: Header=BB123_11 Depth=1
	ds_read_b64 v[6:7], v2 offset:2056
	v_cmp_lt_f64_e32 vcc, 0, v[4:5]
	v_cndmask_b32_e64 v3, 0, 1, vcc
	v_cmp_gt_f64_e32 vcc, 0, v[4:5]
	v_subbrev_co_u32_e32 v3, vcc, 0, v3, vcc
	s_waitcnt lgkmcnt(0)
	v_div_scale_f64 v[8:9], s[12:13], v[4:5], v[4:5], v[6:7]
	v_rcp_f64_e32 v[10:11], v[8:9]
	v_add_f64 v[12:13], |v[4:5]|, -v[6:7]
	v_cvt_f64_i32_e32 v[14:15], v3
	v_fma_f64 v[28:29], -v[8:9], v[10:11], 1.0
	v_fmac_f64_e32 v[10:11], v[10:11], v[28:29]
	v_fma_f64 v[28:29], -v[8:9], v[10:11], 1.0
	v_fmac_f64_e32 v[10:11], v[10:11], v[28:29]
	v_div_scale_f64 v[28:29], vcc, v[6:7], v[4:5], v[6:7]
	v_mul_f64 v[30:31], v[28:29], v[10:11]
	v_fma_f64 v[8:9], -v[8:9], v[30:31], v[28:29]
	s_nop 1
	v_div_fmas_f64 v[8:9], v[8:9], v[10:11], v[30:31]
	v_div_fixup_f64 v[6:7], v[8:9], v[4:5], v[6:7]
	v_add_f64 v[6:7], v[6:7], v[14:15]
	v_mul_f64 v[6:7], v[12:13], v[6:7]
.LBB123_88:                             ;   in Loop: Header=BB123_11 Depth=1
	s_cmp_gt_i32 s62, 0
	s_cbranch_scc1 .LBB123_90
; %bb.89:                               ;   in Loop: Header=BB123_11 Depth=1
	s_add_i32 s65, s62, -1
	s_cbranch_execz .LBB123_91
	s_branch .LBB123_157
.LBB123_90:                             ;   in Loop: Header=BB123_11 Depth=1
                                        ; implicit-def: $sgpr65
.LBB123_91:                             ;   in Loop: Header=BB123_11 Depth=1
	s_ashr_i32 s71, s70, 31
	s_sub_u32 s29, 0, s70
	v_writelane_b32 v36, s82, 22
	s_subb_u32 s30, 0, s71
	v_writelane_b32 v36, s83, 23
	s_add_u32 s82, s86, s70
	s_addc_u32 s83, s87, s71
	s_lshl_b64 s[84:85], s[82:83], 3
	s_add_u32 s88, s10, s84
	s_addc_u32 s89, s11, s85
	global_load_dwordx2 v[8:9], v2, s[88:89] offset:-8
	v_writelane_b32 v36, s74, 24
	v_writelane_b32 v36, s75, 25
	;; [unrolled: 1-line block ×4, first 2 shown]
	v_pk_mov_b32 v[10:11], 0, 0
	v_writelane_b32 v36, s92, 28
	v_writelane_b32 v36, s93, 29
	s_waitcnt vmcnt(0)
	v_cmp_eq_f64_e32 vcc, 0, v[8:9]
	s_cbranch_vccnz .LBB123_95
; %bb.92:                               ;   in Loop: Header=BB123_11 Depth=1
	v_cmp_eq_f64_e32 vcc, 0, v[6:7]
	v_pk_mov_b32 v[12:13], 0, 0
	s_cbranch_vccnz .LBB123_96
; %bb.93:                               ;   in Loop: Header=BB123_11 Depth=1
	v_cmp_gt_f64_e64 s[12:13], |v[8:9]|, |v[6:7]|
	s_and_b64 vcc, exec, s[12:13]
	s_cbranch_vccnz .LBB123_97
; %bb.94:                               ;   in Loop: Header=BB123_11 Depth=1
	v_div_scale_f64 v[10:11], s[12:13], v[6:7], v[6:7], -v[8:9]
	v_rcp_f64_e32 v[12:13], v[10:11]
	v_div_scale_f64 v[14:15], vcc, -v[8:9], v[6:7], -v[8:9]
	v_fma_f64 v[28:29], -v[10:11], v[12:13], 1.0
	v_fmac_f64_e32 v[12:13], v[12:13], v[28:29]
	v_fma_f64 v[28:29], -v[10:11], v[12:13], 1.0
	v_fmac_f64_e32 v[12:13], v[12:13], v[28:29]
	v_mul_f64 v[28:29], v[14:15], v[12:13]
	v_fma_f64 v[10:11], -v[10:11], v[28:29], v[14:15]
	v_div_fmas_f64 v[10:11], v[10:11], v[12:13], v[28:29]
	v_div_fixup_f64 v[10:11], v[10:11], v[6:7], -v[8:9]
	v_fma_f64 v[12:13], v[10:11], v[10:11], 1.0
	v_cmp_gt_f64_e32 vcc, s[40:41], v[12:13]
	v_cndmask_b32_e64 v3, 0, 1, vcc
	v_lshlrev_b32_e32 v3, 8, v3
	v_ldexp_f64 v[12:13], v[12:13], v3
	v_rsq_f64_e32 v[14:15], v[12:13]
	s_and_b64 s[12:13], vcc, exec
	s_cselect_b32 s12, 0xffffff80, 0
	v_cmp_class_f64_e32 vcc, v[12:13], v25
	v_mul_f64 v[28:29], v[12:13], v[14:15]
	v_mul_f64 v[14:15], v[14:15], 0.5
	v_fma_f64 v[30:31], -v[14:15], v[28:29], 0.5
	v_fmac_f64_e32 v[28:29], v[28:29], v[30:31]
	v_fmac_f64_e32 v[14:15], v[14:15], v[30:31]
	v_fma_f64 v[30:31], -v[28:29], v[28:29], v[12:13]
	v_fmac_f64_e32 v[28:29], v[30:31], v[14:15]
	v_fma_f64 v[30:31], -v[28:29], v[28:29], v[12:13]
	v_fmac_f64_e32 v[28:29], v[30:31], v[14:15]
	v_ldexp_f64 v[14:15], v[28:29], s12
	v_cndmask_b32_e32 v13, v15, v13, vcc
	v_cndmask_b32_e32 v12, v14, v12, vcc
	v_div_scale_f64 v[14:15], s[12:13], v[12:13], v[12:13], 1.0
	v_rcp_f64_e32 v[28:29], v[14:15]
	s_mov_b64 s[12:13], 0
	v_fma_f64 v[30:31], -v[14:15], v[28:29], 1.0
	v_fmac_f64_e32 v[28:29], v[28:29], v[30:31]
	v_fma_f64 v[30:31], -v[14:15], v[28:29], 1.0
	v_fmac_f64_e32 v[28:29], v[28:29], v[30:31]
	v_div_scale_f64 v[30:31], vcc, 1.0, v[12:13], 1.0
	v_mul_f64 v[32:33], v[30:31], v[28:29]
	v_fma_f64 v[14:15], -v[14:15], v[32:33], v[30:31]
	s_nop 1
	v_div_fmas_f64 v[14:15], v[14:15], v[28:29], v[32:33]
	v_div_fixup_f64 v[12:13], v[14:15], v[12:13], 1.0
	v_mul_f64 v[10:11], v[10:11], v[12:13]
	s_branch .LBB123_98
.LBB123_95:                             ;   in Loop: Header=BB123_11 Depth=1
	v_mov_b32_e32 v12, 0
	v_mov_b32_e32 v13, 0x3ff00000
	s_branch .LBB123_100
.LBB123_96:                             ;   in Loop: Header=BB123_11 Depth=1
	v_mov_b32_e32 v10, 0
	v_mov_b32_e32 v11, 0x3ff00000
	s_branch .LBB123_100
.LBB123_97:                             ;   in Loop: Header=BB123_11 Depth=1
	s_mov_b64 s[12:13], -1
                                        ; implicit-def: $vgpr10_vgpr11
                                        ; implicit-def: $vgpr12_vgpr13
.LBB123_98:                             ;   in Loop: Header=BB123_11 Depth=1
	s_andn2_b64 vcc, exec, s[12:13]
	s_cbranch_vccnz .LBB123_100
; %bb.99:                               ;   in Loop: Header=BB123_11 Depth=1
	v_div_scale_f64 v[10:11], s[12:13], v[8:9], v[8:9], -v[6:7]
	v_rcp_f64_e32 v[12:13], v[10:11]
	v_div_scale_f64 v[14:15], vcc, -v[6:7], v[8:9], -v[6:7]
	v_fma_f64 v[28:29], -v[10:11], v[12:13], 1.0
	v_fmac_f64_e32 v[12:13], v[12:13], v[28:29]
	v_fma_f64 v[28:29], -v[10:11], v[12:13], 1.0
	v_fmac_f64_e32 v[12:13], v[12:13], v[28:29]
	v_mul_f64 v[28:29], v[14:15], v[12:13]
	v_fma_f64 v[10:11], -v[10:11], v[28:29], v[14:15]
	v_div_fmas_f64 v[10:11], v[10:11], v[12:13], v[28:29]
	v_div_fixup_f64 v[6:7], v[10:11], v[8:9], -v[6:7]
	v_fma_f64 v[10:11], v[6:7], v[6:7], 1.0
	v_cmp_gt_f64_e32 vcc, s[40:41], v[10:11]
	v_cndmask_b32_e64 v3, 0, 1, vcc
	v_lshlrev_b32_e32 v3, 8, v3
	v_ldexp_f64 v[10:11], v[10:11], v3
	v_rsq_f64_e32 v[12:13], v[10:11]
	s_and_b64 s[12:13], vcc, exec
	s_cselect_b32 s12, 0xffffff80, 0
	v_cmp_class_f64_e32 vcc, v[10:11], v25
	v_mul_f64 v[14:15], v[10:11], v[12:13]
	v_mul_f64 v[12:13], v[12:13], 0.5
	v_fma_f64 v[28:29], -v[12:13], v[14:15], 0.5
	v_fmac_f64_e32 v[14:15], v[14:15], v[28:29]
	v_fmac_f64_e32 v[12:13], v[12:13], v[28:29]
	v_fma_f64 v[28:29], -v[14:15], v[14:15], v[10:11]
	v_fmac_f64_e32 v[14:15], v[28:29], v[12:13]
	v_fma_f64 v[28:29], -v[14:15], v[14:15], v[10:11]
	v_fmac_f64_e32 v[14:15], v[28:29], v[12:13]
	v_ldexp_f64 v[12:13], v[14:15], s12
	v_cndmask_b32_e32 v11, v13, v11, vcc
	v_cndmask_b32_e32 v10, v12, v10, vcc
	v_div_scale_f64 v[12:13], s[12:13], v[10:11], v[10:11], 1.0
	v_rcp_f64_e32 v[14:15], v[12:13]
	v_fma_f64 v[28:29], -v[12:13], v[14:15], 1.0
	v_fmac_f64_e32 v[14:15], v[14:15], v[28:29]
	v_fma_f64 v[28:29], -v[12:13], v[14:15], 1.0
	v_fmac_f64_e32 v[14:15], v[14:15], v[28:29]
	v_div_scale_f64 v[28:29], vcc, 1.0, v[10:11], 1.0
	v_mul_f64 v[30:31], v[28:29], v[14:15]
	v_fma_f64 v[12:13], -v[12:13], v[30:31], v[28:29]
	s_nop 1
	v_div_fmas_f64 v[12:13], v[12:13], v[14:15], v[30:31]
	v_div_fixup_f64 v[10:11], v[12:13], v[10:11], 1.0
	v_mul_f64 v[12:13], v[6:7], v[10:11]
.LBB123_100:                            ;   in Loop: Header=BB123_11 Depth=1
	s_lshl_b64 s[90:91], s[72:73], 3
	s_and_b64 s[38:39], s[36:37], s[76:77]
	s_add_u32 s12, s54, s90
	s_addc_u32 s13, s55, s91
	s_add_u32 s21, s12, 32
	s_addc_u32 s28, s13, 0
	s_sub_u32 s92, s70, s29
	s_subb_u32 s93, s71, s30
	v_mul_f64 v[6:7], v[4:5], v[10:11]
	s_lshl_b64 s[12:13], s[92:93], 3
	v_fmac_f64_e32 v[6:7], v[8:9], v[12:13]
	s_add_u32 s30, s14, s12
	global_store_dwordx2 v2, v[6:7], s[88:89] offset:-8
	s_addc_u32 s31, s15, s13
	global_load_dwordx2 v[14:15], v2, s[30:31] offset:-8
	v_cndmask_b32_e64 v3, 0, 1, s[38:39]
	v_writelane_b32 v36, s94, 30
	v_cmp_ne_u32_e64 s[12:13], 1, v3
	s_andn2_b64 vcc, exec, s[38:39]
	v_writelane_b32 v36, s95, 31
	s_waitcnt vmcnt(0)
	v_mul_f64 v[6:7], v[12:13], v[14:15]
	global_store_dwordx2 v2, v[6:7], s[30:31] offset:-8
	s_cbranch_vccnz .LBB123_102
; %bb.101:                              ;   in Loop: Header=BB123_11 Depth=1
	s_add_u32 s38, s21, s84
	s_addc_u32 s39, s28, s85
	s_ashr_i32 s81, s80, 31
	s_lshl_b64 s[42:43], s[80:81], 3
	s_add_u32 s42, s38, s42
	s_addc_u32 s43, s39, s43
	global_store_dwordx2 v2, v[12:13], s[38:39] offset:-8
	global_store_dwordx2 v2, v[10:11], s[42:43] offset:-8
.LBB123_102:                            ;   in Loop: Header=BB123_11 Depth=1
	s_cmp_lg_u32 s70, 1
	s_cselect_b64 s[38:39], -1, 0
	s_cmp_eq_u32 s70, 1
	v_readlane_b32 s56, v36, 2
	s_cselect_b64 s[42:43], -1, 0
	v_readlane_b32 s57, v36, 3
	s_or_b64 s[94:95], s[56:57], s[42:43]
	s_and_b64 vcc, exec, s[94:95]
	s_cbranch_vccnz .LBB123_104
; %bb.103:                              ;   in Loop: Header=BB123_11 Depth=1
	s_ashr_i32 s29, s63, 31
	s_add_u32 s42, s82, s63
	s_addc_u32 s43, s83, s29
	s_lshl_b64 s[42:43], s[42:43], 3
	s_add_u32 s42, s21, s42
	s_addc_u32 s43, s28, s43
	s_ashr_i32 s81, s80, 31
	s_lshl_b64 s[56:57], s[80:81], 3
	s_add_u32 s56, s42, s56
	s_addc_u32 s57, s43, s57
	global_store_dwordx2 v2, v[12:13], s[42:43] offset:-8
	global_store_dwordx2 v2, v[10:11], s[56:57] offset:-8
.LBB123_104:                            ;   in Loop: Header=BB123_11 Depth=1
	v_mul_f64 v[6:7], v[8:9], v[10:11]
	v_fma_f64 v[6:7], v[4:5], v[12:13], -v[6:7]
	v_mul_f64 v[4:5], v[14:15], -v[10:11]
	v_cmp_eq_f64_e32 vcc, 0, v[4:5]
	v_pk_mov_b32 v[8:9], 0, 0
	s_cbranch_vccnz .LBB123_108
; %bb.105:                              ;   in Loop: Header=BB123_11 Depth=1
	v_cmp_eq_f64_e32 vcc, 0, v[6:7]
	s_cbranch_vccnz .LBB123_109
; %bb.106:                              ;   in Loop: Header=BB123_11 Depth=1
	v_cmp_gt_f64_e64 s[42:43], |v[4:5]|, |v[6:7]|
	s_and_b64 vcc, exec, s[42:43]
	s_cbranch_vccnz .LBB123_110
; %bb.107:                              ;   in Loop: Header=BB123_11 Depth=1
	v_div_scale_f64 v[8:9], s[42:43], v[6:7], v[6:7], -v[4:5]
	v_rcp_f64_e32 v[10:11], v[8:9]
	v_div_scale_f64 v[12:13], vcc, -v[4:5], v[6:7], -v[4:5]
	v_fma_f64 v[14:15], -v[8:9], v[10:11], 1.0
	v_fmac_f64_e32 v[10:11], v[10:11], v[14:15]
	v_fma_f64 v[14:15], -v[8:9], v[10:11], 1.0
	v_fmac_f64_e32 v[10:11], v[10:11], v[14:15]
	v_mul_f64 v[14:15], v[12:13], v[10:11]
	v_fma_f64 v[8:9], -v[8:9], v[14:15], v[12:13]
	v_div_fmas_f64 v[8:9], v[8:9], v[10:11], v[14:15]
	v_div_fixup_f64 v[8:9], v[8:9], v[6:7], -v[4:5]
	v_fma_f64 v[10:11], v[8:9], v[8:9], 1.0
	v_cmp_gt_f64_e32 vcc, s[40:41], v[10:11]
	v_cndmask_b32_e64 v3, 0, 1, vcc
	v_lshlrev_b32_e32 v3, 8, v3
	v_ldexp_f64 v[10:11], v[10:11], v3
	v_rsq_f64_e32 v[12:13], v[10:11]
	s_and_b64 s[42:43], vcc, exec
	s_cselect_b32 s29, 0xffffff80, 0
	v_cmp_class_f64_e32 vcc, v[10:11], v25
	v_mul_f64 v[14:15], v[10:11], v[12:13]
	v_mul_f64 v[12:13], v[12:13], 0.5
	v_fma_f64 v[28:29], -v[12:13], v[14:15], 0.5
	v_fmac_f64_e32 v[14:15], v[14:15], v[28:29]
	v_fmac_f64_e32 v[12:13], v[12:13], v[28:29]
	v_fma_f64 v[28:29], -v[14:15], v[14:15], v[10:11]
	v_fmac_f64_e32 v[14:15], v[28:29], v[12:13]
	v_fma_f64 v[28:29], -v[14:15], v[14:15], v[10:11]
	v_fmac_f64_e32 v[14:15], v[28:29], v[12:13]
	v_ldexp_f64 v[12:13], v[14:15], s29
	v_cndmask_b32_e32 v11, v13, v11, vcc
	v_cndmask_b32_e32 v10, v12, v10, vcc
	v_div_scale_f64 v[12:13], s[42:43], v[10:11], v[10:11], 1.0
	v_rcp_f64_e32 v[14:15], v[12:13]
	v_fma_f64 v[28:29], -v[12:13], v[14:15], 1.0
	v_fmac_f64_e32 v[14:15], v[14:15], v[28:29]
	v_fma_f64 v[28:29], -v[12:13], v[14:15], 1.0
	v_fmac_f64_e32 v[14:15], v[14:15], v[28:29]
	v_div_scale_f64 v[28:29], vcc, 1.0, v[10:11], 1.0
	v_mul_f64 v[30:31], v[28:29], v[14:15]
	v_fma_f64 v[12:13], -v[12:13], v[30:31], v[28:29]
	s_nop 1
	v_div_fmas_f64 v[12:13], v[12:13], v[14:15], v[30:31]
	v_div_fixup_f64 v[10:11], v[12:13], v[10:11], 1.0
	v_mul_f64 v[8:9], v[8:9], v[10:11]
	s_mov_b64 vcc, 0
	s_branch .LBB123_111
.LBB123_108:                            ;   in Loop: Header=BB123_11 Depth=1
	v_mov_b32_e32 v10, 0
	v_mov_b32_e32 v11, 0x3ff00000
	s_branch .LBB123_115
.LBB123_109:                            ;   in Loop: Header=BB123_11 Depth=1
                                        ; implicit-def: $vgpr6_vgpr7
                                        ; implicit-def: $vgpr8_vgpr9
                                        ; implicit-def: $vgpr10_vgpr11
	s_cbranch_execnz .LBB123_114
	s_branch .LBB123_115
.LBB123_110:                            ;   in Loop: Header=BB123_11 Depth=1
	s_mov_b64 vcc, -1
                                        ; implicit-def: $vgpr8_vgpr9
                                        ; implicit-def: $vgpr10_vgpr11
.LBB123_111:                            ;   in Loop: Header=BB123_11 Depth=1
	s_andn2_b64 vcc, exec, vcc
	s_cbranch_vccnz .LBB123_113
; %bb.112:                              ;   in Loop: Header=BB123_11 Depth=1
	v_div_scale_f64 v[8:9], s[42:43], v[4:5], v[4:5], -v[6:7]
	v_rcp_f64_e32 v[10:11], v[8:9]
	v_div_scale_f64 v[12:13], vcc, -v[6:7], v[4:5], -v[6:7]
	v_fma_f64 v[14:15], -v[8:9], v[10:11], 1.0
	v_fmac_f64_e32 v[10:11], v[10:11], v[14:15]
	v_fma_f64 v[14:15], -v[8:9], v[10:11], 1.0
	v_fmac_f64_e32 v[10:11], v[10:11], v[14:15]
	v_mul_f64 v[14:15], v[12:13], v[10:11]
	v_fma_f64 v[8:9], -v[8:9], v[14:15], v[12:13]
	v_div_fmas_f64 v[8:9], v[8:9], v[10:11], v[14:15]
	v_div_fixup_f64 v[10:11], v[8:9], v[4:5], -v[6:7]
	v_fma_f64 v[8:9], v[10:11], v[10:11], 1.0
	v_cmp_gt_f64_e32 vcc, s[40:41], v[8:9]
	v_cndmask_b32_e64 v3, 0, 1, vcc
	v_lshlrev_b32_e32 v3, 8, v3
	v_ldexp_f64 v[8:9], v[8:9], v3
	v_rsq_f64_e32 v[12:13], v[8:9]
	s_and_b64 s[42:43], vcc, exec
	s_cselect_b32 s29, 0xffffff80, 0
	v_cmp_class_f64_e32 vcc, v[8:9], v25
	v_mul_f64 v[14:15], v[8:9], v[12:13]
	v_mul_f64 v[12:13], v[12:13], 0.5
	v_fma_f64 v[28:29], -v[12:13], v[14:15], 0.5
	v_fmac_f64_e32 v[14:15], v[14:15], v[28:29]
	v_fmac_f64_e32 v[12:13], v[12:13], v[28:29]
	v_fma_f64 v[28:29], -v[14:15], v[14:15], v[8:9]
	v_fmac_f64_e32 v[14:15], v[28:29], v[12:13]
	v_fma_f64 v[28:29], -v[14:15], v[14:15], v[8:9]
	v_fmac_f64_e32 v[14:15], v[28:29], v[12:13]
	v_ldexp_f64 v[12:13], v[14:15], s29
	v_cndmask_b32_e32 v9, v13, v9, vcc
	v_cndmask_b32_e32 v8, v12, v8, vcc
	v_div_scale_f64 v[12:13], s[42:43], v[8:9], v[8:9], 1.0
	v_rcp_f64_e32 v[14:15], v[12:13]
	v_fma_f64 v[28:29], -v[12:13], v[14:15], 1.0
	v_fmac_f64_e32 v[14:15], v[14:15], v[28:29]
	v_fma_f64 v[28:29], -v[12:13], v[14:15], 1.0
	v_fmac_f64_e32 v[14:15], v[14:15], v[28:29]
	v_div_scale_f64 v[28:29], vcc, 1.0, v[8:9], 1.0
	v_mul_f64 v[30:31], v[28:29], v[14:15]
	v_fma_f64 v[12:13], -v[12:13], v[30:31], v[28:29]
	s_nop 1
	v_div_fmas_f64 v[12:13], v[12:13], v[14:15], v[30:31]
	v_div_fixup_f64 v[8:9], v[12:13], v[8:9], 1.0
	v_mul_f64 v[10:11], v[10:11], v[8:9]
.LBB123_113:                            ;   in Loop: Header=BB123_11 Depth=1
	v_mul_f64 v[12:13], v[4:5], v[8:9]
	v_fma_f64 v[6:7], v[6:7], v[10:11], -v[12:13]
	s_branch .LBB123_115
.LBB123_114:                            ;   in Loop: Header=BB123_11 Depth=1
	v_mov_b32_e32 v8, 0
	v_xor_b32_e32 v7, 0x80000000, v5
	v_mov_b32_e32 v6, v4
	v_pk_mov_b32 v[10:11], 0, 0
	v_mov_b32_e32 v9, 0x3ff00000
.LBB123_115:                            ;   in Loop: Header=BB123_11 Depth=1
	global_store_dwordx2 v2, v[6:7], s[14:15]
	global_load_dwordx2 v[12:13], v2, s[30:31] offset:-8
	s_nop 0
	global_load_dwordx2 v[6:7], v2, s[88:89] offset:-8
	s_cmp_eq_u32 s80, 2
	s_waitcnt vmcnt(1)
	v_mul_f64 v[14:15], v[10:11], v[12:13]
	s_waitcnt vmcnt(0)
	v_fmac_f64_e32 v[14:15], v[8:9], v[6:7]
	global_store_dwordx2 v2, v[14:15], s[30:31] offset:-8
	s_cbranch_scc1 .LBB123_117
; %bb.116:                              ;   in Loop: Header=BB123_11 Depth=1
	s_ashr_i32 s75, s74, 31
	s_lshl_b64 s[14:15], s[74:75], 3
	s_add_u32 s14, s88, s14
	s_addc_u32 s15, s89, s15
	global_load_dwordx2 v[14:15], v2, s[14:15] offset:-8
	s_waitcnt vmcnt(0)
	v_mul_f64 v[4:5], v[14:15], -v[8:9]
	v_mul_f64 v[14:15], v[10:11], v[14:15]
	global_store_dwordx2 v2, v[14:15], s[14:15] offset:-8
.LBB123_117:                            ;   in Loop: Header=BB123_11 Depth=1
	s_and_b64 s[30:31], s[36:37], s[38:39]
	v_cndmask_b32_e64 v3, 0, 1, s[30:31]
	v_cmp_ne_u32_e64 s[14:15], 1, v3
	s_andn2_b64 vcc, exec, s[30:31]
	s_cbranch_vccnz .LBB123_119
; %bb.118:                              ;   in Loop: Header=BB123_11 Depth=1
	s_add_u32 s30, s21, s84
	s_addc_u32 s31, s28, s85
	s_ashr_i32 s81, s80, 31
	s_lshl_b64 s[38:39], s[80:81], 3
	s_add_u32 s38, s30, s38
	s_addc_u32 s39, s31, s39
	global_store_dwordx2 v2, v[10:11], s[30:31] offset:-8
	global_store_dwordx2 v2, v[8:9], s[38:39] offset:-8
.LBB123_119:                            ;   in Loop: Header=BB123_11 Depth=1
	v_readlane_b32 s38, v36, 2
	s_xor_b64 s[30:31], s[76:77], -1
	v_readlane_b32 s39, v36, 3
	s_or_b64 s[30:31], s[38:39], s[30:31]
	s_and_b64 vcc, exec, s[30:31]
	s_cbranch_vccnz .LBB123_121
; %bb.120:                              ;   in Loop: Header=BB123_11 Depth=1
	s_ashr_i32 s29, s63, 31
	s_add_u32 s38, s82, s63
	s_addc_u32 s39, s83, s29
	s_lshl_b64 s[38:39], s[38:39], 3
	s_add_u32 s38, s21, s38
	s_addc_u32 s39, s28, s39
	s_ashr_i32 s81, s80, 31
	s_lshl_b64 s[28:29], s[80:81], 3
	s_add_u32 s28, s38, s28
	s_addc_u32 s29, s39, s29
	global_store_dwordx2 v2, v[10:11], s[38:39] offset:-8
	global_store_dwordx2 v2, v[8:9], s[28:29] offset:-8
.LBB123_121:                            ;   in Loop: Header=BB123_11 Depth=1
	v_mul_f64 v[8:9], v[8:9], v[12:13]
	v_fma_f64 v[6:7], v[10:11], v[6:7], -v[8:9]
	s_cmp_eq_u32 s62, 1
	s_mov_b32 s65, 0
	s_cbranch_scc1 .LBB123_154
; %bb.122:                              ;   in Loop: Header=BB123_11 Depth=1
	s_xor_b64 s[82:83], s[94:95], -1
	s_xor_b64 s[84:85], s[30:31], -1
	s_add_i32 s30, s86, s74
	s_add_i32 s65, s62, -1
	s_sub_i32 s28, s86, s78
	s_ashr_i32 s21, s63, 31
	s_ashr_i32 s81, s80, 31
	s_add_u32 s31, s92, s63
	s_addc_u32 s21, s93, s21
	s_ashr_i32 s29, s28, 31
	s_add_u32 s38, s31, s28
	s_addc_u32 s39, s21, s29
	s_lshl_b64 s[38:39], s[38:39], 3
	s_add_u32 s21, s38, s90
	s_addc_u32 s31, s39, s91
	s_lshl_b64 s[38:39], s[80:81], 3
	v_writelane_b32 v36, s79, 32
	s_add_u32 s42, s21, s38
	s_addc_u32 s43, s31, s39
	v_readlane_b32 s58, v36, 8
	s_add_u32 s75, s58, s42
	v_readlane_b32 s59, v36, 9
	s_addc_u32 s92, s59, s43
	s_lshl_b32 s42, s70, 1
	s_add_i32 s42, s42, -2
	s_ashr_i32 s43, s42, 31
	s_lshl_b64 s[80:81], s[42:43], 3
	s_or_b32 s80, s80, 8
	s_add_u32 s94, s58, s21
	s_addc_u32 s95, s59, s31
	s_lshl_b64 s[42:43], s[70:71], 4
	s_add_u32 s21, s42, s90
	s_addc_u32 s31, s43, s91
	s_lshl_b64 s[56:57], s[28:29], 3
	s_add_u32 s21, s21, s56
	s_addc_u32 s31, s31, s57
	s_add_u32 s38, s21, s38
	s_addc_u32 s39, s31, s39
	s_add_u32 s71, s58, s38
	s_addc_u32 s90, s59, s39
	s_add_u32 s91, s58, s21
	s_addc_u32 s21, s59, s31
	v_readlane_b32 s58, v36, 0
	v_readlane_b32 s59, v36, 1
	s_add_u32 s39, s58, s66
	s_addc_u32 s58, s59, s67
	s_add_u32 s28, s39, s28
	s_addc_u32 s29, s58, s29
	s_mul_i32 s38, s70, 24
	s_lshl_b64 s[28:29], s[28:29], 3
	s_mul_hi_i32 s31, s70, 24
	s_add_u32 s38, s38, s28
	s_addc_u32 s31, s31, s29
	s_ashr_i32 s79, s78, 31
	s_lshl_b64 s[28:29], s[78:79], 3
	s_sub_u32 s28, s38, s28
	s_subb_u32 s29, s31, s29
	v_readlane_b32 s31, v36, 14
	s_add_u32 s67, s31, s28
	v_readlane_b32 s28, v36, 16
	s_addc_u32 s28, s28, s29
	s_add_u32 s38, s42, s68
	s_addc_u32 s39, s43, s69
	s_add_u32 s29, s38, s56
	s_addc_u32 s31, s39, s57
	v_readlane_b32 s42, v36, 15
	s_add_u32 s29, s42, s29
	v_readlane_b32 s42, v36, 17
	s_addc_u32 s42, s42, s31
	s_add_u32 s31, s68, s56
	s_addc_u32 s56, s69, s57
	s_add_u32 s43, s44, s31
	s_addc_u32 s58, s50, s56
	s_ashr_i32 s31, s30, 31
	s_lshl_b64 s[30:31], s[30:31], 3
	s_add_u32 s38, s38, s30
	s_addc_u32 s39, s39, s31
	v_readlane_b32 s56, v36, 18
	s_add_u32 s59, s56, s38
	v_readlane_b32 s38, v36, 19
	s_addc_u32 s60, s38, s39
	s_add_u32 s30, s68, s30
	s_addc_u32 s31, s69, s31
	s_add_u32 s61, s22, s30
	s_mov_b32 s93, 1
	s_addc_u32 s56, s33, s31
	s_mov_b64 s[78:79], 0
	s_branch .LBB123_124
.LBB123_123:                            ;   in Loop: Header=BB123_124 Depth=2
	s_add_i32 s93, s93, 1
	s_add_u32 s78, s78, s80
	v_mul_f64 v[10:11], v[10:11], v[12:13]
	s_addc_u32 s79, s79, s81
	s_cmp_eq_u32 s62, s93
	v_fma_f64 v[6:7], v[8:9], v[6:7], -v[10:11]
	s_cbranch_scc1 .LBB123_155
.LBB123_124:                            ;   Parent Loop BB123_11 Depth=1
                                        ; =>  This Inner Loop Header: Depth=2
	v_cmp_eq_f64_e32 vcc, 0, v[4:5]
	v_pk_mov_b32 v[8:9], 0, 0
	s_cbranch_vccnz .LBB123_128
; %bb.125:                              ;   in Loop: Header=BB123_124 Depth=2
	v_cmp_neq_f64_e32 vcc, 0, v[6:7]
	s_cbranch_vccz .LBB123_129
; %bb.126:                              ;   in Loop: Header=BB123_124 Depth=2
	v_cmp_ngt_f64_e64 s[30:31], |v[4:5]|, |v[6:7]|
	s_and_b64 vcc, exec, s[30:31]
	s_cbranch_vccz .LBB123_130
; %bb.127:                              ;   in Loop: Header=BB123_124 Depth=2
	v_div_scale_f64 v[8:9], s[30:31], v[6:7], v[6:7], -v[4:5]
	v_rcp_f64_e32 v[10:11], v[8:9]
	v_div_scale_f64 v[12:13], vcc, -v[4:5], v[6:7], -v[4:5]
	v_fma_f64 v[14:15], -v[8:9], v[10:11], 1.0
	v_fmac_f64_e32 v[10:11], v[10:11], v[14:15]
	v_fma_f64 v[14:15], -v[8:9], v[10:11], 1.0
	v_fmac_f64_e32 v[10:11], v[10:11], v[14:15]
	v_mul_f64 v[14:15], v[12:13], v[10:11]
	v_fma_f64 v[8:9], -v[8:9], v[14:15], v[12:13]
	v_div_fmas_f64 v[8:9], v[8:9], v[10:11], v[14:15]
	v_div_fixup_f64 v[8:9], v[8:9], v[6:7], -v[4:5]
	v_fma_f64 v[10:11], v[8:9], v[8:9], 1.0
	v_cmp_gt_f64_e32 vcc, s[40:41], v[10:11]
	v_cndmask_b32_e64 v3, 0, 1, vcc
	v_lshlrev_b32_e32 v3, 8, v3
	v_ldexp_f64 v[10:11], v[10:11], v3
	v_rsq_f64_e32 v[12:13], v[10:11]
	s_and_b64 s[30:31], vcc, exec
	s_cselect_b32 s30, 0xffffff80, 0
	v_cmp_class_f64_e32 vcc, v[10:11], v25
	v_mul_f64 v[14:15], v[10:11], v[12:13]
	v_mul_f64 v[12:13], v[12:13], 0.5
	v_fma_f64 v[28:29], -v[12:13], v[14:15], 0.5
	v_fmac_f64_e32 v[14:15], v[14:15], v[28:29]
	v_fmac_f64_e32 v[12:13], v[12:13], v[28:29]
	v_fma_f64 v[28:29], -v[14:15], v[14:15], v[10:11]
	v_fmac_f64_e32 v[14:15], v[28:29], v[12:13]
	v_fma_f64 v[28:29], -v[14:15], v[14:15], v[10:11]
	v_fmac_f64_e32 v[14:15], v[28:29], v[12:13]
	v_ldexp_f64 v[12:13], v[14:15], s30
	v_cndmask_b32_e32 v11, v13, v11, vcc
	v_cndmask_b32_e32 v10, v12, v10, vcc
	v_div_scale_f64 v[12:13], s[30:31], v[10:11], v[10:11], 1.0
	v_rcp_f64_e32 v[14:15], v[12:13]
	v_fma_f64 v[28:29], -v[12:13], v[14:15], 1.0
	v_fmac_f64_e32 v[14:15], v[14:15], v[28:29]
	v_fma_f64 v[28:29], -v[12:13], v[14:15], 1.0
	v_fmac_f64_e32 v[14:15], v[14:15], v[28:29]
	v_div_scale_f64 v[28:29], vcc, 1.0, v[10:11], 1.0
	v_mul_f64 v[30:31], v[28:29], v[14:15]
	v_fma_f64 v[12:13], -v[12:13], v[30:31], v[28:29]
	s_nop 1
	v_div_fmas_f64 v[12:13], v[12:13], v[14:15], v[30:31]
	v_div_fixup_f64 v[10:11], v[12:13], v[10:11], 1.0
	v_mul_f64 v[8:9], v[8:9], v[10:11]
	s_cbranch_execz .LBB123_131
	s_branch .LBB123_132
.LBB123_128:                            ;   in Loop: Header=BB123_124 Depth=2
	v_mov_b32_e32 v10, 0
	v_mov_b32_e32 v11, 0x3ff00000
	s_branch .LBB123_134
.LBB123_129:                            ;   in Loop: Header=BB123_124 Depth=2
                                        ; implicit-def: $vgpr6_vgpr7
                                        ; implicit-def: $vgpr8_vgpr9
                                        ; implicit-def: $vgpr10_vgpr11
	s_cbranch_execnz .LBB123_133
	s_branch .LBB123_134
.LBB123_130:                            ;   in Loop: Header=BB123_124 Depth=2
                                        ; implicit-def: $vgpr8_vgpr9
                                        ; implicit-def: $vgpr10_vgpr11
.LBB123_131:                            ;   in Loop: Header=BB123_124 Depth=2
	v_div_scale_f64 v[8:9], s[30:31], v[4:5], v[4:5], -v[6:7]
	v_rcp_f64_e32 v[10:11], v[8:9]
	v_div_scale_f64 v[12:13], vcc, -v[6:7], v[4:5], -v[6:7]
	v_fma_f64 v[14:15], -v[8:9], v[10:11], 1.0
	v_fmac_f64_e32 v[10:11], v[10:11], v[14:15]
	v_fma_f64 v[14:15], -v[8:9], v[10:11], 1.0
	v_fmac_f64_e32 v[10:11], v[10:11], v[14:15]
	v_mul_f64 v[14:15], v[12:13], v[10:11]
	v_fma_f64 v[8:9], -v[8:9], v[14:15], v[12:13]
	v_div_fmas_f64 v[8:9], v[8:9], v[10:11], v[14:15]
	v_div_fixup_f64 v[10:11], v[8:9], v[4:5], -v[6:7]
	v_fma_f64 v[8:9], v[10:11], v[10:11], 1.0
	v_cmp_gt_f64_e32 vcc, s[40:41], v[8:9]
	v_cndmask_b32_e64 v3, 0, 1, vcc
	v_lshlrev_b32_e32 v3, 8, v3
	v_ldexp_f64 v[8:9], v[8:9], v3
	v_rsq_f64_e32 v[12:13], v[8:9]
	s_and_b64 s[30:31], vcc, exec
	s_cselect_b32 s30, 0xffffff80, 0
	v_cmp_class_f64_e32 vcc, v[8:9], v25
	v_mul_f64 v[14:15], v[8:9], v[12:13]
	v_mul_f64 v[12:13], v[12:13], 0.5
	v_fma_f64 v[28:29], -v[12:13], v[14:15], 0.5
	v_fmac_f64_e32 v[14:15], v[14:15], v[28:29]
	v_fmac_f64_e32 v[12:13], v[12:13], v[28:29]
	v_fma_f64 v[28:29], -v[14:15], v[14:15], v[8:9]
	v_fmac_f64_e32 v[14:15], v[28:29], v[12:13]
	v_fma_f64 v[28:29], -v[14:15], v[14:15], v[8:9]
	v_fmac_f64_e32 v[14:15], v[28:29], v[12:13]
	v_ldexp_f64 v[12:13], v[14:15], s30
	v_cndmask_b32_e32 v9, v13, v9, vcc
	v_cndmask_b32_e32 v8, v12, v8, vcc
	v_div_scale_f64 v[12:13], s[30:31], v[8:9], v[8:9], 1.0
	v_rcp_f64_e32 v[14:15], v[12:13]
	v_fma_f64 v[28:29], -v[12:13], v[14:15], 1.0
	v_fmac_f64_e32 v[14:15], v[14:15], v[28:29]
	v_fma_f64 v[28:29], -v[12:13], v[14:15], 1.0
	v_fmac_f64_e32 v[14:15], v[14:15], v[28:29]
	v_div_scale_f64 v[28:29], vcc, 1.0, v[8:9], 1.0
	v_mul_f64 v[30:31], v[28:29], v[14:15]
	v_fma_f64 v[12:13], -v[12:13], v[30:31], v[28:29]
	s_nop 1
	v_div_fmas_f64 v[12:13], v[12:13], v[14:15], v[30:31]
	v_div_fixup_f64 v[8:9], v[12:13], v[8:9], 1.0
	v_mul_f64 v[10:11], v[10:11], v[8:9]
.LBB123_132:                            ;   in Loop: Header=BB123_124 Depth=2
	v_mul_f64 v[12:13], v[4:5], v[8:9]
	v_fma_f64 v[6:7], v[6:7], v[10:11], -v[12:13]
	s_branch .LBB123_134
.LBB123_133:                            ;   in Loop: Header=BB123_124 Depth=2
	v_xor_b32_e32 v5, 0x80000000, v5
	v_mov_b32_e32 v8, 0
	v_pk_mov_b32 v[10:11], 0, 0
	v_mov_b32_e32 v9, 0x3ff00000
	v_pk_mov_b32 v[6:7], v[4:5], v[4:5] op_sel:[0,1]
.LBB123_134:                            ;   in Loop: Header=BB123_124 Depth=2
	s_add_u32 s30, s43, s78
	s_addc_u32 s31, s58, s79
	global_store_dwordx2 v2, v[6:7], s[30:31]
	s_add_u32 s30, s61, s78
	s_addc_u32 s31, s56, s79
	s_add_u32 s38, s29, s78
	s_addc_u32 s39, s42, s79
	global_load_dwordx2 v[6:7], v2, s[38:39]
	global_load_dwordx2 v[4:5], v2, s[30:31]
	s_add_u32 s86, s59, s78
	s_addc_u32 s87, s60, s79
	s_and_b64 vcc, exec, s[12:13]
	s_waitcnt vmcnt(1)
	v_mul_f64 v[12:13], v[10:11], v[6:7]
	s_waitcnt vmcnt(0)
	v_fmac_f64_e32 v[12:13], v[8:9], v[4:5]
	global_store_dwordx2 v2, v[12:13], s[38:39]
	global_load_dwordx2 v[12:13], v2, s[86:87]
	s_waitcnt vmcnt(0)
	v_mul_f64 v[14:15], v[10:11], v[12:13]
	global_store_dwordx2 v2, v[14:15], s[86:87]
	s_cbranch_vccnz .LBB123_136
; %bb.135:                              ;   in Loop: Header=BB123_124 Depth=2
	s_add_u32 s88, s91, s78
	s_addc_u32 s89, s21, s79
	s_add_u32 vcc_lo, s71, s78
	s_addc_u32 vcc_hi, s90, s79
	global_store_dwordx2 v2, v[10:11], s[88:89]
	global_store_dwordx2 v2, v[8:9], vcc
.LBB123_136:                            ;   in Loop: Header=BB123_124 Depth=2
	s_andn2_b64 vcc, exec, s[82:83]
	s_cbranch_vccnz .LBB123_138
; %bb.137:                              ;   in Loop: Header=BB123_124 Depth=2
	s_add_u32 s88, s94, s78
	s_addc_u32 s89, s95, s79
	s_add_u32 vcc_lo, s75, s78
	s_addc_u32 vcc_hi, s92, s79
	global_store_dwordx2 v2, v[10:11], s[88:89]
	global_store_dwordx2 v2, v[8:9], vcc
.LBB123_138:                            ;   in Loop: Header=BB123_124 Depth=2
	v_mul_f64 v[6:7], v[8:9], v[6:7]
	v_fma_f64 v[6:7], v[10:11], v[4:5], -v[6:7]
	v_mul_f64 v[4:5], v[12:13], -v[8:9]
	v_cmp_eq_f64_e32 vcc, 0, v[4:5]
	v_pk_mov_b32 v[10:11], 0, 0
	s_cbranch_vccnz .LBB123_142
; %bb.139:                              ;   in Loop: Header=BB123_124 Depth=2
	v_cmp_neq_f64_e32 vcc, 0, v[6:7]
	s_cbranch_vccz .LBB123_143
; %bb.140:                              ;   in Loop: Header=BB123_124 Depth=2
	v_cmp_ngt_f64_e64 s[88:89], |v[4:5]|, |v[6:7]|
	s_and_b64 vcc, exec, s[88:89]
	s_cbranch_vccz .LBB123_144
; %bb.141:                              ;   in Loop: Header=BB123_124 Depth=2
	v_div_scale_f64 v[8:9], s[88:89], v[6:7], v[6:7], -v[4:5]
	v_rcp_f64_e32 v[10:11], v[8:9]
	v_div_scale_f64 v[12:13], vcc, -v[4:5], v[6:7], -v[4:5]
	v_fma_f64 v[14:15], -v[8:9], v[10:11], 1.0
	v_fmac_f64_e32 v[10:11], v[10:11], v[14:15]
	v_fma_f64 v[14:15], -v[8:9], v[10:11], 1.0
	v_fmac_f64_e32 v[10:11], v[10:11], v[14:15]
	v_mul_f64 v[14:15], v[12:13], v[10:11]
	v_fma_f64 v[8:9], -v[8:9], v[14:15], v[12:13]
	v_div_fmas_f64 v[8:9], v[8:9], v[10:11], v[14:15]
	v_div_fixup_f64 v[10:11], v[8:9], v[6:7], -v[4:5]
	v_fma_f64 v[8:9], v[10:11], v[10:11], 1.0
	v_cmp_gt_f64_e32 vcc, s[40:41], v[8:9]
	v_cndmask_b32_e64 v3, 0, 1, vcc
	v_lshlrev_b32_e32 v3, 8, v3
	v_ldexp_f64 v[8:9], v[8:9], v3
	v_rsq_f64_e32 v[12:13], v[8:9]
	s_and_b64 s[88:89], vcc, exec
	s_cselect_b32 s57, 0xffffff80, 0
	v_cmp_class_f64_e32 vcc, v[8:9], v25
	v_mul_f64 v[14:15], v[8:9], v[12:13]
	v_mul_f64 v[12:13], v[12:13], 0.5
	v_fma_f64 v[28:29], -v[12:13], v[14:15], 0.5
	v_fmac_f64_e32 v[14:15], v[14:15], v[28:29]
	v_fmac_f64_e32 v[12:13], v[12:13], v[28:29]
	v_fma_f64 v[28:29], -v[14:15], v[14:15], v[8:9]
	v_fmac_f64_e32 v[14:15], v[28:29], v[12:13]
	v_fma_f64 v[28:29], -v[14:15], v[14:15], v[8:9]
	v_fmac_f64_e32 v[14:15], v[28:29], v[12:13]
	v_ldexp_f64 v[12:13], v[14:15], s57
	v_cndmask_b32_e32 v9, v13, v9, vcc
	v_cndmask_b32_e32 v8, v12, v8, vcc
	v_div_scale_f64 v[12:13], s[88:89], v[8:9], v[8:9], 1.0
	v_rcp_f64_e32 v[14:15], v[12:13]
	v_fma_f64 v[28:29], -v[12:13], v[14:15], 1.0
	v_fmac_f64_e32 v[14:15], v[14:15], v[28:29]
	v_fma_f64 v[28:29], -v[12:13], v[14:15], 1.0
	v_fmac_f64_e32 v[14:15], v[14:15], v[28:29]
	v_div_scale_f64 v[28:29], vcc, 1.0, v[8:9], 1.0
	v_mul_f64 v[30:31], v[28:29], v[14:15]
	v_fma_f64 v[12:13], -v[12:13], v[30:31], v[28:29]
	s_nop 1
	v_div_fmas_f64 v[12:13], v[12:13], v[14:15], v[30:31]
	v_div_fixup_f64 v[8:9], v[12:13], v[8:9], 1.0
	v_mul_f64 v[10:11], v[10:11], v[8:9]
	s_cbranch_execz .LBB123_145
	s_branch .LBB123_146
.LBB123_142:                            ;   in Loop: Header=BB123_124 Depth=2
	v_mov_b32_e32 v8, 0
	v_mov_b32_e32 v9, 0x3ff00000
	s_branch .LBB123_148
.LBB123_143:                            ;   in Loop: Header=BB123_124 Depth=2
                                        ; implicit-def: $vgpr6_vgpr7
                                        ; implicit-def: $vgpr10_vgpr11
                                        ; implicit-def: $vgpr8_vgpr9
	s_cbranch_execnz .LBB123_147
	s_branch .LBB123_148
.LBB123_144:                            ;   in Loop: Header=BB123_124 Depth=2
                                        ; implicit-def: $vgpr10_vgpr11
                                        ; implicit-def: $vgpr8_vgpr9
.LBB123_145:                            ;   in Loop: Header=BB123_124 Depth=2
	v_div_scale_f64 v[8:9], s[88:89], v[4:5], v[4:5], -v[6:7]
	v_rcp_f64_e32 v[10:11], v[8:9]
	v_div_scale_f64 v[12:13], vcc, -v[6:7], v[4:5], -v[6:7]
	v_fma_f64 v[14:15], -v[8:9], v[10:11], 1.0
	v_fmac_f64_e32 v[10:11], v[10:11], v[14:15]
	v_fma_f64 v[14:15], -v[8:9], v[10:11], 1.0
	v_fmac_f64_e32 v[10:11], v[10:11], v[14:15]
	v_mul_f64 v[14:15], v[12:13], v[10:11]
	v_fma_f64 v[8:9], -v[8:9], v[14:15], v[12:13]
	v_div_fmas_f64 v[8:9], v[8:9], v[10:11], v[14:15]
	v_div_fixup_f64 v[8:9], v[8:9], v[4:5], -v[6:7]
	v_fma_f64 v[10:11], v[8:9], v[8:9], 1.0
	v_cmp_gt_f64_e32 vcc, s[40:41], v[10:11]
	v_cndmask_b32_e64 v3, 0, 1, vcc
	v_lshlrev_b32_e32 v3, 8, v3
	v_ldexp_f64 v[10:11], v[10:11], v3
	v_rsq_f64_e32 v[12:13], v[10:11]
	s_and_b64 s[88:89], vcc, exec
	s_cselect_b32 s57, 0xffffff80, 0
	v_cmp_class_f64_e32 vcc, v[10:11], v25
	v_mul_f64 v[14:15], v[10:11], v[12:13]
	v_mul_f64 v[12:13], v[12:13], 0.5
	v_fma_f64 v[28:29], -v[12:13], v[14:15], 0.5
	v_fmac_f64_e32 v[14:15], v[14:15], v[28:29]
	v_fmac_f64_e32 v[12:13], v[12:13], v[28:29]
	v_fma_f64 v[28:29], -v[14:15], v[14:15], v[10:11]
	v_fmac_f64_e32 v[14:15], v[28:29], v[12:13]
	v_fma_f64 v[28:29], -v[14:15], v[14:15], v[10:11]
	v_fmac_f64_e32 v[14:15], v[28:29], v[12:13]
	v_ldexp_f64 v[12:13], v[14:15], s57
	v_cndmask_b32_e32 v11, v13, v11, vcc
	v_cndmask_b32_e32 v10, v12, v10, vcc
	v_div_scale_f64 v[12:13], s[88:89], v[10:11], v[10:11], 1.0
	v_rcp_f64_e32 v[14:15], v[12:13]
	v_fma_f64 v[28:29], -v[12:13], v[14:15], 1.0
	v_fmac_f64_e32 v[14:15], v[14:15], v[28:29]
	v_fma_f64 v[28:29], -v[12:13], v[14:15], 1.0
	v_fmac_f64_e32 v[14:15], v[14:15], v[28:29]
	v_div_scale_f64 v[28:29], vcc, 1.0, v[10:11], 1.0
	v_mul_f64 v[30:31], v[28:29], v[14:15]
	v_fma_f64 v[12:13], -v[12:13], v[30:31], v[28:29]
	s_nop 1
	v_div_fmas_f64 v[12:13], v[12:13], v[14:15], v[30:31]
	v_div_fixup_f64 v[10:11], v[12:13], v[10:11], 1.0
	v_mul_f64 v[8:9], v[8:9], v[10:11]
.LBB123_146:                            ;   in Loop: Header=BB123_124 Depth=2
	v_mul_f64 v[12:13], v[4:5], v[10:11]
	v_fma_f64 v[6:7], v[6:7], v[8:9], -v[12:13]
	s_branch .LBB123_148
.LBB123_147:                            ;   in Loop: Header=BB123_124 Depth=2
	v_mov_b32_e32 v10, 0
	v_xor_b32_e32 v7, 0x80000000, v5
	v_mov_b32_e32 v6, v4
	v_pk_mov_b32 v[8:9], 0, 0
	v_mov_b32_e32 v11, 0x3ff00000
.LBB123_148:                            ;   in Loop: Header=BB123_124 Depth=2
	global_store_dwordx2 v2, v[6:7], s[30:31]
	global_load_dwordx2 v[12:13], v2, s[86:87]
	s_nop 0
	global_load_dwordx2 v[6:7], v2, s[38:39]
	s_cmp_ge_i32 s93, s65
	s_waitcnt vmcnt(1)
	v_mul_f64 v[14:15], v[8:9], v[12:13]
	s_waitcnt vmcnt(0)
	v_fmac_f64_e32 v[14:15], v[10:11], v[6:7]
	global_store_dwordx2 v2, v[14:15], s[86:87]
	s_cbranch_scc0 .LBB123_151
; %bb.149:                              ;   in Loop: Header=BB123_124 Depth=2
	s_and_b64 vcc, exec, s[14:15]
	s_cbranch_vccz .LBB123_152
.LBB123_150:                            ;   in Loop: Header=BB123_124 Depth=2
	s_andn2_b64 vcc, exec, s[84:85]
	s_cbranch_vccnz .LBB123_123
	s_branch .LBB123_153
.LBB123_151:                            ;   in Loop: Header=BB123_124 Depth=2
	s_add_u32 s30, s67, s78
	s_addc_u32 s31, s28, s79
	global_load_dwordx2 v[14:15], v2, s[30:31]
	s_waitcnt vmcnt(0)
	v_mul_f64 v[4:5], v[14:15], -v[10:11]
	v_mul_f64 v[14:15], v[8:9], v[14:15]
	global_store_dwordx2 v2, v[14:15], s[30:31]
	s_and_b64 vcc, exec, s[14:15]
	s_cbranch_vccnz .LBB123_150
.LBB123_152:                            ;   in Loop: Header=BB123_124 Depth=2
	s_add_u32 s30, s91, s78
	s_addc_u32 s31, s21, s79
	s_add_u32 s38, s71, s78
	s_addc_u32 s39, s90, s79
	global_store_dwordx2 v2, v[8:9], s[30:31]
	global_store_dwordx2 v2, v[10:11], s[38:39]
	s_andn2_b64 vcc, exec, s[84:85]
	s_cbranch_vccnz .LBB123_123
.LBB123_153:                            ;   in Loop: Header=BB123_124 Depth=2
	s_add_u32 s30, s94, s78
	s_addc_u32 s31, s95, s79
	s_add_u32 s38, s75, s78
	s_addc_u32 s39, s92, s79
	global_store_dwordx2 v2, v[8:9], s[30:31]
	global_store_dwordx2 v2, v[10:11], s[38:39]
	s_branch .LBB123_123
.LBB123_154:                            ;   in Loop: Header=BB123_11 Depth=1
	v_readlane_b32 s12, v36, 24
	v_readlane_b32 s13, v36, 25
	;; [unrolled: 1-line block ×3, first 2 shown]
	s_mov_b32 s75, s13
	v_readlane_b32 s83, v36, 23
	s_branch .LBB123_156
.LBB123_155:                            ;   in Loop: Header=BB123_11 Depth=1
	v_readlane_b32 s12, v36, 24
	v_readlane_b32 s13, v36, 25
	;; [unrolled: 1-line block ×3, first 2 shown]
	s_mov_b32 s75, s13
	v_readlane_b32 s83, v36, 23
	v_readlane_b32 s79, v36, 32
.LBB123_156:                            ;   in Loop: Header=BB123_11 Depth=1
	v_readlane_b32 s90, v36, 26
	v_readlane_b32 s92, v36, 28
	;; [unrolled: 1-line block ×6, first 2 shown]
.LBB123_157:                            ;   in Loop: Header=BB123_11 Depth=1
	s_and_b64 s[12:13], s[76:77], exec
	s_cselect_b32 s12, s65, 0
	s_ashr_i32 s13, s12, 31
	s_lshl_b64 s[12:13], s[12:13], 3
	s_add_u32 s10, s10, s12
	s_addc_u32 s11, s11, s13
	global_store_dwordx2 v2, v[6:7], s[10:11]
.LBB123_158:                            ;   in Loop: Header=BB123_11 Depth=1
	s_or_b64 exec, exec, s[4:5]
	s_andn2_b64 vcc, exec, s[82:83]
	s_barrier
	s_cbranch_vccnz .LBB123_166
; %bb.159:                              ;   in Loop: Header=BB123_11 Depth=1
	s_mov_b32 s59, s79
	s_and_saveexec_b64 s[12:13], s[90:91]
	s_cbranch_execz .LBB123_165
; %bb.160:                              ;   in Loop: Header=BB123_11 Depth=1
	s_load_dword s5, s[92:93], 0xc
	s_add_u32 s10, s48, s68
	s_addc_u32 s11, s49, s69
	s_add_i32 s4, s62, -1
	s_cmp_eq_u32 s70, 0
	s_cselect_b32 s21, s62, 0
	s_cselect_b32 s4, s4, 0
	s_cmp_gt_i32 s62, 0
	s_cselect_b64 s[14:15], -1, 0
	s_waitcnt lgkmcnt(0)
	s_and_b32 s28, s5, 0xffff
	s_ashr_i32 s5, s4, 31
	s_lshl_b64 s[4:5], s[4:5], 3
	s_lshl_b64 s[30:31], s[72:73], 3
	s_add_u32 s43, s4, s30
	s_addc_u32 s56, s5, s31
	s_add_u32 s29, s18, s43
	s_addc_u32 s42, s19, s56
	s_lshl_b32 s58, s70, 1
	s_add_i32 s30, s58, -2
	s_ashr_i32 s31, s30, 31
	s_lshl_b64 s[38:39], s[30:31], 3
	s_ashr_i32 s65, s64, 31
	s_or_b32 s38, s38, 8
	s_lshl_b64 s[4:5], s[64:65], 3
	s_add_u32 s4, s43, s4
	s_addc_u32 s5, s56, s5
	s_sub_u32 s4, s4, s68
	s_subb_u32 s5, s5, s69
	v_readlane_b32 s43, v36, 20
	s_add_u32 s43, s43, s4
	v_readlane_b32 s4, v36, 21
	s_addc_u32 s56, s4, s5
	s_add_i32 s58, s58, s21
	v_add_u32_e32 v4, s21, v21
	s_mul_i32 s57, s23, s28
	s_not_b64 s[76:77], s[30:31]
	v_add_u32_e32 v6, s58, v22
	s_or_b32 s30, s30, 1
	s_mov_b64 s[78:79], 0
	v_mov_b32_e32 v3, v0
	s_branch .LBB123_162
.LBB123_161:                            ;   in Loop: Header=BB123_162 Depth=2
	v_lshlrev_b64 v[10:11], 3, v[10:11]
	v_mov_b32_e32 v5, s11
	v_add_co_u32_e32 v10, vcc, s10, v10
	v_addc_co_u32_e32 v11, vcc, v5, v11, vcc
	v_add_u32_e32 v3, s28, v3
	v_cmp_le_i32_e32 vcc, s45, v3
	v_add_u32_e32 v4, s57, v4
	s_or_b64 s[78:79], vcc, s[78:79]
	v_add_u32_e32 v6, s57, v6
	s_waitcnt vmcnt(0) lgkmcnt(0)
	flat_store_dwordx2 v[10:11], v[8:9]
	s_andn2_b64 exec, exec, s[78:79]
	s_cbranch_execz .LBB123_165
.LBB123_162:                            ;   Parent Loop BB123_11 Depth=1
                                        ; =>  This Loop Header: Depth=2
                                        ;       Child Loop BB123_164 Depth 3
	v_mul_lo_u32 v5, v3, s23
	v_add_u32_e32 v10, s21, v5
	v_ashrrev_i32_e32 v11, 31, v10
	v_lshlrev_b64 v[8:9], 3, v[10:11]
	v_mov_b32_e32 v5, s11
	v_add_co_u32_e32 v8, vcc, s10, v8
	v_addc_co_u32_e32 v9, vcc, v5, v9, vcc
	flat_load_dwordx2 v[8:9], v[8:9]
	s_andn2_b64 vcc, exec, s[14:15]
	s_cbranch_vccnz .LBB123_161
; %bb.163:                              ;   in Loop: Header=BB123_162 Depth=2
	v_ashrrev_i32_e32 v5, 31, v4
	v_lshlrev_b64 v[10:11], 3, v[4:5]
	v_mov_b32_e32 v13, s11
	v_add_co_u32_e32 v5, vcc, s10, v10
	v_addc_co_u32_e32 v12, vcc, v13, v11, vcc
	v_ashrrev_i32_e32 v7, 31, v6
	v_mov_b32_e32 v11, s77
	v_add_co_u32_e32 v10, vcc, s76, v6
	v_addc_co_u32_e32 v11, vcc, v11, v7, vcc
	v_lshlrev_b64 v[14:15], 3, v[6:7]
	v_add_co_u32_e32 v7, vcc, s10, v14
	v_addc_co_u32_e32 v13, vcc, v13, v15, vcc
	s_mov_b64 s[80:81], 0
	s_mov_b32 s58, s62
.LBB123_164:                            ;   Parent Loop BB123_11 Depth=1
                                        ;     Parent Loop BB123_162 Depth=2
                                        ; =>    This Inner Loop Header: Depth=3
	s_add_u32 s4, s29, s80
	v_mov_b32_e32 v27, s81
	v_add_co_u32_e32 v14, vcc, s80, v7
	s_addc_u32 s5, s42, s81
	v_addc_co_u32_e32 v15, vcc, v13, v27, vcc
	s_add_u32 s60, s43, s80
	flat_load_dwordx2 v[14:15], v[14:15]
	s_addc_u32 s61, s56, s81
	global_load_dwordx2 v[28:29], v2, s[60:61]
	global_load_dwordx2 v[30:31], v2, s[4:5] offset:32
	v_mov_b32_e32 v34, s31
	v_add_co_u32_e32 v10, vcc, s30, v10
	s_add_i32 s58, s58, -1
	v_add_co_u32_e64 v32, s[4:5], s80, v5
	v_addc_co_u32_e32 v11, vcc, v11, v34, vcc
	s_add_u32 s80, s80, s38
	s_addc_u32 s81, s81, s39
	v_addc_co_u32_e64 v33, s[4:5], v12, v27, s[4:5]
	s_cmp_eq_u32 s58, 0
	s_waitcnt vmcnt(0) lgkmcnt(0)
	v_mul_f64 v[34:35], v[14:15], v[28:29]
	v_fma_f64 v[34:35], v[8:9], v[30:31], -v[34:35]
	v_mul_f64 v[8:9], v[8:9], v[28:29]
	v_fmac_f64_e32 v[8:9], v[14:15], v[30:31]
	flat_store_dwordx2 v[32:33], v[34:35]
	s_cbranch_scc0 .LBB123_164
	s_branch .LBB123_161
.LBB123_165:                            ;   in Loop: Header=BB123_11 Depth=1
	s_or_b64 exec, exec, s[12:13]
	s_mov_b32 s79, s59
.LBB123_166:                            ;   in Loop: Header=BB123_11 Depth=1
	s_andn2_b64 vcc, exec, s[94:95]
	s_cbranch_vccnz .LBB123_174
; %bb.167:                              ;   in Loop: Header=BB123_11 Depth=1
	s_mov_b64 s[4:5], exec
	v_readlane_b32 s10, v36, 4
	v_readlane_b32 s11, v36, 5
	s_and_b64 s[10:11], s[4:5], s[10:11]
	s_mov_b64 exec, s[10:11]
	s_cbranch_execz .LBB123_173
; %bb.168:                              ;   in Loop: Header=BB123_11 Depth=1
	s_mul_i32 s10, s66, s75
	s_ashr_i32 s11, s10, 31
	s_lshl_b64 s[10:11], s[10:11], 3
	s_add_u32 s10, s34, s10
	s_addc_u32 s11, s35, s11
	s_add_i32 s12, s62, -1
	s_load_dword s15, s[92:93], 0xc
	s_cmp_eq_u32 s70, 0
	s_cselect_b32 s12, s12, 0
	s_cselect_b32 s56, s62, 0
	s_add_i32 s14, s12, s63
	s_cmp_gt_i32 s62, 0
	s_cselect_b64 s[12:13], -1, 0
	s_waitcnt lgkmcnt(0)
	s_and_b32 s28, s15, 0xffff
	s_ashr_i32 s15, s14, 31
	s_lshl_b64 s[30:31], s[72:73], 3
	s_lshl_b64 s[14:15], s[14:15], 3
	s_add_u32 s14, s30, s14
	s_addc_u32 s15, s31, s15
	s_add_u32 s14, s18, s14
	s_addc_u32 s15, s19, s15
	s_lshl_b32 s57, s70, 1
	s_add_i32 s30, s57, -2
	s_ashr_i32 s31, s30, 31
	s_lshl_b64 s[30:31], s[30:31], 3
	s_ashr_i32 s65, s64, 31
	s_or_b32 s30, s30, 8
	s_lshl_b64 s[38:39], s[64:65], 3
	s_sub_u32 s29, s38, s68
	s_subb_u32 s38, s39, s69
	s_add_u32 s29, s29, 40
	s_addc_u32 s42, s38, 0
	s_add_i32 s38, s56, s57
	s_add_i32 s38, s38, -1
	s_mul_i32 s21, s56, s75
	s_mul_i32 s38, s75, s38
	v_add_u32_e32 v3, s21, v0
	s_mul_i32 s43, s75, s74
	v_add_u32_e32 v8, s38, v0
	s_mov_b64 s[38:39], 0
	v_mov_b32_e32 v9, v0
	s_branch .LBB123_170
.LBB123_169:                            ;   in Loop: Header=BB123_170 Depth=2
	v_lshlrev_b64 v[6:7], 3, v[6:7]
	v_mov_b32_e32 v10, s11
	v_add_co_u32_e32 v6, vcc, s10, v6
	v_addc_co_u32_e32 v7, vcc, v10, v7, vcc
	v_add_u32_e32 v9, s28, v9
	v_cmp_le_i32_e32 vcc, s46, v9
	v_add_u32_e32 v3, s28, v3
	s_or_b64 s[38:39], vcc, s[38:39]
	v_add_u32_e32 v8, s28, v8
	s_waitcnt vmcnt(0) lgkmcnt(0)
	flat_store_dwordx2 v[6:7], v[4:5]
	s_andn2_b64 exec, exec, s[38:39]
	s_cbranch_execz .LBB123_173
.LBB123_170:                            ;   Parent Loop BB123_11 Depth=1
                                        ; =>  This Loop Header: Depth=2
                                        ;       Child Loop BB123_172 Depth 3
	v_add_u32_e32 v6, s21, v9
	v_ashrrev_i32_e32 v7, 31, v6
	v_lshlrev_b64 v[4:5], 3, v[6:7]
	v_mov_b32_e32 v10, s11
	v_add_co_u32_e32 v4, vcc, s10, v4
	v_addc_co_u32_e32 v5, vcc, v10, v5, vcc
	flat_load_dwordx2 v[4:5], v[4:5]
	s_andn2_b64 vcc, exec, s[12:13]
	s_cbranch_vccnz .LBB123_169
; %bb.171:                              ;   in Loop: Header=BB123_170 Depth=2
	s_mov_b32 s56, 0
	s_mov_b64 s[66:67], s[14:15]
	s_mov_b32 s57, s62
.LBB123_172:                            ;   Parent Loop BB123_11 Depth=1
                                        ;     Parent Loop BB123_170 Depth=2
                                        ; =>    This Inner Loop Header: Depth=3
	v_add_u32_e32 v6, s56, v8
	v_ashrrev_i32_e32 v7, 31, v6
	s_add_u32 s58, s66, s29
	v_lshlrev_b64 v[10:11], 3, v[6:7]
	v_mov_b32_e32 v27, s11
	s_addc_u32 s59, s67, s42
	v_add_co_u32_e32 v10, vcc, s10, v10
	global_load_dwordx2 v[12:13], v2, s[58:59]
	v_addc_co_u32_e32 v11, vcc, v27, v11, vcc
	flat_load_dwordx2 v[10:11], v[10:11]
	s_nop 0
	global_load_dwordx2 v[14:15], v2, s[66:67] offset:32
	v_add_u32_e32 v28, s56, v3
	v_ashrrev_i32_e32 v29, 31, v28
	s_add_i32 s57, s57, -1
	v_lshlrev_b64 v[28:29], 3, v[28:29]
	s_add_u32 s66, s66, s30
	s_addc_u32 s67, s67, s31
	s_add_i32 s56, s56, s43
	v_add_co_u32_e32 v28, vcc, s10, v28
	v_addc_co_u32_e32 v29, vcc, v27, v29, vcc
	s_cmp_eq_u32 s57, 0
	s_waitcnt vmcnt(0) lgkmcnt(0)
	v_mul_f64 v[30:31], v[10:11], v[12:13]
	v_fma_f64 v[30:31], v[4:5], v[14:15], -v[30:31]
	v_mul_f64 v[4:5], v[4:5], v[12:13]
	v_fmac_f64_e32 v[4:5], v[10:11], v[14:15]
	flat_store_dwordx2 v[28:29], v[30:31]
	s_cbranch_scc0 .LBB123_172
	s_branch .LBB123_169
.LBB123_173:                            ;   in Loop: Header=BB123_11 Depth=1
	s_or_b64 exec, exec, s[4:5]
.LBB123_174:                            ;   in Loop: Header=BB123_11 Depth=1
	v_readlane_b32 s4, v36, 6
	v_readlane_b32 s5, v36, 7
	s_andn2_b64 vcc, exec, s[4:5]
	s_cbranch_vccnz .LBB123_10
; %bb.175:                              ;   in Loop: Header=BB123_11 Depth=1
	s_mov_b64 s[12:13], exec
	v_readlane_b32 s4, v36, 10
	v_readlane_b32 s5, v36, 11
	s_and_b64 s[4:5], s[12:13], s[4:5]
	s_mov_b64 exec, s[4:5]
	s_cbranch_execz .LBB123_9
; %bb.176:                              ;   in Loop: Header=BB123_11 Depth=1
	s_add_u32 s10, s52, s68
	s_addc_u32 s11, s53, s69
	s_add_i32 s4, s62, -1
	s_load_dword s5, s[92:93], 0xc
	s_cmp_eq_u32 s70, 0
	s_cselect_b32 s4, s4, 0
	s_cselect_b32 s21, s62, 0
	s_add_i32 s4, s4, s63
	s_cmp_gt_i32 s62, 0
	s_cselect_b64 s[14:15], -1, 0
	s_waitcnt lgkmcnt(0)
	s_and_b32 s28, s5, 0xffff
	s_ashr_i32 s5, s4, 31
	s_lshl_b64 s[30:31], s[72:73], 3
	s_lshl_b64 s[4:5], s[4:5], 3
	s_add_u32 s43, s30, s4
	s_addc_u32 s56, s31, s5
	s_add_u32 s29, s18, s43
	s_addc_u32 s42, s19, s56
	s_lshl_b32 s58, s70, 1
	s_add_i32 s30, s58, -2
	s_ashr_i32 s31, s30, 31
	s_lshl_b64 s[38:39], s[30:31], 3
	s_ashr_i32 s65, s64, 31
	s_or_b32 s38, s38, 8
	s_lshl_b64 s[4:5], s[64:65], 3
	s_add_u32 s4, s43, s4
	s_addc_u32 s5, s56, s5
	s_sub_u32 s4, s4, s68
	s_subb_u32 s5, s5, s69
	v_readlane_b32 s43, v36, 20
	s_add_u32 s43, s43, s4
	v_readlane_b32 s4, v36, 21
	s_addc_u32 s56, s4, s5
	s_add_i32 s58, s58, s21
	v_add_u32_e32 v4, s21, v23
	s_mul_i32 s57, s51, s28
	s_not_b64 s[64:65], s[30:31]
	v_add_u32_e32 v6, s58, v24
	s_or_b32 s30, s30, 1
	s_mov_b64 s[66:67], 0
	v_mov_b32_e32 v3, v0
	s_branch .LBB123_178
.LBB123_177:                            ;   in Loop: Header=BB123_178 Depth=2
	v_lshlrev_b64 v[10:11], 3, v[10:11]
	v_mov_b32_e32 v5, s11
	v_add_co_u32_e32 v10, vcc, s10, v10
	v_addc_co_u32_e32 v11, vcc, v5, v11, vcc
	v_add_u32_e32 v3, s28, v3
	v_cmp_le_i32_e32 vcc, s47, v3
	v_add_u32_e32 v4, s57, v4
	s_or_b64 s[66:67], vcc, s[66:67]
	v_add_u32_e32 v6, s57, v6
	s_waitcnt vmcnt(0) lgkmcnt(0)
	flat_store_dwordx2 v[10:11], v[8:9]
	s_andn2_b64 exec, exec, s[66:67]
	s_cbranch_execz .LBB123_9
.LBB123_178:                            ;   Parent Loop BB123_11 Depth=1
                                        ; =>  This Loop Header: Depth=2
                                        ;       Child Loop BB123_180 Depth 3
	v_mul_lo_u32 v5, v3, s51
	v_add_u32_e32 v10, s21, v5
	v_ashrrev_i32_e32 v11, 31, v10
	v_lshlrev_b64 v[8:9], 3, v[10:11]
	v_mov_b32_e32 v5, s11
	v_add_co_u32_e32 v8, vcc, s10, v8
	v_addc_co_u32_e32 v9, vcc, v5, v9, vcc
	flat_load_dwordx2 v[8:9], v[8:9]
	s_andn2_b64 vcc, exec, s[14:15]
	s_cbranch_vccnz .LBB123_177
; %bb.179:                              ;   in Loop: Header=BB123_178 Depth=2
	v_ashrrev_i32_e32 v5, 31, v4
	v_lshlrev_b64 v[10:11], 3, v[4:5]
	v_mov_b32_e32 v13, s11
	v_add_co_u32_e32 v5, vcc, s10, v10
	v_addc_co_u32_e32 v12, vcc, v13, v11, vcc
	v_ashrrev_i32_e32 v7, 31, v6
	v_mov_b32_e32 v11, s65
	v_add_co_u32_e32 v10, vcc, s64, v6
	v_addc_co_u32_e32 v11, vcc, v11, v7, vcc
	v_lshlrev_b64 v[14:15], 3, v[6:7]
	v_add_co_u32_e32 v7, vcc, s10, v14
	v_addc_co_u32_e32 v13, vcc, v13, v15, vcc
	s_mov_b64 s[68:69], 0
	s_mov_b32 s58, s62
.LBB123_180:                            ;   Parent Loop BB123_11 Depth=1
                                        ;     Parent Loop BB123_178 Depth=2
                                        ; =>    This Inner Loop Header: Depth=3
	s_add_u32 s4, s29, s68
	s_addc_u32 s5, s42, s69
	v_mov_b32_e32 v27, s69
	v_add_co_u32_e32 v14, vcc, s68, v7
	s_add_u32 s60, s43, s68
	v_addc_co_u32_e32 v15, vcc, v13, v27, vcc
	s_addc_u32 s61, s56, s69
	flat_load_dwordx2 v[14:15], v[14:15]
	v_mov_b32_e32 v34, s31
	global_load_dwordx2 v[28:29], v2, s[4:5] offset:32
	global_load_dwordx2 v[30:31], v2, s[60:61]
	v_add_co_u32_e32 v10, vcc, s30, v10
	s_add_i32 s58, s58, -1
	v_add_co_u32_e64 v32, s[4:5], s68, v5
	v_addc_co_u32_e32 v11, vcc, v11, v34, vcc
	s_add_u32 s68, s68, s38
	s_addc_u32 s69, s69, s39
	v_addc_co_u32_e64 v33, s[4:5], v12, v27, s[4:5]
	s_cmp_eq_u32 s58, 0
	s_waitcnt vmcnt(0) lgkmcnt(0)
	v_mul_f64 v[34:35], v[14:15], v[30:31]
	v_fma_f64 v[34:35], v[8:9], v[28:29], -v[34:35]
	v_mul_f64 v[8:9], v[8:9], v[30:31]
	v_fmac_f64_e32 v[8:9], v[14:15], v[28:29]
	flat_store_dwordx2 v[32:33], v[34:35]
	s_cbranch_scc0 .LBB123_180
	s_branch .LBB123_177
.LBB123_181:
	s_endpgm
	.section	.rodata,"a",@progbits
	.p2align	6, 0x0
	.amdhsa_kernel _ZN9rocsolver6v33100L13bdsqr_computeILi256EddPdS2_S2_EEviiiiPT1_lS4_lT2_iilT3_iilT4_iiliS3_S3_S3_S3_PiS4_ilS8_
		.amdhsa_group_segment_fixed_size 2072
		.amdhsa_private_segment_fixed_size 0
		.amdhsa_kernarg_size 456
		.amdhsa_user_sgpr_count 6
		.amdhsa_user_sgpr_private_segment_buffer 1
		.amdhsa_user_sgpr_dispatch_ptr 0
		.amdhsa_user_sgpr_queue_ptr 0
		.amdhsa_user_sgpr_kernarg_segment_ptr 1
		.amdhsa_user_sgpr_dispatch_id 0
		.amdhsa_user_sgpr_flat_scratch_init 0
		.amdhsa_user_sgpr_kernarg_preload_length 0
		.amdhsa_user_sgpr_kernarg_preload_offset 0
		.amdhsa_user_sgpr_private_segment_size 0
		.amdhsa_uses_dynamic_stack 0
		.amdhsa_system_sgpr_private_segment_wavefront_offset 0
		.amdhsa_system_sgpr_workgroup_id_x 1
		.amdhsa_system_sgpr_workgroup_id_y 1
		.amdhsa_system_sgpr_workgroup_id_z 1
		.amdhsa_system_sgpr_workgroup_info 0
		.amdhsa_system_vgpr_workitem_id 0
		.amdhsa_next_free_vgpr 37
		.amdhsa_next_free_sgpr 96
		.amdhsa_accum_offset 40
		.amdhsa_reserve_vcc 1
		.amdhsa_reserve_flat_scratch 0
		.amdhsa_float_round_mode_32 0
		.amdhsa_float_round_mode_16_64 0
		.amdhsa_float_denorm_mode_32 3
		.amdhsa_float_denorm_mode_16_64 3
		.amdhsa_dx10_clamp 1
		.amdhsa_ieee_mode 1
		.amdhsa_fp16_overflow 0
		.amdhsa_tg_split 0
		.amdhsa_exception_fp_ieee_invalid_op 0
		.amdhsa_exception_fp_denorm_src 0
		.amdhsa_exception_fp_ieee_div_zero 0
		.amdhsa_exception_fp_ieee_overflow 0
		.amdhsa_exception_fp_ieee_underflow 0
		.amdhsa_exception_fp_ieee_inexact 0
		.amdhsa_exception_int_div_zero 0
	.end_amdhsa_kernel
	.section	.text._ZN9rocsolver6v33100L13bdsqr_computeILi256EddPdS2_S2_EEviiiiPT1_lS4_lT2_iilT3_iilT4_iiliS3_S3_S3_S3_PiS4_ilS8_,"axG",@progbits,_ZN9rocsolver6v33100L13bdsqr_computeILi256EddPdS2_S2_EEviiiiPT1_lS4_lT2_iilT3_iilT4_iiliS3_S3_S3_S3_PiS4_ilS8_,comdat
.Lfunc_end123:
	.size	_ZN9rocsolver6v33100L13bdsqr_computeILi256EddPdS2_S2_EEviiiiPT1_lS4_lT2_iilT3_iilT4_iiliS3_S3_S3_S3_PiS4_ilS8_, .Lfunc_end123-_ZN9rocsolver6v33100L13bdsqr_computeILi256EddPdS2_S2_EEviiiiPT1_lS4_lT2_iilT3_iilT4_iiliS3_S3_S3_S3_PiS4_ilS8_
                                        ; -- End function
	.section	.AMDGPU.csdata,"",@progbits
; Kernel info:
; codeLenInByte = 9464
; NumSgprs: 100
; NumVgprs: 37
; NumAgprs: 0
; TotalNumVgprs: 37
; ScratchSize: 0
; MemoryBound: 0
; FloatMode: 240
; IeeeMode: 1
; LDSByteSize: 2072 bytes/workgroup (compile time only)
; SGPRBlocks: 12
; VGPRBlocks: 4
; NumSGPRsForWavesPerEU: 100
; NumVGPRsForWavesPerEU: 37
; AccumOffset: 40
; Occupancy: 8
; WaveLimiterHint : 1
; COMPUTE_PGM_RSRC2:SCRATCH_EN: 0
; COMPUTE_PGM_RSRC2:USER_SGPR: 6
; COMPUTE_PGM_RSRC2:TRAP_HANDLER: 0
; COMPUTE_PGM_RSRC2:TGID_X_EN: 1
; COMPUTE_PGM_RSRC2:TGID_Y_EN: 1
; COMPUTE_PGM_RSRC2:TGID_Z_EN: 1
; COMPUTE_PGM_RSRC2:TIDIG_COMP_CNT: 0
; COMPUTE_PGM_RSRC3_GFX90A:ACCUM_OFFSET: 9
; COMPUTE_PGM_RSRC3_GFX90A:TG_SPLIT: 0
	.section	.text._ZN9rocsolver6v33100L12bdsqr_rotateIddPdS2_S2_EEviiiiT1_iilT2_iilT3_iiliPiPT0_ilS6_,"axG",@progbits,_ZN9rocsolver6v33100L12bdsqr_rotateIddPdS2_S2_EEviiiiT1_iilT2_iilT3_iiliPiPT0_ilS6_,comdat
	.globl	_ZN9rocsolver6v33100L12bdsqr_rotateIddPdS2_S2_EEviiiiT1_iilT2_iilT3_iiliPiPT0_ilS6_ ; -- Begin function _ZN9rocsolver6v33100L12bdsqr_rotateIddPdS2_S2_EEviiiiT1_iilT2_iilT3_iiliPiPT0_ilS6_
	.p2align	8
	.type	_ZN9rocsolver6v33100L12bdsqr_rotateIddPdS2_S2_EEviiiiT1_iilT2_iilT3_iiliPiPT0_ilS6_,@function
_ZN9rocsolver6v33100L12bdsqr_rotateIddPdS2_S2_EEviiiiT1_iilT2_iilT3_iiliPiPT0_ilS6_: ; @_ZN9rocsolver6v33100L12bdsqr_rotateIddPdS2_S2_EEviiiiT1_iilT2_iilT3_iiliPiPT0_ilS6_
; %bb.0:
	s_load_dwordx4 s[0:3], s[4:5], 0x78
	s_ashr_i32 s9, s8, 31
	s_lshl_b64 s[10:11], s[8:9], 2
	s_waitcnt lgkmcnt(0)
	s_add_u32 s2, s2, s10
	s_addc_u32 s3, s3, s11
	s_load_dword s2, s[2:3], 0x8
	s_waitcnt lgkmcnt(0)
	s_cmp_lg_u32 s2, 0
	s_cbranch_scc1 .LBB124_25
; %bb.1:
	s_load_dwordx8 s[12:19], s[4:5], 0x10
	s_add_u32 s24, s4, 0x88
	s_addc_u32 s25, s5, 0
	s_mov_b64 s[2:3], 0
	s_mov_b64 s[10:11], 0
	s_waitcnt lgkmcnt(0)
	s_cmp_eq_u64 s[12:13], 0
	s_cbranch_scc1 .LBB124_3
; %bb.2:
	s_ashr_i32 s11, s14, 31
	s_mov_b32 s10, s14
	s_mul_i32 s14, s8, s17
	s_mul_hi_u32 s17, s8, s16
	s_add_i32 s14, s17, s14
	s_mul_i32 s17, s9, s16
	s_add_i32 s17, s14, s17
	s_mul_i32 s16, s8, s16
	s_lshl_b64 s[16:17], s[16:17], 3
	s_add_u32 s12, s12, s16
	s_addc_u32 s13, s13, s17
	s_lshl_b64 s[10:11], s[10:11], 3
	s_add_u32 s10, s12, s10
	s_addc_u32 s11, s13, s11
.LBB124_3:
	s_load_dwordx2 s[12:13], s[4:5], 0x30
	s_load_dwordx4 s[20:23], s[4:5], 0x38
	s_cmp_eq_u64 s[18:19], 0
	s_cbranch_scc1 .LBB124_5
; %bb.4:
	s_waitcnt lgkmcnt(0)
	s_ashr_i32 s3, s12, 31
	s_mov_b32 s2, s12
	s_mul_i32 s12, s8, s21
	s_mul_hi_u32 s14, s8, s20
	s_add_i32 s12, s14, s12
	s_mul_i32 s14, s9, s20
	s_add_i32 s17, s12, s14
	s_mul_i32 s16, s8, s20
	s_lshl_b64 s[16:17], s[16:17], 3
	s_add_u32 s12, s18, s16
	s_addc_u32 s14, s19, s17
	s_lshl_b64 s[2:3], s[2:3], 3
	s_add_u32 s2, s12, s2
	s_addc_u32 s3, s14, s3
.LBB124_5:
	s_load_dwordx2 s[26:27], s[4:5], 0x48
	s_waitcnt lgkmcnt(0)
	s_cmp_eq_u64 s[22:23], 0
	s_mov_b64 s[20:21], 0
	s_cbranch_scc1 .LBB124_7
; %bb.6:
	s_load_dwordx2 s[16:17], s[4:5], 0x50
	s_ashr_i32 s19, s26, 31
	s_mov_b32 s18, s26
	s_waitcnt lgkmcnt(0)
	s_mul_i32 s12, s8, s17
	s_mul_hi_u32 s14, s8, s16
	s_mul_i32 s17, s9, s16
	s_add_i32 s12, s14, s12
	s_add_i32 s17, s12, s17
	s_mul_i32 s16, s8, s16
	s_lshl_b64 s[16:17], s[16:17], 3
	s_add_u32 s12, s22, s16
	s_addc_u32 s14, s23, s17
	s_lshl_b64 s[16:17], s[18:19], 3
	s_add_u32 s20, s12, s16
	s_addc_u32 s21, s14, s17
.LBB124_7:
	s_load_dwordx4 s[16:19], s[4:5], 0x60
	s_mul_i32 s1, s8, s1
	s_mul_hi_u32 s12, s8, s0
	s_add_i32 s1, s12, s1
	s_mul_i32 s9, s9, s0
	s_add_i32 s1, s1, s9
	s_mul_i32 s0, s8, s0
	s_lshl_b64 s[22:23], s[0:1], 3
	s_waitcnt lgkmcnt(0)
	s_add_u32 s0, s18, s22
	s_addc_u32 s1, s19, s23
	s_load_dwordx2 s[0:1], s[0:1], 0x10
	s_waitcnt lgkmcnt(0)
	v_cvt_i32_f64_e32 v6, s[0:1]
	v_cmp_ge_i32_e32 vcc, s7, v6
	s_cbranch_vccnz .LBB124_25
; %bb.8:
	s_load_dwordx4 s[28:31], s[4:5], 0x0
	s_load_dword s12, s[4:5], 0x58
	s_load_dword s9, s[4:5], 0x94
	;; [unrolled: 1-line block ×3, first 2 shown]
	v_mov_b32_e32 v10, 0
	s_waitcnt lgkmcnt(0)
	s_mul_i32 s0, s8, s28
	s_lshl_b32 s0, s0, 1
	s_ashr_i32 s1, s0, 31
	s_lshl_b64 s[0:1], s[0:1], 2
	s_add_u32 s36, s16, s0
	s_addc_u32 s37, s17, s1
	s_and_b32 s0, 0xffff, s9
	s_mul_i32 s6, s6, s0
	s_cmp_eq_u32 s29, 0
	v_add_u32_e32 v7, s6, v0
	s_cselect_b64 s[0:1], -1, 0
	s_cmp_lg_u64 s[10:11], 0
	s_cselect_b64 s[4:5], -1, 0
	v_cmp_gt_i32_e32 vcc, s29, v7
	s_and_b64 s[4:5], vcc, s[4:5]
	s_cmp_lg_u64 s[2:3], 0
	s_cselect_b64 s[8:9], -1, 0
	v_cmp_gt_i32_e32 vcc, s30, v7
	s_and_b64 s[8:9], vcc, s[8:9]
	s_cmp_lg_u64 s[20:21], 0
	v_mul_lo_u32 v8, v7, s15
	s_cselect_b64 s[14:15], -1, 0
	v_cmp_gt_i32_e32 vcc, s31, v7
	s_and_b64 s[14:15], vcc, s[14:15]
	s_load_dword s6, s[24:25], 0x4
	s_add_u32 s38, s18, s22
	s_addc_u32 s39, s19, s23
	s_add_u32 s40, s38, 40
	v_mul_lo_u32 v9, v7, s27
	s_addc_u32 s41, s39, 0
	s_branch .LBB124_12
.LBB124_9:                              ;   in Loop: Header=BB124_12 Depth=1
	v_mov_b32_e32 v2, s23
	v_subrev_co_u32_e32 v3, vcc, s22, v4
	s_add_u32 s16, s18, s20
	v_subb_co_u32_e32 v4, vcc, v5, v2, vcc
	s_addc_u32 s17, s19, s21
	v_mov_b32_e32 v5, s17
	v_add_co_u32_e32 v2, vcc, s16, v3
	v_addc_co_u32_e32 v3, vcc, v5, v4, vcc
	flat_store_dwordx2 v[2:3], v[0:1]
.LBB124_10:                             ;   in Loop: Header=BB124_12 Depth=1
	s_or_b64 exec, exec, s[28:29]
.LBB124_11:                             ;   in Loop: Header=BB124_12 Depth=1
	s_add_i32 s7, s6, s7
	v_cmp_lt_i32_e32 vcc, s7, v6
	s_cbranch_vccz .LBB124_25
.LBB124_12:                             ; =>This Loop Header: Depth=1
                                        ;     Child Loop BB124_16 Depth 2
                                        ;     Child Loop BB124_20 Depth 2
	;; [unrolled: 1-line block ×3, first 2 shown]
	s_lshl_b32 s16, s7, 2
	s_ashr_i32 s17, s16, 31
	s_lshl_b64 s[16:17], s[16:17], 2
	s_add_u32 s16, s36, s16
	s_addc_u32 s17, s37, s17
	s_load_dwordx2 s[18:19], s[16:17], 0x0
	s_load_dword s24, s[16:17], 0x8
	s_waitcnt lgkmcnt(0)
	s_cmp_le_i32 s24, s19
	s_cbranch_scc1 .LBB124_11
; %bb.13:                               ;   in Loop: Header=BB124_12 Depth=1
	s_load_dword s16, s[16:17], 0xc
	s_waitcnt lgkmcnt(0)
	s_cmp_lt_i32 s16, s12
	s_cselect_b64 s[16:17], -1, 0
	s_cmp_lg_u32 s18, 0
	s_cselect_b64 s[22:23], -1, 0
	s_and_b64 s[16:17], s[16:17], s[22:23]
	s_andn2_b64 vcc, exec, s[16:17]
	s_cbranch_vccnz .LBB124_11
; %bb.14:                               ;   in Loop: Header=BB124_12 Depth=1
	s_mul_i32 s22, s19, s33
	s_ashr_i32 s23, s22, 31
	s_cmp_gt_i32 s18, 0
	s_cselect_b64 s[26:27], -1, 0
	s_sub_i32 s16, s24, s19
	s_and_saveexec_b64 s[28:29], s[4:5]
	s_cbranch_execz .LBB124_18
; %bb.15:                               ;   in Loop: Header=BB124_12 Depth=1
	s_and_b64 s[30:31], s[26:27], exec
	s_cselect_b32 s17, s19, s24
	v_add_u32_e32 v4, s17, v8
	v_ashrrev_i32_e32 v5, 31, v4
	v_lshlrev_b64 v[0:1], 3, v[4:5]
	v_mov_b32_e32 v12, s11
	v_add_co_u32_e32 v2, vcc, s10, v0
	v_addc_co_u32_e32 v3, vcc, v12, v1, vcc
	flat_load_dwordx2 v[0:1], v[2:3]
	s_add_i32 s17, s16, -1
	s_and_b64 s[30:31], s[26:27], exec
	s_cselect_b32 s30, 0, s17
	s_ashr_i32 s31, s30, 31
	s_lshl_b64 s[30:31], s[30:31], 3
	s_lshl_b64 s[34:35], s[22:23], 3
	s_add_u32 s43, s30, s34
	s_addc_u32 s44, s31, s35
	s_add_u32 s17, s38, s43
	s_addc_u32 s42, s39, s44
	s_ashr_i32 s31, s18, 31
	s_mov_b32 s30, s18
	s_ashr_i32 s25, s24, 31
	s_lshl_b64 s[30:31], s[30:31], 3
	s_lshl_b64 s[34:35], s[24:25], 3
	s_add_u32 s25, s43, s34
	s_addc_u32 s43, s44, s35
	s_ashr_i32 s35, s19, 31
	s_mov_b32 s34, s19
	s_lshl_b64 s[34:35], s[34:35], 3
	v_add_u32_e32 v4, s18, v4
	s_sub_u32 s25, s25, s34
	v_ashrrev_i32_e32 v5, 31, v4
	s_subb_u32 s34, s43, s35
	v_lshlrev_b64 v[4:5], 3, v[4:5]
	s_add_u32 s25, s40, s25
	v_add_co_u32_e32 v11, vcc, s10, v4
	s_addc_u32 s43, s41, s34
	v_addc_co_u32_e32 v12, vcc, v12, v5, vcc
	s_mov_b64 s[34:35], 0
	s_mov_b32 s44, s16
.LBB124_16:                             ;   Parent Loop BB124_12 Depth=1
                                        ; =>  This Inner Loop Header: Depth=2
	s_add_u32 s46, s17, s34
	s_addc_u32 s47, s42, s35
	v_mov_b32_e32 v13, s35
	v_add_co_u32_e32 v14, vcc, s34, v11
	s_add_u32 s48, s25, s34
	v_addc_co_u32_e32 v15, vcc, v12, v13, vcc
	s_addc_u32 s49, s43, s35
	flat_load_dwordx2 v[14:15], v[14:15]
	s_add_i32 s44, s44, -1
	global_load_dwordx2 v[16:17], v10, s[46:47] offset:32
	global_load_dwordx2 v[18:19], v10, s[48:49]
	v_add_co_u32_e32 v20, vcc, s34, v2
	s_add_u32 s34, s34, s30
	s_addc_u32 s35, s35, s31
	v_addc_co_u32_e32 v21, vcc, v3, v13, vcc
	s_cmp_eq_u32 s44, 0
	s_waitcnt vmcnt(0) lgkmcnt(0)
	v_mul_f64 v[22:23], v[14:15], v[18:19]
	v_fma_f64 v[22:23], v[0:1], v[16:17], -v[22:23]
	v_mul_f64 v[0:1], v[0:1], v[18:19]
	v_fmac_f64_e32 v[0:1], v[14:15], v[16:17]
	flat_store_dwordx2 v[20:21], v[22:23]
	s_cbranch_scc0 .LBB124_16
; %bb.17:                               ;   in Loop: Header=BB124_12 Depth=1
	v_mov_b32_e32 v2, s31
	v_subrev_co_u32_e32 v3, vcc, s30, v4
	s_add_u32 s17, s34, s10
	v_subb_co_u32_e32 v4, vcc, v5, v2, vcc
	s_addc_u32 s25, s35, s11
	v_mov_b32_e32 v5, s25
	v_add_co_u32_e32 v2, vcc, s17, v3
	v_addc_co_u32_e32 v3, vcc, v5, v4, vcc
	flat_store_dwordx2 v[2:3], v[0:1]
.LBB124_18:                             ;   in Loop: Header=BB124_12 Depth=1
	s_or_b64 exec, exec, s[28:29]
	s_lshl_b32 s17, s16, 1
	s_add_i32 s17, s17, 2
	s_and_b64 s[28:29], s[0:1], exec
	s_cselect_b32 s25, 0, s17
	s_and_saveexec_b64 s[28:29], s[8:9]
	s_cbranch_execz .LBB124_22
; %bb.19:                               ;   in Loop: Header=BB124_12 Depth=1
	s_and_b64 s[30:31], s[26:27], exec
	s_cselect_b32 s46, s19, s24
	s_mul_i32 s42, s46, s13
	v_add_u32_e32 v0, s42, v7
	v_ashrrev_i32_e32 v1, 31, v0
	v_lshlrev_b64 v[0:1], 3, v[0:1]
	v_mov_b32_e32 v2, s3
	v_add_co_u32_e32 v0, vcc, s2, v0
	v_addc_co_u32_e32 v1, vcc, v2, v1, vcc
	flat_load_dwordx2 v[0:1], v[0:1]
	s_add_i32 s17, s16, -1
	s_and_b64 s[30:31], s[26:27], exec
	s_cselect_b32 s17, 0, s17
	s_add_i32 s30, s25, s17
	s_ashr_i32 s31, s30, 31
	s_ashr_i32 s17, s16, 31
	s_lshl_b64 s[34:35], s[22:23], 3
	s_lshl_b64 s[30:31], s[30:31], 3
	s_add_u32 s30, s34, s30
	s_addc_u32 s31, s35, s31
	s_add_u32 s30, s38, s30
	s_addc_u32 s31, s39, s31
	s_ashr_i32 s35, s18, 31
	s_mov_b32 s34, s18
	s_lshl_b64 s[34:35], s[34:35], 3
	s_lshl_b64 s[44:45], s[16:17], 3
	s_add_u32 s17, s44, 40
	s_addc_u32 s43, s45, 0
	s_add_i32 s46, s46, s18
	s_mul_i32 s44, s13, s46
	s_mul_i32 s45, s13, s18
	v_mov_b32_e32 v4, v7
	s_mov_b32 s46, s16
.LBB124_20:                             ;   Parent Loop BB124_12 Depth=1
                                        ; =>  This Inner Loop Header: Depth=2
	v_add_u32_e32 v2, s44, v4
	v_ashrrev_i32_e32 v3, 31, v2
	v_lshlrev_b64 v[2:3], 3, v[2:3]
	v_mov_b32_e32 v5, s3
	s_add_u32 s48, s30, s17
	v_add_co_u32_e32 v2, vcc, s2, v2
	s_addc_u32 s49, s31, s43
	v_addc_co_u32_e32 v3, vcc, v5, v3, vcc
	global_load_dwordx2 v[12:13], v10, s[30:31] offset:32
	global_load_dwordx2 v[14:15], v10, s[48:49]
	flat_load_dwordx2 v[16:17], v[2:3]
	v_add_u32_e32 v18, s42, v4
	v_ashrrev_i32_e32 v19, 31, v18
	s_add_i32 s46, s46, -1
	v_lshlrev_b64 v[18:19], 3, v[18:19]
	s_add_u32 s30, s30, s34
	v_add_co_u32_e32 v18, vcc, s2, v18
	s_addc_u32 s31, s31, s35
	v_add_u32_e32 v4, s45, v4
	v_addc_co_u32_e32 v19, vcc, v5, v19, vcc
	s_cmp_eq_u32 s46, 0
	s_waitcnt vmcnt(0) lgkmcnt(0)
	v_mul_f64 v[20:21], v[16:17], v[14:15]
	v_fma_f64 v[20:21], v[0:1], v[12:13], -v[20:21]
	v_mul_f64 v[0:1], v[0:1], v[14:15]
	v_fmac_f64_e32 v[0:1], v[16:17], v[12:13]
	flat_store_dwordx2 v[18:19], v[20:21]
	s_cbranch_scc0 .LBB124_20
; %bb.21:                               ;   in Loop: Header=BB124_12 Depth=1
	flat_store_dwordx2 v[2:3], v[0:1]
.LBB124_22:                             ;   in Loop: Header=BB124_12 Depth=1
	s_or_b64 exec, exec, s[28:29]
	s_and_saveexec_b64 s[28:29], s[14:15]
	s_cbranch_execz .LBB124_10
; %bb.23:                               ;   in Loop: Header=BB124_12 Depth=1
	s_and_b64 s[30:31], s[26:27], exec
	s_cselect_b32 s17, s19, s24
	v_add_u32_e32 v4, s17, v9
	v_ashrrev_i32_e32 v5, 31, v4
	v_lshlrev_b64 v[0:1], 3, v[4:5]
	v_mov_b32_e32 v12, s21
	v_add_co_u32_e32 v2, vcc, s20, v0
	v_addc_co_u32_e32 v3, vcc, v12, v1, vcc
	flat_load_dwordx2 v[0:1], v[2:3]
	s_add_i32 s17, s16, -1
	s_and_b64 s[26:27], s[26:27], exec
	s_cselect_b32 s17, 0, s17
	s_add_i32 s24, s25, s17
	s_ashr_i32 s25, s24, 31
	s_ashr_i32 s17, s16, 31
	s_lshl_b64 s[22:23], s[22:23], 3
	s_lshl_b64 s[24:25], s[24:25], 3
	s_add_u32 s30, s22, s24
	s_addc_u32 s31, s23, s25
	s_add_u32 s24, s38, s30
	s_addc_u32 s25, s39, s31
	s_ashr_i32 s19, s18, 31
	s_lshl_b64 s[22:23], s[18:19], 3
	s_lshl_b64 s[26:27], s[16:17], 3
	v_add_u32_e32 v4, s18, v4
	s_add_u32 s17, s30, s26
	v_ashrrev_i32_e32 v5, 31, v4
	s_addc_u32 s19, s31, s27
	v_lshlrev_b64 v[4:5], 3, v[4:5]
	s_add_u32 s17, s40, s17
	v_add_co_u32_e32 v11, vcc, s20, v4
	s_addc_u32 s26, s41, s19
	v_addc_co_u32_e32 v12, vcc, v12, v5, vcc
	s_mov_b64 s[18:19], 0
.LBB124_24:                             ;   Parent Loop BB124_12 Depth=1
                                        ; =>  This Inner Loop Header: Depth=2
	s_add_u32 s30, s24, s18
	s_addc_u32 s31, s25, s19
	v_mov_b32_e32 v13, s19
	v_add_co_u32_e32 v14, vcc, s18, v11
	s_add_u32 s34, s17, s18
	v_addc_co_u32_e32 v15, vcc, v12, v13, vcc
	s_addc_u32 s35, s26, s19
	flat_load_dwordx2 v[14:15], v[14:15]
	s_add_i32 s16, s16, -1
	global_load_dwordx2 v[16:17], v10, s[30:31] offset:32
	global_load_dwordx2 v[18:19], v10, s[34:35]
	v_add_co_u32_e32 v20, vcc, s18, v2
	s_add_u32 s18, s18, s22
	s_addc_u32 s19, s19, s23
	v_addc_co_u32_e32 v21, vcc, v3, v13, vcc
	s_cmp_eq_u32 s16, 0
	s_waitcnt vmcnt(0) lgkmcnt(0)
	v_mul_f64 v[22:23], v[14:15], v[18:19]
	v_fma_f64 v[22:23], v[0:1], v[16:17], -v[22:23]
	v_mul_f64 v[0:1], v[0:1], v[18:19]
	v_fmac_f64_e32 v[0:1], v[14:15], v[16:17]
	flat_store_dwordx2 v[20:21], v[22:23]
	s_cbranch_scc0 .LBB124_24
	s_branch .LBB124_9
.LBB124_25:
	s_endpgm
	.section	.rodata,"a",@progbits
	.p2align	6, 0x0
	.amdhsa_kernel _ZN9rocsolver6v33100L12bdsqr_rotateIddPdS2_S2_EEviiiiT1_iilT2_iilT3_iiliPiPT0_ilS6_
		.amdhsa_group_segment_fixed_size 0
		.amdhsa_private_segment_fixed_size 0
		.amdhsa_kernarg_size 392
		.amdhsa_user_sgpr_count 6
		.amdhsa_user_sgpr_private_segment_buffer 1
		.amdhsa_user_sgpr_dispatch_ptr 0
		.amdhsa_user_sgpr_queue_ptr 0
		.amdhsa_user_sgpr_kernarg_segment_ptr 1
		.amdhsa_user_sgpr_dispatch_id 0
		.amdhsa_user_sgpr_flat_scratch_init 0
		.amdhsa_user_sgpr_kernarg_preload_length 0
		.amdhsa_user_sgpr_kernarg_preload_offset 0
		.amdhsa_user_sgpr_private_segment_size 0
		.amdhsa_uses_dynamic_stack 0
		.amdhsa_system_sgpr_private_segment_wavefront_offset 0
		.amdhsa_system_sgpr_workgroup_id_x 1
		.amdhsa_system_sgpr_workgroup_id_y 1
		.amdhsa_system_sgpr_workgroup_id_z 1
		.amdhsa_system_sgpr_workgroup_info 0
		.amdhsa_system_vgpr_workitem_id 0
		.amdhsa_next_free_vgpr 24
		.amdhsa_next_free_sgpr 50
		.amdhsa_accum_offset 24
		.amdhsa_reserve_vcc 1
		.amdhsa_reserve_flat_scratch 0
		.amdhsa_float_round_mode_32 0
		.amdhsa_float_round_mode_16_64 0
		.amdhsa_float_denorm_mode_32 3
		.amdhsa_float_denorm_mode_16_64 3
		.amdhsa_dx10_clamp 1
		.amdhsa_ieee_mode 1
		.amdhsa_fp16_overflow 0
		.amdhsa_tg_split 0
		.amdhsa_exception_fp_ieee_invalid_op 0
		.amdhsa_exception_fp_denorm_src 0
		.amdhsa_exception_fp_ieee_div_zero 0
		.amdhsa_exception_fp_ieee_overflow 0
		.amdhsa_exception_fp_ieee_underflow 0
		.amdhsa_exception_fp_ieee_inexact 0
		.amdhsa_exception_int_div_zero 0
	.end_amdhsa_kernel
	.section	.text._ZN9rocsolver6v33100L12bdsqr_rotateIddPdS2_S2_EEviiiiT1_iilT2_iilT3_iiliPiPT0_ilS6_,"axG",@progbits,_ZN9rocsolver6v33100L12bdsqr_rotateIddPdS2_S2_EEviiiiT1_iilT2_iilT3_iiliPiPT0_ilS6_,comdat
.Lfunc_end124:
	.size	_ZN9rocsolver6v33100L12bdsqr_rotateIddPdS2_S2_EEviiiiT1_iilT2_iilT3_iiliPiPT0_ilS6_, .Lfunc_end124-_ZN9rocsolver6v33100L12bdsqr_rotateIddPdS2_S2_EEviiiiT1_iilT2_iilT3_iiliPiPT0_ilS6_
                                        ; -- End function
	.section	.AMDGPU.csdata,"",@progbits
; Kernel info:
; codeLenInByte = 1688
; NumSgprs: 54
; NumVgprs: 24
; NumAgprs: 0
; TotalNumVgprs: 24
; ScratchSize: 0
; MemoryBound: 0
; FloatMode: 240
; IeeeMode: 1
; LDSByteSize: 0 bytes/workgroup (compile time only)
; SGPRBlocks: 6
; VGPRBlocks: 2
; NumSGPRsForWavesPerEU: 54
; NumVGPRsForWavesPerEU: 24
; AccumOffset: 24
; Occupancy: 8
; WaveLimiterHint : 1
; COMPUTE_PGM_RSRC2:SCRATCH_EN: 0
; COMPUTE_PGM_RSRC2:USER_SGPR: 6
; COMPUTE_PGM_RSRC2:TRAP_HANDLER: 0
; COMPUTE_PGM_RSRC2:TGID_X_EN: 1
; COMPUTE_PGM_RSRC2:TGID_Y_EN: 1
; COMPUTE_PGM_RSRC2:TGID_Z_EN: 1
; COMPUTE_PGM_RSRC2:TIDIG_COMP_CNT: 0
; COMPUTE_PGM_RSRC3_GFX90A:ACCUM_OFFSET: 5
; COMPUTE_PGM_RSRC3_GFX90A:TG_SPLIT: 0
	.section	.text._ZN9rocsolver6v33100L14bdsqr_finalizeIddPdS2_S2_EEviiiiPT0_lS4_lT1_iilT2_iilT3_iilPiS8_S8_,"axG",@progbits,_ZN9rocsolver6v33100L14bdsqr_finalizeIddPdS2_S2_EEviiiiPT0_lS4_lT1_iilT2_iilT3_iilPiS8_S8_,comdat
	.globl	_ZN9rocsolver6v33100L14bdsqr_finalizeIddPdS2_S2_EEviiiiPT0_lS4_lT1_iilT2_iilT3_iilPiS8_S8_ ; -- Begin function _ZN9rocsolver6v33100L14bdsqr_finalizeIddPdS2_S2_EEviiiiPT0_lS4_lT1_iilT2_iilT3_iilPiS8_S8_
	.p2align	8
	.type	_ZN9rocsolver6v33100L14bdsqr_finalizeIddPdS2_S2_EEviiiiPT0_lS4_lT1_iilT2_iilT3_iilPiS8_S8_,@function
_ZN9rocsolver6v33100L14bdsqr_finalizeIddPdS2_S2_EEviiiiPT0_lS4_lT1_iilT2_iilT3_iilPiS8_S8_: ; @_ZN9rocsolver6v33100L14bdsqr_finalizeIddPdS2_S2_EEviiiiPT0_lS4_lT1_iilT2_iilT3_iilPiS8_S8_
; %bb.0:
	s_add_u32 flat_scratch_lo, s6, s10
	s_load_dwordx8 s[36:43], s[4:5], 0x70
	s_addc_u32 flat_scratch_hi, s7, 0
	s_add_u32 s0, s0, s10
	s_addc_u32 s1, s1, 0
	s_mov_b32 s12, s9
	s_ashr_i32 s13, s9, 31
	s_lshl_b64 s[26:27], s[12:13], 2
	s_waitcnt lgkmcnt(0)
	s_add_u32 s6, s42, s26
	s_addc_u32 s7, s43, s27
	s_load_dword s6, s[6:7], 0x8
	s_mov_b32 s32, 0
	s_waitcnt lgkmcnt(0)
	s_cmp_gt_i32 s6, 1
	s_cbranch_scc1 .LBB125_260
; %bb.1:
	s_load_dwordx2 s[6:7], s[4:5], 0x9c
	s_load_dwordx8 s[44:51], s[4:5], 0x30
	s_load_dwordx8 s[52:59], s[4:5], 0x10
	s_mov_b64 s[28:29], 0
	s_mov_b64 s[34:35], 0
	s_waitcnt lgkmcnt(0)
	s_and_b32 s7, s7, 0xffff
	s_cmp_eq_u64 s[44:45], 0
	s_cbranch_scc1 .LBB125_3
; %bb.2:
	s_mul_i32 s10, s12, s49
	s_mul_hi_u32 s11, s12, s48
	s_add_i32 s10, s11, s10
	s_mul_i32 s11, s13, s48
	s_add_i32 s11, s10, s11
	s_mul_i32 s10, s12, s48
	s_ashr_i32 s9, s46, 31
	s_lshl_b64 s[10:11], s[10:11], 3
	s_mov_b32 s8, s46
	s_add_u32 s10, s44, s10
	s_addc_u32 s11, s45, s11
	s_lshl_b64 s[8:9], s[8:9], 3
	s_add_u32 s34, s10, s8
	s_addc_u32 s35, s11, s9
.LBB125_3:
	s_load_dwordx2 s[42:43], s[4:5], 0x50
	s_load_dwordx4 s[8:11], s[4:5], 0x58
	s_cmp_eq_u64 s[50:51], 0
	s_cbranch_scc1 .LBB125_5
; %bb.4:
	s_waitcnt lgkmcnt(0)
	s_mul_i32 s9, s12, s9
	s_mul_hi_u32 s16, s12, s8
	s_add_i32 s9, s16, s9
	s_mul_i32 s16, s13, s8
	s_add_i32 s9, s9, s16
	s_mul_i32 s8, s12, s8
	s_ashr_i32 s15, s42, 31
	s_lshl_b64 s[8:9], s[8:9], 3
	s_mov_b32 s14, s42
	s_add_u32 s16, s50, s8
	s_addc_u32 s17, s51, s9
	s_lshl_b64 s[8:9], s[14:15], 3
	s_add_u32 s28, s16, s8
	s_addc_u32 s29, s17, s9
.LBB125_5:
	s_load_dwordx2 s[60:61], s[4:5], 0x68
	s_waitcnt lgkmcnt(0)
	s_cmp_eq_u64 s[10:11], 0
	s_mov_b64 s[44:45], 0
	s_cbranch_scc1 .LBB125_7
; %bb.6:
	s_mul_i32 s14, s12, s37
	s_mul_hi_u32 s15, s12, s36
	s_add_i32 s14, s15, s14
	s_mul_i32 s15, s13, s36
	s_add_i32 s15, s14, s15
	s_mul_i32 s14, s12, s36
	s_ashr_i32 s9, s60, 31
	s_lshl_b64 s[14:15], s[14:15], 3
	s_mov_b32 s8, s60
	s_add_u32 s10, s10, s14
	s_addc_u32 s11, s11, s15
	s_lshl_b64 s[8:9], s[8:9], 3
	s_add_u32 s44, s10, s8
	s_addc_u32 s45, s11, s9
.LBB125_7:
	s_mul_i32 s8, s12, s55
	s_mul_hi_u32 s9, s12, s54
	s_add_i32 s8, s9, s8
	s_mul_i32 s9, s13, s54
	s_add_i32 s9, s8, s9
	s_mul_i32 s8, s12, s54
	s_lshl_b64 s[54:55], s[8:9], 3
	s_add_u32 s36, s52, s54
	s_load_dwordx4 s[48:51], s[4:5], 0x0
	s_addc_u32 s37, s53, s55
	s_lshr_b32 s8, s6, 16
	s_and_b32 s42, s6, 0xffff
	v_bfe_u32 v43, v0, 10, 10
	v_bfe_u32 v44, v0, 20, 10
	s_mul_i32 s60, s8, s42
	v_and_b32_e32 v42, 0x3ff, v0
	v_mul_u32_u24_e32 v1, s42, v43
	v_mul_lo_u32 v0, s60, v44
	v_add3_u32 v41, v1, v42, v0
	s_and_b32 s6, s7, 0xffff
	s_mul_i32 s60, s60, s6
	s_waitcnt lgkmcnt(0)
	s_cmp_lt_i32 s48, 1
	v_cmp_eq_u32_e64 s[6:7], 0, v41
	s_cbranch_scc1 .LBB125_22
; %bb.8:
	s_mul_i32 s8, s12, s59
	s_mul_hi_u32 s9, s12, s58
	s_add_i32 s8, s9, s8
	s_mul_i32 s9, s13, s58
	s_add_i32 s9, s8, s9
	s_mul_i32 s8, s12, s58
	s_lshl_b64 s[8:9], s[8:9], 3
	s_add_u32 s13, s56, s8
	s_addc_u32 s22, s57, s9
	s_add_i32 s23, s48, -1
	s_cmp_lg_u32 s49, 0
	s_cselect_b64 s[10:11], -1, 0
	s_mov_b32 s15, 0
	v_cndmask_b32_e64 v0, 0, 1, s[10:11]
	v_cmp_gt_u32_e64 s[8:9], s49, v41
	s_ashr_i32 s24, s47, 31
	s_mov_b32 s25, s47
	v_mov_b32_e32 v2, 0
	v_cmp_ne_u32_e64 s[10:11], 1, v0
	v_mov_b32_e32 v3, s35
	s_mov_b32 s14, s15
	s_mov_b32 s46, s15
	s_branch .LBB125_11
.LBB125_9:                              ;   in Loop: Header=BB125_11 Depth=1
	s_or_b64 exec, exec, s[18:19]
.LBB125_10:                             ;   in Loop: Header=BB125_11 Depth=1
	s_add_i32 s14, s14, 1
	s_cmp_eq_u32 s14, s48
	s_cbranch_scc1 .LBB125_23
.LBB125_11:                             ; =>This Loop Header: Depth=1
                                        ;     Child Loop BB125_18 Depth 2
	s_cmp_ge_i32 s14, s23
	s_cbranch_scc1 .LBB125_14
; %bb.12:                               ;   in Loop: Header=BB125_11 Depth=1
	s_lshl_b64 s[16:17], s[14:15], 3
	s_add_u32 s16, s13, s16
	s_addc_u32 s17, s22, s17
	global_load_dwordx2 v[0:1], v2, s[16:17]
	s_waitcnt vmcnt(0)
	v_cmp_eq_f64_e32 vcc, 0, v[0:1]
	s_cbranch_vccnz .LBB125_14
; %bb.13:                               ;   in Loop: Header=BB125_11 Depth=1
	s_add_i32 s46, s46, 1
.LBB125_14:                             ;   in Loop: Header=BB125_11 Depth=1
	s_lshl_b64 s[16:17], s[14:15], 3
	s_add_u32 s16, s36, s16
	s_addc_u32 s17, s37, s17
	global_load_dwordx2 v[0:1], v2, s[16:17]
	s_waitcnt vmcnt(0)
	v_cmp_ngt_f64_e32 vcc, 0, v[0:1]
	s_cbranch_vccnz .LBB125_10
; %bb.15:                               ;   in Loop: Header=BB125_11 Depth=1
	s_and_b64 vcc, exec, s[10:11]
	s_cbranch_vccnz .LBB125_20
; %bb.16:                               ;   in Loop: Header=BB125_11 Depth=1
	s_and_saveexec_b64 s[18:19], s[8:9]
	s_cbranch_execz .LBB125_19
; %bb.17:                               ;   in Loop: Header=BB125_11 Depth=1
	s_mov_b64 s[20:21], 0
	v_pk_mov_b32 v[0:1], s[14:15], s[14:15] op_sel:[0,1]
	v_mov_b32_e32 v4, v41
.LBB125_18:                             ;   Parent Loop BB125_11 Depth=1
                                        ; =>  This Inner Loop Header: Depth=2
	v_mad_u64_u32 v[6:7], s[30:31], v4, s25, v[0:1]
	v_mov_b32_e32 v8, v7
	v_mad_u64_u32 v[8:9], s[30:31], v4, s24, v[8:9]
	v_mov_b32_e32 v7, v8
	v_lshlrev_b64 v[6:7], 3, v[6:7]
	v_add_co_u32_e32 v6, vcc, s34, v6
	v_addc_co_u32_e32 v7, vcc, v3, v7, vcc
	flat_load_dwordx2 v[8:9], v[6:7]
	v_add_u32_e32 v4, s60, v4
	v_cmp_le_u32_e32 vcc, s49, v4
	s_or_b64 s[20:21], vcc, s[20:21]
	s_waitcnt vmcnt(0) lgkmcnt(0)
	v_xor_b32_e32 v9, 0x80000000, v9
	flat_store_dwordx2 v[6:7], v[8:9]
	s_andn2_b64 exec, exec, s[20:21]
	s_cbranch_execnz .LBB125_18
.LBB125_19:                             ;   in Loop: Header=BB125_11 Depth=1
	s_or_b64 exec, exec, s[18:19]
	s_waitcnt lgkmcnt(0)
	s_barrier
.LBB125_20:                             ;   in Loop: Header=BB125_11 Depth=1
	s_and_saveexec_b64 s[18:19], s[6:7]
	s_cbranch_execz .LBB125_9
; %bb.21:                               ;   in Loop: Header=BB125_11 Depth=1
	global_load_dwordx2 v[0:1], v2, s[16:17]
	s_waitcnt vmcnt(0)
	v_xor_b32_e32 v1, 0x80000000, v1
	global_store_dwordx2 v2, v[0:1], s[16:17]
	s_branch .LBB125_9
.LBB125_22:
	s_mov_b32 s46, 0
.LBB125_23:
	s_cmp_lt_i32 s46, 1
	s_mov_b64 s[6:7], -1
	s_cbranch_scc0 .LBB125_257
; %bb.24:
	s_mul_i32 s6, s12, s48
	s_lshl_b32 s6, s6, 1
	s_ashr_i32 s7, s6, 31
	s_lshl_b64 s[6:7], s[6:7], 2
	s_add_u32 s6, s40, s6
	s_addc_u32 s7, s41, s7
	s_cmp_lg_u64 s[40:41], 0
	s_cselect_b32 s57, s7, 0
	s_cselect_b32 s56, s6, 0
	s_mov_b64 s[64:65], 0
	s_cmp_lg_u64 s[56:57], 0
	s_barrier
	s_cbranch_scc0 .LBB125_38
; %bb.25:
	s_or_b32 s6, s50, s49
	s_or_b32 s8, s6, s51
	s_cmp_gt_i32 s48, 0
	s_cselect_b64 s[62:63], -1, 0
	s_cmp_lg_u64 s[52:53], 0
	s_cselect_b64 s[6:7], -1, 0
	s_and_b64 s[40:41], s[62:63], s[6:7]
	s_cmp_eq_u32 s8, 0
	s_cbranch_scc1 .LBB125_39
; %bb.26:
	s_mov_b64 s[66:67], -1
	s_mov_b64 s[58:59], 0
	s_and_b64 vcc, exec, s[40:41]
	s_cbranch_vccz .LBB125_117
; %bb.27:
	v_cmp_gt_u32_e32 vcc, s48, v41
	s_barrier
	s_and_saveexec_b64 s[6:7], vcc
	s_cbranch_execz .LBB125_30
; %bb.28:
	s_mov_b64 s[8:9], 0
	v_mov_b32_e32 v1, 0
	v_mov_b32_e32 v2, s57
	;; [unrolled: 1-line block ×3, first 2 shown]
.LBB125_29:                             ; =>This Inner Loop Header: Depth=1
	v_lshlrev_b64 v[4:5], 2, v[0:1]
	v_add_co_u32_e32 v4, vcc, s56, v4
	v_addc_co_u32_e32 v5, vcc, v2, v5, vcc
	global_store_dword v[4:5], v0, off
	v_add_u32_e32 v0, s60, v0
	v_cmp_le_u32_e32 vcc, s48, v0
	s_or_b64 s[8:9], vcc, s[8:9]
	s_andn2_b64 exec, exec, s[8:9]
	s_cbranch_execnz .LBB125_29
.LBB125_30:
	s_or_b64 exec, exec, s[6:7]
	v_or3_b32 v0, v43, v44, v42
	v_cmp_eq_u32_e32 vcc, 0, v0
	s_barrier
	s_and_saveexec_b64 s[6:7], vcc
	s_cbranch_execz .LBB125_101
; %bb.31:
	s_cmpk_lt_i32 s48, 0x2be
	s_cbranch_scc1 .LBB125_40
; %bb.32:
	s_add_u32 s8, s56, 0xaf4
	s_addc_u32 s9, s57, 0
	s_mov_b64 s[10:11], 0x2bd
	s_mov_b32 s13, 0
	v_mov_b32_e32 v4, 0
	v_mov_b32_e32 v5, 0x1000
	s_mov_b64 s[14:15], s[36:37]
	s_branch .LBB125_34
.LBB125_33:                             ;   in Loop: Header=BB125_34 Depth=1
	s_lshl_b64 s[16:17], s[22:23], 3
	s_add_u32 s16, s36, s16
	s_addc_u32 s17, s37, s17
	global_store_dwordx2 v4, v[0:1], s[16:17]
	s_lshl_b64 s[16:17], s[22:23], 2
	s_add_u32 s16, s56, s16
	s_addc_u32 s17, s57, s17
	s_add_u32 s10, s10, 1
	s_addc_u32 s11, s11, 0
	;; [unrolled: 2-line block ×4, first 2 shown]
	s_cmp_eq_u32 s10, s48
	global_store_dword v4, v6, s[16:17]
	s_cbranch_scc1 .LBB125_40
.LBB125_34:                             ; =>This Loop Header: Depth=1
                                        ;     Child Loop BB125_36 Depth 2
	s_mov_b32 s12, s10
	s_lshl_b64 s[16:17], s[12:13], 3
	s_add_u32 s16, s36, s16
	s_addc_u32 s17, s37, s17
	s_lshl_b64 s[18:19], s[12:13], 2
	s_add_u32 s18, s56, s18
	s_addc_u32 s19, s57, s19
	global_load_dwordx2 v[0:1], v4, s[16:17]
	global_load_dword v6, v4, s[18:19]
	s_mov_b64 s[20:21], s[8:9]
	s_mov_b64 s[16:17], s[14:15]
	;; [unrolled: 1-line block ×3, first 2 shown]
	s_branch .LBB125_36
.LBB125_35:                             ;   in Loop: Header=BB125_36 Depth=2
	global_load_dword v7, v4, s[20:21] offset:-2804
	s_add_u32 s30, s20, 0xfffff50c
	s_addc_u32 s31, s21, -1
	s_add_u32 s22, s18, 0xfffffd43
	s_addc_u32 s23, s19, -1
	global_store_dwordx2 v5, v[2:3], s[16:17] offset:1512
	s_add_u32 s16, s16, 0xffffea18
	s_addc_u32 s17, s17, -1
	s_cmpk_lt_i32 s18, 0x57a
	s_mov_b64 s[18:19], s[22:23]
	s_cselect_b64 s[24:25], -1, 0
	s_waitcnt vmcnt(1)
	global_store_dword v4, v7, s[20:21]
	s_mov_b64 s[20:21], s[30:31]
	s_andn2_b64 vcc, exec, s[24:25]
	s_cbranch_vccz .LBB125_33
.LBB125_36:                             ;   Parent Loop BB125_34 Depth=1
                                        ; =>  This Inner Loop Header: Depth=2
	global_load_dwordx2 v[2:3], v4, s[16:17]
	s_mov_b64 s[24:25], -1
	s_waitcnt vmcnt(0)
	v_cmp_nlt_f64_e32 vcc, v[2:3], v[0:1]
	s_cbranch_vccz .LBB125_35
; %bb.37:                               ;   in Loop: Header=BB125_36 Depth=2
                                        ; implicit-def: $sgpr16_sgpr17
                                        ; implicit-def: $sgpr20_sgpr21
	s_mov_b64 s[22:23], s[18:19]
	s_andn2_b64 vcc, exec, s[24:25]
	s_cbranch_vccnz .LBB125_36
	s_branch .LBB125_33
.LBB125_38:
	s_branch .LBB125_233
.LBB125_39:
	s_mov_b64 s[58:59], 0
	s_cbranch_execnz .LBB125_142
	s_branch .LBB125_228
.LBB125_40:
	s_cmpk_lt_i32 s48, 0x12e
	s_cbranch_scc1 .LBB125_49
; %bb.41:
	s_add_u32 s8, s56, 0x4b4
	s_addc_u32 s9, s57, 0
	s_mov_b64 s[10:11], 0x12d
	s_mov_b32 s13, 0
	v_mov_b32_e32 v4, 0
	s_mov_b64 s[14:15], s[36:37]
	s_branch .LBB125_43
.LBB125_42:                             ;   in Loop: Header=BB125_43 Depth=1
	s_lshl_b64 s[18:19], s[16:17], 3
	s_add_u32 s18, s36, s18
	s_addc_u32 s19, s37, s19
	s_lshl_b64 s[16:17], s[16:17], 2
	s_add_u32 s16, s56, s16
	s_addc_u32 s17, s57, s17
	s_add_u32 s10, s10, 1
	s_addc_u32 s11, s11, 0
	s_add_u32 s8, s8, 4
	s_addc_u32 s9, s9, 0
	s_add_u32 s14, s14, 8
	s_addc_u32 s15, s15, 0
	s_cmp_lg_u32 s10, s48
	global_store_dwordx2 v4, v[0:1], s[18:19]
	global_store_dword v4, v5, s[16:17]
	s_cbranch_scc0 .LBB125_49
.LBB125_43:                             ; =>This Loop Header: Depth=1
                                        ;     Child Loop BB125_45 Depth 2
	s_mov_b32 s12, s10
	s_lshl_b64 s[16:17], s[12:13], 3
	s_add_u32 s16, s36, s16
	s_addc_u32 s17, s37, s17
	s_lshl_b64 s[18:19], s[12:13], 2
	s_add_u32 s18, s56, s18
	s_addc_u32 s19, s57, s19
	global_load_dwordx2 v[0:1], v4, s[16:17]
	global_load_dword v5, v4, s[18:19]
	s_mov_b64 s[18:19], s[14:15]
	s_mov_b64 s[20:21], s[8:9]
	;; [unrolled: 1-line block ×3, first 2 shown]
	s_branch .LBB125_45
.LBB125_44:                             ;   in Loop: Header=BB125_45 Depth=2
	global_load_dword v6, v4, s[20:21] offset:-1204
	s_add_u32 s64, s20, 0xfffffb4c
	s_addc_u32 s65, s21, -1
	s_add_u32 s24, s16, 0xfffffed3
	s_addc_u32 s25, s17, -1
	global_store_dwordx2 v4, v[2:3], s[18:19] offset:2408
	s_add_u32 s18, s18, 0xfffff698
	s_addc_u32 s19, s19, -1
	s_cmpk_lt_i32 s16, 0x25a
	s_mov_b64 s[22:23], 0
	s_mov_b64 s[16:17], s[24:25]
	s_cselect_b64 s[30:31], -1, 0
	s_waitcnt vmcnt(1)
	global_store_dword v4, v6, s[20:21]
	s_mov_b64 s[20:21], s[64:65]
	s_andn2_b64 vcc, exec, s[30:31]
	s_cbranch_vccz .LBB125_47
.LBB125_45:                             ;   Parent Loop BB125_43 Depth=1
                                        ; =>  This Inner Loop Header: Depth=2
	global_load_dwordx2 v[2:3], v4, s[18:19]
	s_mov_b64 s[22:23], -1
	s_waitcnt vmcnt(0)
	v_cmp_nlt_f64_e32 vcc, v[2:3], v[0:1]
	s_cbranch_vccz .LBB125_44
; %bb.46:                               ;   in Loop: Header=BB125_43 Depth=1
                                        ; implicit-def: $sgpr20_sgpr21
                                        ; implicit-def: $sgpr18_sgpr19
                                        ; implicit-def: $sgpr24_sgpr25
.LBB125_47:                             ;   in Loop: Header=BB125_43 Depth=1
	s_andn2_b64 vcc, exec, s[22:23]
	s_cbranch_vccz .LBB125_42
; %bb.48:                               ;   in Loop: Header=BB125_43 Depth=1
	s_bfe_i64 s[16:17], s[24:25], 0x200000
	s_branch .LBB125_42
.LBB125_49:
	s_cmpk_lt_i32 s48, 0x85
	s_cbranch_scc1 .LBB125_58
; %bb.50:
	s_add_u32 s8, s56, 0x210
	s_addc_u32 s9, s57, 0
	s_mov_b64 s[10:11], 0x84
	s_mov_b32 s13, 0
	v_mov_b32_e32 v4, 0
	s_mov_b64 s[14:15], s[36:37]
	s_branch .LBB125_52
.LBB125_51:                             ;   in Loop: Header=BB125_52 Depth=1
	s_lshl_b64 s[18:19], s[16:17], 3
	s_add_u32 s18, s36, s18
	s_addc_u32 s19, s37, s19
	s_lshl_b64 s[16:17], s[16:17], 2
	s_add_u32 s16, s56, s16
	s_addc_u32 s17, s57, s17
	s_add_u32 s10, s10, 1
	s_addc_u32 s11, s11, 0
	;; [unrolled: 2-line block ×4, first 2 shown]
	s_cmp_lg_u32 s10, s48
	global_store_dwordx2 v4, v[0:1], s[18:19]
	global_store_dword v4, v5, s[16:17]
	s_cbranch_scc0 .LBB125_58
.LBB125_52:                             ; =>This Loop Header: Depth=1
                                        ;     Child Loop BB125_54 Depth 2
	s_mov_b32 s12, s10
	s_lshl_b64 s[16:17], s[12:13], 3
	s_add_u32 s16, s36, s16
	s_addc_u32 s17, s37, s17
	s_lshl_b64 s[18:19], s[12:13], 2
	s_add_u32 s18, s56, s18
	s_addc_u32 s19, s57, s19
	global_load_dwordx2 v[0:1], v4, s[16:17]
	global_load_dword v5, v4, s[18:19]
	s_mov_b64 s[18:19], s[14:15]
	s_mov_b64 s[20:21], s[8:9]
	;; [unrolled: 1-line block ×3, first 2 shown]
	s_branch .LBB125_54
.LBB125_53:                             ;   in Loop: Header=BB125_54 Depth=2
	global_load_dword v6, v4, s[20:21] offset:-528
	s_add_u32 s64, s20, 0xfffffdf0
	s_addc_u32 s65, s21, -1
	s_add_u32 s24, s16, 0xffffff7c
	s_addc_u32 s25, s17, -1
	global_store_dwordx2 v4, v[2:3], s[18:19] offset:1056
	s_add_u32 s18, s18, 0xfffffbe0
	s_addc_u32 s19, s19, -1
	s_cmpk_lt_i32 s16, 0x108
	s_mov_b64 s[22:23], 0
	s_mov_b64 s[16:17], s[24:25]
	s_cselect_b64 s[30:31], -1, 0
	s_waitcnt vmcnt(1)
	global_store_dword v4, v6, s[20:21]
	s_mov_b64 s[20:21], s[64:65]
	s_andn2_b64 vcc, exec, s[30:31]
	s_cbranch_vccz .LBB125_56
.LBB125_54:                             ;   Parent Loop BB125_52 Depth=1
                                        ; =>  This Inner Loop Header: Depth=2
	global_load_dwordx2 v[2:3], v4, s[18:19]
	s_mov_b64 s[22:23], -1
	s_waitcnt vmcnt(0)
	v_cmp_nlt_f64_e32 vcc, v[2:3], v[0:1]
	s_cbranch_vccz .LBB125_53
; %bb.55:                               ;   in Loop: Header=BB125_52 Depth=1
                                        ; implicit-def: $sgpr20_sgpr21
                                        ; implicit-def: $sgpr18_sgpr19
                                        ; implicit-def: $sgpr24_sgpr25
.LBB125_56:                             ;   in Loop: Header=BB125_52 Depth=1
	s_andn2_b64 vcc, exec, s[22:23]
	s_cbranch_vccz .LBB125_51
; %bb.57:                               ;   in Loop: Header=BB125_52 Depth=1
	s_bfe_i64 s[16:17], s[24:25], 0x200000
	s_branch .LBB125_51
.LBB125_58:
	s_cmp_lt_i32 s48, 58
	s_cbranch_scc1 .LBB125_67
; %bb.59:
	s_add_u32 s8, s56, 0xe4
	s_addc_u32 s9, s57, 0
	s_mov_b64 s[10:11], 57
	s_mov_b32 s13, 0
	v_mov_b32_e32 v4, 0
	s_mov_b64 s[14:15], s[36:37]
	s_branch .LBB125_61
.LBB125_60:                             ;   in Loop: Header=BB125_61 Depth=1
	s_lshl_b64 s[18:19], s[16:17], 3
	s_add_u32 s18, s36, s18
	s_addc_u32 s19, s37, s19
	s_lshl_b64 s[16:17], s[16:17], 2
	s_add_u32 s16, s56, s16
	s_addc_u32 s17, s57, s17
	s_add_u32 s10, s10, 1
	s_addc_u32 s11, s11, 0
	;; [unrolled: 2-line block ×4, first 2 shown]
	s_cmp_lg_u32 s10, s48
	global_store_dwordx2 v4, v[0:1], s[18:19]
	global_store_dword v4, v5, s[16:17]
	s_cbranch_scc0 .LBB125_67
.LBB125_61:                             ; =>This Loop Header: Depth=1
                                        ;     Child Loop BB125_63 Depth 2
	s_mov_b32 s12, s10
	s_lshl_b64 s[16:17], s[12:13], 3
	s_add_u32 s16, s36, s16
	s_addc_u32 s17, s37, s17
	s_lshl_b64 s[18:19], s[12:13], 2
	s_add_u32 s18, s56, s18
	s_addc_u32 s19, s57, s19
	global_load_dwordx2 v[0:1], v4, s[16:17]
	global_load_dword v5, v4, s[18:19]
	s_mov_b64 s[18:19], s[14:15]
	s_mov_b64 s[20:21], s[8:9]
	;; [unrolled: 1-line block ×3, first 2 shown]
	s_branch .LBB125_63
.LBB125_62:                             ;   in Loop: Header=BB125_63 Depth=2
	global_load_dword v6, v4, s[20:21] offset:-228
	s_add_u32 s64, s20, 0xffffff1c
	s_addc_u32 s65, s21, -1
	s_add_u32 s24, s16, 0xffffffc7
	s_addc_u32 s25, s17, -1
	global_store_dwordx2 v4, v[2:3], s[18:19] offset:456
	s_add_u32 s18, s18, 0xfffffe38
	s_addc_u32 s19, s19, -1
	s_cmpk_lt_i32 s16, 0x72
	s_mov_b64 s[22:23], 0
	s_mov_b64 s[16:17], s[24:25]
	s_cselect_b64 s[30:31], -1, 0
	s_waitcnt vmcnt(1)
	global_store_dword v4, v6, s[20:21]
	s_mov_b64 s[20:21], s[64:65]
	s_andn2_b64 vcc, exec, s[30:31]
	s_cbranch_vccz .LBB125_65
.LBB125_63:                             ;   Parent Loop BB125_61 Depth=1
                                        ; =>  This Inner Loop Header: Depth=2
	global_load_dwordx2 v[2:3], v4, s[18:19]
	s_mov_b64 s[22:23], -1
	s_waitcnt vmcnt(0)
	v_cmp_nlt_f64_e32 vcc, v[2:3], v[0:1]
	s_cbranch_vccz .LBB125_62
; %bb.64:                               ;   in Loop: Header=BB125_61 Depth=1
                                        ; implicit-def: $sgpr20_sgpr21
                                        ; implicit-def: $sgpr18_sgpr19
                                        ; implicit-def: $sgpr24_sgpr25
.LBB125_65:                             ;   in Loop: Header=BB125_61 Depth=1
	s_andn2_b64 vcc, exec, s[22:23]
	s_cbranch_vccz .LBB125_60
; %bb.66:                               ;   in Loop: Header=BB125_61 Depth=1
	s_bfe_i64 s[16:17], s[24:25], 0x200000
	s_branch .LBB125_60
.LBB125_67:
	s_cmp_lt_i32 s48, 24
	s_cbranch_scc1 .LBB125_76
; %bb.68:
	s_add_u32 s8, s56, 0x5c
	s_addc_u32 s9, s57, 0
	s_mov_b64 s[10:11], 23
	s_mov_b32 s13, 0
	v_mov_b32_e32 v4, 0
	s_mov_b64 s[14:15], s[36:37]
	s_branch .LBB125_70
.LBB125_69:                             ;   in Loop: Header=BB125_70 Depth=1
	s_lshl_b64 s[18:19], s[16:17], 3
	s_add_u32 s18, s36, s18
	s_addc_u32 s19, s37, s19
	s_lshl_b64 s[16:17], s[16:17], 2
	s_add_u32 s16, s56, s16
	s_addc_u32 s17, s57, s17
	s_add_u32 s10, s10, 1
	s_addc_u32 s11, s11, 0
	;; [unrolled: 2-line block ×4, first 2 shown]
	s_cmp_lg_u32 s10, s48
	global_store_dwordx2 v4, v[0:1], s[18:19]
	global_store_dword v4, v5, s[16:17]
	s_cbranch_scc0 .LBB125_76
.LBB125_70:                             ; =>This Loop Header: Depth=1
                                        ;     Child Loop BB125_72 Depth 2
	s_mov_b32 s12, s10
	s_lshl_b64 s[16:17], s[12:13], 3
	s_add_u32 s16, s36, s16
	s_addc_u32 s17, s37, s17
	s_lshl_b64 s[18:19], s[12:13], 2
	s_add_u32 s18, s56, s18
	s_addc_u32 s19, s57, s19
	global_load_dwordx2 v[0:1], v4, s[16:17]
	global_load_dword v5, v4, s[18:19]
	s_mov_b64 s[18:19], s[14:15]
	s_mov_b64 s[20:21], s[8:9]
	;; [unrolled: 1-line block ×3, first 2 shown]
	s_branch .LBB125_72
.LBB125_71:                             ;   in Loop: Header=BB125_72 Depth=2
	global_load_dword v6, v4, s[20:21] offset:-92
	s_add_u32 s64, s20, 0xffffffa4
	s_addc_u32 s65, s21, -1
	s_add_u32 s24, s16, 0xffffffe9
	s_addc_u32 s25, s17, -1
	global_store_dwordx2 v4, v[2:3], s[18:19] offset:184
	s_add_u32 s18, s18, 0xffffff48
	s_addc_u32 s19, s19, -1
	s_cmp_lt_i32 s16, 46
	s_mov_b64 s[22:23], 0
	s_mov_b64 s[16:17], s[24:25]
	s_cselect_b64 s[30:31], -1, 0
	s_waitcnt vmcnt(1)
	global_store_dword v4, v6, s[20:21]
	s_mov_b64 s[20:21], s[64:65]
	s_andn2_b64 vcc, exec, s[30:31]
	s_cbranch_vccz .LBB125_74
.LBB125_72:                             ;   Parent Loop BB125_70 Depth=1
                                        ; =>  This Inner Loop Header: Depth=2
	global_load_dwordx2 v[2:3], v4, s[18:19]
	s_mov_b64 s[22:23], -1
	s_waitcnt vmcnt(0)
	v_cmp_nlt_f64_e32 vcc, v[2:3], v[0:1]
	s_cbranch_vccz .LBB125_71
; %bb.73:                               ;   in Loop: Header=BB125_70 Depth=1
                                        ; implicit-def: $sgpr20_sgpr21
                                        ; implicit-def: $sgpr18_sgpr19
                                        ; implicit-def: $sgpr24_sgpr25
.LBB125_74:                             ;   in Loop: Header=BB125_70 Depth=1
	s_andn2_b64 vcc, exec, s[22:23]
	s_cbranch_vccz .LBB125_69
; %bb.75:                               ;   in Loop: Header=BB125_70 Depth=1
	s_bfe_i64 s[16:17], s[24:25], 0x200000
	s_branch .LBB125_69
.LBB125_76:
	s_cmp_lt_i32 s48, 11
	s_cbranch_scc1 .LBB125_85
; %bb.77:
	s_add_u32 s8, s56, 40
	s_addc_u32 s9, s57, 0
	s_mov_b64 s[10:11], 10
	s_mov_b32 s13, 0
	v_mov_b32_e32 v4, 0
	s_mov_b64 s[14:15], s[36:37]
	s_branch .LBB125_79
.LBB125_78:                             ;   in Loop: Header=BB125_79 Depth=1
	s_lshl_b64 s[18:19], s[16:17], 3
	s_add_u32 s18, s36, s18
	s_addc_u32 s19, s37, s19
	s_lshl_b64 s[16:17], s[16:17], 2
	s_add_u32 s16, s56, s16
	s_addc_u32 s17, s57, s17
	s_add_u32 s10, s10, 1
	s_addc_u32 s11, s11, 0
	;; [unrolled: 2-line block ×4, first 2 shown]
	s_cmp_lg_u32 s10, s48
	global_store_dwordx2 v4, v[0:1], s[18:19]
	global_store_dword v4, v5, s[16:17]
	s_cbranch_scc0 .LBB125_85
.LBB125_79:                             ; =>This Loop Header: Depth=1
                                        ;     Child Loop BB125_81 Depth 2
	s_mov_b32 s12, s10
	s_lshl_b64 s[16:17], s[12:13], 3
	s_add_u32 s16, s36, s16
	s_addc_u32 s17, s37, s17
	s_lshl_b64 s[18:19], s[12:13], 2
	s_add_u32 s18, s56, s18
	s_addc_u32 s19, s57, s19
	global_load_dwordx2 v[0:1], v4, s[16:17]
	global_load_dword v5, v4, s[18:19]
	s_mov_b64 s[18:19], s[14:15]
	s_mov_b64 s[20:21], s[8:9]
	;; [unrolled: 1-line block ×3, first 2 shown]
	s_branch .LBB125_81
.LBB125_80:                             ;   in Loop: Header=BB125_81 Depth=2
	global_load_dword v6, v4, s[20:21] offset:-40
	s_add_u32 s64, s20, 0xffffffd8
	s_addc_u32 s65, s21, -1
	s_add_u32 s24, s16, -10
	s_addc_u32 s25, s17, -1
	global_store_dwordx2 v4, v[2:3], s[18:19] offset:80
	s_add_u32 s18, s18, 0xffffffb0
	s_addc_u32 s19, s19, -1
	s_cmp_lt_i32 s16, 20
	s_mov_b64 s[22:23], 0
	s_mov_b64 s[16:17], s[24:25]
	s_cselect_b64 s[30:31], -1, 0
	s_waitcnt vmcnt(1)
	global_store_dword v4, v6, s[20:21]
	s_mov_b64 s[20:21], s[64:65]
	s_andn2_b64 vcc, exec, s[30:31]
	s_cbranch_vccz .LBB125_83
.LBB125_81:                             ;   Parent Loop BB125_79 Depth=1
                                        ; =>  This Inner Loop Header: Depth=2
	global_load_dwordx2 v[2:3], v4, s[18:19]
	s_mov_b64 s[22:23], -1
	s_waitcnt vmcnt(0)
	v_cmp_nlt_f64_e32 vcc, v[2:3], v[0:1]
	s_cbranch_vccz .LBB125_80
; %bb.82:                               ;   in Loop: Header=BB125_79 Depth=1
                                        ; implicit-def: $sgpr20_sgpr21
                                        ; implicit-def: $sgpr18_sgpr19
                                        ; implicit-def: $sgpr24_sgpr25
.LBB125_83:                             ;   in Loop: Header=BB125_79 Depth=1
	s_andn2_b64 vcc, exec, s[22:23]
	s_cbranch_vccz .LBB125_78
; %bb.84:                               ;   in Loop: Header=BB125_79 Depth=1
	s_bfe_i64 s[16:17], s[24:25], 0x200000
	s_branch .LBB125_78
.LBB125_85:
	s_cmp_lt_i32 s48, 5
	s_cbranch_scc1 .LBB125_94
; %bb.86:
	s_add_u32 s8, s56, 16
	s_addc_u32 s9, s57, 0
	s_add_u32 s10, s54, s52
	s_addc_u32 s11, s55, s53
	s_add_u32 s10, s10, 32
	s_addc_u32 s11, s11, 0
	s_mov_b64 s[12:13], 4
	s_mov_b32 s15, 0
	v_mov_b32_e32 v4, 0
	s_branch .LBB125_88
.LBB125_87:                             ;   in Loop: Header=BB125_88 Depth=1
	s_lshl_b64 s[18:19], s[16:17], 3
	s_add_u32 s18, s36, s18
	s_addc_u32 s19, s37, s19
	s_lshl_b64 s[16:17], s[16:17], 2
	s_add_u32 s16, s56, s16
	s_addc_u32 s17, s57, s17
	s_add_u32 s12, s12, 1
	s_addc_u32 s13, s13, 0
	;; [unrolled: 2-line block ×4, first 2 shown]
	s_cmp_lg_u32 s12, s48
	global_store_dwordx2 v4, v[0:1], s[18:19]
	global_store_dword v4, v5, s[16:17]
	s_cbranch_scc0 .LBB125_94
.LBB125_88:                             ; =>This Loop Header: Depth=1
                                        ;     Child Loop BB125_90 Depth 2
	s_mov_b32 s14, s12
	s_lshl_b64 s[16:17], s[14:15], 3
	s_add_u32 s16, s36, s16
	s_addc_u32 s17, s37, s17
	s_lshl_b64 s[18:19], s[14:15], 2
	s_add_u32 s18, s56, s18
	s_addc_u32 s19, s57, s19
	global_load_dwordx2 v[0:1], v4, s[16:17]
	global_load_dword v5, v4, s[18:19]
	s_mov_b64 s[20:21], s[10:11]
	s_mov_b64 s[18:19], s[8:9]
	;; [unrolled: 1-line block ×3, first 2 shown]
	s_branch .LBB125_90
.LBB125_89:                             ;   in Loop: Header=BB125_90 Depth=2
	global_load_dword v6, v4, s[18:19] offset:-16
	s_mov_b64 s[22:23], 0
	global_store_dwordx2 v4, v[2:3], s[20:21]
	s_add_u32 s20, s18, -16
	s_addc_u32 s21, s19, -1
	s_add_u32 s24, s16, -4
	s_addc_u32 s25, s17, -1
	s_cmp_lt_i32 s16, 8
	s_mov_b64 s[16:17], s[24:25]
	s_cselect_b64 s[64:65], -1, 0
	s_waitcnt vmcnt(1)
	global_store_dword v4, v6, s[18:19]
	s_mov_b64 s[18:19], s[20:21]
	s_mov_b64 s[20:21], s[30:31]
	s_andn2_b64 vcc, exec, s[64:65]
	s_cbranch_vccz .LBB125_92
.LBB125_90:                             ;   Parent Loop BB125_88 Depth=1
                                        ; =>  This Inner Loop Header: Depth=2
	global_load_dwordx2 v[2:3], v4, s[20:21] offset:-32
	s_add_u32 s30, s20, 0xffffffe0
	s_addc_u32 s31, s21, -1
	s_mov_b64 s[22:23], -1
	s_waitcnt vmcnt(0)
	v_cmp_nlt_f64_e32 vcc, v[2:3], v[0:1]
	s_cbranch_vccz .LBB125_89
; %bb.91:                               ;   in Loop: Header=BB125_88 Depth=1
                                        ; implicit-def: $sgpr18_sgpr19
                                        ; implicit-def: $sgpr20_sgpr21
                                        ; implicit-def: $sgpr24_sgpr25
.LBB125_92:                             ;   in Loop: Header=BB125_88 Depth=1
	s_andn2_b64 vcc, exec, s[22:23]
	s_cbranch_vccz .LBB125_87
; %bb.93:                               ;   in Loop: Header=BB125_88 Depth=1
	s_bfe_i64 s[16:17], s[24:25], 0x200000
	s_branch .LBB125_87
.LBB125_94:
	s_cmp_lt_i32 s48, 2
	s_cbranch_scc1 .LBB125_101
; %bb.95:
	s_add_u32 s8, s56, 4
	s_addc_u32 s9, s57, 0
	s_add_u32 s10, s54, s52
	s_addc_u32 s11, s55, s53
	;; [unrolled: 2-line block ×3, first 2 shown]
	s_mov_b64 s[12:13], 1
	s_mov_b32 s15, 0
	v_mov_b32_e32 v4, 0
	s_branch .LBB125_97
.LBB125_96:                             ;   in Loop: Header=BB125_97 Depth=1
	s_lshl_b64 s[16:17], s[22:23], 3
	s_add_u32 s16, s36, s16
	s_addc_u32 s17, s37, s17
	global_store_dwordx2 v4, v[0:1], s[16:17]
	s_lshl_b64 s[16:17], s[22:23], 2
	s_add_u32 s16, s56, s16
	s_addc_u32 s17, s57, s17
	s_add_u32 s12, s12, 1
	s_addc_u32 s13, s13, 0
	;; [unrolled: 2-line block ×4, first 2 shown]
	s_cmp_eq_u32 s12, s48
	global_store_dword v4, v5, s[16:17]
	s_cbranch_scc1 .LBB125_101
.LBB125_97:                             ; =>This Loop Header: Depth=1
                                        ;     Child Loop BB125_99 Depth 2
	s_mov_b32 s14, s12
	s_lshl_b64 s[16:17], s[14:15], 3
	s_add_u32 s16, s36, s16
	s_addc_u32 s17, s37, s17
	s_lshl_b64 s[18:19], s[14:15], 2
	s_add_u32 s18, s56, s18
	s_addc_u32 s19, s57, s19
	global_load_dwordx2 v[0:1], v4, s[16:17]
	global_load_dword v5, v4, s[18:19]
	s_mov_b64 s[20:21], s[10:11]
	s_mov_b64 s[16:17], s[8:9]
	;; [unrolled: 1-line block ×3, first 2 shown]
	s_branch .LBB125_99
.LBB125_98:                             ;   in Loop: Header=BB125_99 Depth=2
	global_load_dword v6, v4, s[16:17] offset:-4
	s_mov_b64 s[22:23], 0
	global_store_dwordx2 v4, v[2:3], s[20:21]
	s_add_u32 s20, s16, -4
	s_addc_u32 s21, s17, -1
	s_add_u32 s30, s18, -1
	s_addc_u32 s31, s19, -1
	s_cmp_lt_i32 s18, 2
	s_mov_b64 s[18:19], s[30:31]
	s_cselect_b64 s[30:31], -1, 0
	s_waitcnt vmcnt(1)
	global_store_dword v4, v6, s[16:17]
	s_mov_b64 s[16:17], s[20:21]
	s_mov_b64 s[20:21], s[24:25]
	s_andn2_b64 vcc, exec, s[30:31]
	s_cbranch_vccz .LBB125_96
.LBB125_99:                             ;   Parent Loop BB125_97 Depth=1
                                        ; =>  This Inner Loop Header: Depth=2
	global_load_dwordx2 v[2:3], v4, s[20:21] offset:-8
	s_add_u32 s24, s20, -8
	s_addc_u32 s25, s21, -1
	s_mov_b64 s[30:31], -1
	s_waitcnt vmcnt(0)
	v_cmp_nlt_f64_e32 vcc, v[2:3], v[0:1]
	s_cbranch_vccz .LBB125_98
; %bb.100:                              ;   in Loop: Header=BB125_99 Depth=2
                                        ; implicit-def: $sgpr16_sgpr17
                                        ; implicit-def: $sgpr20_sgpr21
	s_mov_b64 s[22:23], s[18:19]
	s_andn2_b64 vcc, exec, s[30:31]
	s_cbranch_vccnz .LBB125_99
	s_branch .LBB125_96
.LBB125_101:
	s_or_b64 exec, exec, s[6:7]
	s_cmp_lt_i32 s48, 2
	s_cselect_b64 s[10:11], -1, 0
	s_mov_b64 s[66:67], 0
	s_and_b64 vcc, exec, s[10:11]
	s_barrier
	s_cbranch_vccnz .LBB125_109
; %bb.102:
	s_add_i32 s20, s48, -1
	v_cmp_gt_u32_e32 vcc, s20, v41
	s_mov_b64 s[10:11], -1
	s_mov_b64 s[6:7], 0
	s_and_saveexec_b64 s[8:9], vcc
	s_cbranch_execz .LBB125_111
; %bb.103:
	s_add_u32 s21, s36, 8
	s_addc_u32 s22, s37, 0
	s_mov_b64 s[10:11], 0
	v_mov_b32_e32 v1, 0
	v_mov_b32_e32 v4, s37
	;; [unrolled: 1-line block ×3, first 2 shown]
                                        ; implicit-def: $sgpr12_sgpr13
	s_branch .LBB125_105
.LBB125_104:                            ;   in Loop: Header=BB125_105 Depth=1
	s_or_b64 exec, exec, s[18:19]
	s_xor_b64 s[14:15], s[14:15], -1
	s_and_b64 s[6:7], exec, s[6:7]
	s_or_b64 s[10:11], s[6:7], s[10:11]
	s_andn2_b64 s[6:7], s[12:13], exec
	s_and_b64 s[12:13], s[14:15], exec
	s_or_b64 s[12:13], s[6:7], s[12:13]
	s_andn2_b64 exec, exec, s[10:11]
	s_cbranch_execz .LBB125_110
.LBB125_105:                            ; =>This Inner Loop Header: Depth=1
	v_lshlrev_b64 v[2:3], 3, v[0:1]
	v_add_co_u32_e32 v2, vcc, s36, v2
	v_addc_co_u32_e32 v3, vcc, v4, v3, vcc
	global_load_dwordx2 v[2:3], v[2:3], off
                                        ; implicit-def: $sgpr14_sgpr15
	s_waitcnt vmcnt(0)
	v_cmp_u_f64_e64 s[16:17], v[2:3], v[2:3]
	v_cmp_o_f64_e32 vcc, v[2:3], v[2:3]
	s_and_saveexec_b64 s[18:19], vcc
	s_cbranch_execz .LBB125_107
; %bb.106:                              ;   in Loop: Header=BB125_105 Depth=1
	v_ashrrev_i32_e32 v7, 31, v0
	v_mov_b32_e32 v6, v0
	v_lshlrev_b64 v[6:7], 3, v[6:7]
	v_mov_b32_e32 v5, s22
	v_add_co_u32_e32 v6, vcc, s21, v6
	v_addc_co_u32_e32 v7, vcc, v5, v7, vcc
	global_load_dwordx2 v[6:7], v[6:7], off
	s_andn2_b64 s[16:17], s[16:17], exec
	s_mov_b64 s[14:15], -1
	s_waitcnt vmcnt(0)
	v_cmp_u_f64_e32 vcc, v[6:7], v[6:7]
	v_cmp_ge_f64_e64 s[6:7], v[2:3], v[6:7]
	s_or_b64 s[6:7], vcc, s[6:7]
	s_and_b64 s[6:7], s[6:7], exec
	s_or_b64 s[16:17], s[16:17], s[6:7]
.LBB125_107:                            ;   in Loop: Header=BB125_105 Depth=1
	s_or_b64 exec, exec, s[18:19]
	s_mov_b64 s[6:7], -1
	s_and_saveexec_b64 s[18:19], s[16:17]
	s_cbranch_execz .LBB125_104
; %bb.108:                              ;   in Loop: Header=BB125_105 Depth=1
	v_add_u32_e32 v0, s60, v0
	v_cmp_le_u32_e32 vcc, s20, v0
	s_andn2_b64 s[14:15], s[14:15], exec
	s_orn2_b64 s[6:7], vcc, exec
	s_branch .LBB125_104
.LBB125_109:
	s_mov_b64 s[6:7], 0
	s_branch .LBB125_112
.LBB125_110:
	s_or_b64 exec, exec, s[10:11]
	s_mov_b64 s[6:7], exec
	s_orn2_b64 s[10:11], s[12:13], exec
.LBB125_111:
	s_or_b64 exec, exec, s[8:9]
.LBB125_112:
	s_and_saveexec_b64 s[8:9], s[10:11]
	s_cbranch_execz .LBB125_114
; %bb.113:
	s_mov_b64 s[66:67], exec
	s_barrier
	s_andn2_b64 s[6:7], s[6:7], exec
.LBB125_114:
	s_or_b64 exec, exec, s[8:9]
	s_mov_b64 s[64:65], 0
	s_and_saveexec_b64 s[68:69], s[6:7]
	s_cbranch_execz .LBB125_116
; %bb.115:
	s_add_u32 s8, s4, 0x90
	s_addc_u32 s9, s5, 0
	s_getpc_b64 s[6:7]
	s_add_u32 s6, s6, __PRETTY_FUNCTION__._ZN9rocsolver6v33100L21shell_sort_descendingIdiEEvT0_PT_PS2_@rel32@lo+4
	s_addc_u32 s7, s7, __PRETTY_FUNCTION__._ZN9rocsolver6v33100L21shell_sort_descendingIdiEEvT0_PT_PS2_@rel32@hi+12
	v_mov_b32_e32 v0, s6
	v_mov_b32_e32 v1, s7
	s_getpc_b64 s[10:11]
	s_add_u32 s10, s10, __assert_fail@rel32@lo+4
	s_addc_u32 s11, s11, __assert_fail@rel32@hi+12
	s_mov_b64 s[64:65], s[4:5]
	s_swappc_b64 s[30:31], s[10:11]
	s_mov_b64 s[4:5], s[64:65]
	s_mov_b64 s[64:65], exec
.LBB125_116:
	s_or_b64 exec, exec, s[68:69]
.LBB125_117:
	s_and_saveexec_b64 s[20:21], s[66:67]
	s_cbranch_execz .LBB125_141
; %bb.118:
	s_andn2_b64 vcc, exec, s[62:63]
	s_barrier
	s_cbranch_vccnz .LBB125_140
; %bb.119:
	s_cmp_gt_i32 s49, 0
	s_cselect_b64 s[14:15], -1, 0
	s_ashr_i32 s33, s47, 31
	s_cmp_gt_i32 s50, 0
	s_cselect_b64 s[16:17], -1, 0
	s_cmp_gt_i32 s51, 0
	v_cndmask_b32_e64 v0, 0, 1, s[14:15]
	s_cselect_b64 s[18:19], -1, 0
	v_cmp_ne_u32_e64 s[14:15], 1, v0
	v_cndmask_b32_e64 v0, 0, 1, s[16:17]
	s_mov_b32 s23, 0
	v_cmp_ne_u32_e64 s[16:17], 1, v0
	v_cndmask_b32_e64 v0, 0, 1, s[18:19]
	v_cmp_eq_u32_e64 s[6:7], 0, v41
	v_cmp_gt_u32_e64 s[8:9], s49, v41
	s_mov_b32 s72, s47
	v_cmp_gt_u32_e64 s[10:11], s50, v41
	s_mov_b32 s73, s43
	v_cmp_gt_u32_e64 s[12:13], s51, v41
	s_ashr_i32 s74, s61, 31
	s_mov_b32 s75, s61
	v_mov_b32_e32 v1, 0
	v_cmp_ne_u32_e64 s[18:19], 1, v0
	s_mov_b32 s22, s23
	s_branch .LBB125_121
.LBB125_120:                            ;   in Loop: Header=BB125_121 Depth=1
	s_add_i32 s22, s22, 1
	s_cmp_eq_u32 s22, s48
	s_cbranch_scc1 .LBB125_140
.LBB125_121:                            ; =>This Loop Header: Depth=1
                                        ;     Child Loop BB125_124 Depth 2
                                        ;       Child Loop BB125_129 Depth 3
                                        ;       Child Loop BB125_134 Depth 3
	;; [unrolled: 1-line block ×3, first 2 shown]
	s_lshl_b64 s[24:25], s[22:23], 2
	s_add_u32 s24, s56, s24
	s_addc_u32 s25, s57, s25
	global_load_dword v0, v1, s[24:25]
	s_waitcnt vmcnt(0)
	v_cmp_eq_u32_e32 vcc, s22, v0
	v_readfirstlane_b32 s30, v0
	s_cbranch_vccz .LBB125_124
	s_branch .LBB125_120
.LBB125_122:                            ;   in Loop: Header=BB125_124 Depth=2
	s_or_b64 exec, exec, s[62:63]
	s_waitcnt lgkmcnt(0)
	s_barrier
.LBB125_123:                            ;   in Loop: Header=BB125_124 Depth=2
	global_load_dword v0, v1, s[24:25]
	s_waitcnt vmcnt(0)
	v_cmp_ne_u32_e32 vcc, s22, v0
	v_readfirstlane_b32 s30, v0
	s_cbranch_vccz .LBB125_120
.LBB125_124:                            ;   Parent Loop BB125_121 Depth=1
                                        ; =>  This Loop Header: Depth=2
                                        ;       Child Loop BB125_129 Depth 3
                                        ;       Child Loop BB125_134 Depth 3
	;; [unrolled: 1-line block ×3, first 2 shown]
	s_ashr_i32 s31, s30, 31
	s_lshl_b64 s[58:59], s[30:31], 2
	s_add_u32 s62, s56, s58
	s_addc_u32 s63, s57, s59
	global_load_dword v0, v1, s[62:63]
	s_barrier
	s_waitcnt vmcnt(0)
	v_readfirstlane_b32 s58, v0
	s_and_saveexec_b64 s[66:67], s[6:7]
	s_cbranch_execz .LBB125_126
; %bb.125:                              ;   in Loop: Header=BB125_124 Depth=2
	v_mov_b32_e32 v0, s30
	global_store_dword v1, v0, s[62:63]
	v_mov_b32_e32 v0, s58
	global_store_dword v1, v0, s[24:25]
.LBB125_126:                            ;   in Loop: Header=BB125_124 Depth=2
	s_or_b64 exec, exec, s[66:67]
	s_and_b64 vcc, exec, s[14:15]
	s_barrier
	s_cbranch_vccnz .LBB125_131
; %bb.127:                              ;   in Loop: Header=BB125_124 Depth=2
	s_and_saveexec_b64 s[62:63], s[8:9]
	s_cbranch_execz .LBB125_130
; %bb.128:                              ;   in Loop: Header=BB125_124 Depth=2
	s_ashr_i32 s59, s58, 31
	s_mov_b64 s[66:67], 0
	s_lshl_b64 s[68:69], s[30:31], 3
	s_lshl_b64 s[70:71], s[58:59], 3
	v_mov_b32_e32 v0, v41
.LBB125_129:                            ;   Parent Loop BB125_121 Depth=1
                                        ;     Parent Loop BB125_124 Depth=2
                                        ; =>    This Inner Loop Header: Depth=3
	v_mad_u64_u32 v[2:3], s[76:77], v0, s72, 0
	v_mov_b32_e32 v4, v3
	v_mad_u64_u32 v[4:5], s[76:77], v0, s33, v[4:5]
	v_mov_b32_e32 v3, v4
	v_lshlrev_b64 v[2:3], 3, v[2:3]
	v_mov_b32_e32 v6, s35
	v_add_co_u32_e32 v4, vcc, s34, v2
	v_addc_co_u32_e32 v5, vcc, v6, v3, vcc
	v_mov_b32_e32 v7, s69
	v_add_co_u32_e32 v2, vcc, s68, v4
	v_addc_co_u32_e32 v3, vcc, v5, v7, vcc
	;; [unrolled: 3-line block ×3, first 2 shown]
	flat_load_dwordx2 v[6:7], v[4:5]
	flat_load_dwordx2 v[8:9], v[2:3]
	v_add_u32_e32 v0, s60, v0
	v_cmp_le_u32_e32 vcc, s49, v0
	s_or_b64 s[66:67], vcc, s[66:67]
	s_waitcnt vmcnt(0) lgkmcnt(0)
	flat_store_dwordx2 v[2:3], v[6:7]
	flat_store_dwordx2 v[4:5], v[8:9]
	s_andn2_b64 exec, exec, s[66:67]
	s_cbranch_execnz .LBB125_129
.LBB125_130:                            ;   in Loop: Header=BB125_124 Depth=2
	s_or_b64 exec, exec, s[62:63]
	s_waitcnt lgkmcnt(0)
	s_barrier
.LBB125_131:                            ;   in Loop: Header=BB125_124 Depth=2
	s_and_b64 vcc, exec, s[16:17]
	s_cbranch_vccnz .LBB125_136
; %bb.132:                              ;   in Loop: Header=BB125_124 Depth=2
	s_and_saveexec_b64 s[62:63], s[10:11]
	s_cbranch_execz .LBB125_135
; %bb.133:                              ;   in Loop: Header=BB125_124 Depth=2
	s_mul_hi_i32 s67, s30, s73
	s_mul_i32 s66, s30, s73
	s_lshl_b64 s[66:67], s[66:67], 3
	s_add_u32 s59, s28, s66
	s_addc_u32 s69, s29, s67
	s_mul_hi_i32 s67, s58, s73
	s_mul_i32 s66, s58, s73
	s_lshl_b64 s[66:67], s[66:67], 3
	s_add_u32 s68, s28, s66
	s_addc_u32 s70, s29, s67
	s_mov_b64 s[66:67], 0
	v_mov_b32_e32 v2, s69
	v_mov_b32_e32 v3, s70
	;; [unrolled: 1-line block ×3, first 2 shown]
.LBB125_134:                            ;   Parent Loop BB125_121 Depth=1
                                        ;     Parent Loop BB125_124 Depth=2
                                        ; =>    This Inner Loop Header: Depth=3
	v_lshlrev_b64 v[4:5], 3, v[0:1]
	v_add_co_u32_e32 v6, vcc, s59, v4
	v_addc_co_u32_e32 v7, vcc, v2, v5, vcc
	v_add_co_u32_e32 v4, vcc, s68, v4
	v_addc_co_u32_e32 v5, vcc, v3, v5, vcc
	flat_load_dwordx2 v[8:9], v[4:5]
	flat_load_dwordx2 v[10:11], v[6:7]
	v_add_u32_e32 v0, s60, v0
	v_cmp_le_u32_e32 vcc, s50, v0
	s_or_b64 s[66:67], vcc, s[66:67]
	s_waitcnt vmcnt(0) lgkmcnt(0)
	flat_store_dwordx2 v[6:7], v[8:9]
	flat_store_dwordx2 v[4:5], v[10:11]
	s_andn2_b64 exec, exec, s[66:67]
	s_cbranch_execnz .LBB125_134
.LBB125_135:                            ;   in Loop: Header=BB125_124 Depth=2
	s_or_b64 exec, exec, s[62:63]
	s_waitcnt lgkmcnt(0)
	s_barrier
.LBB125_136:                            ;   in Loop: Header=BB125_124 Depth=2
	s_and_b64 vcc, exec, s[18:19]
	s_cbranch_vccnz .LBB125_123
; %bb.137:                              ;   in Loop: Header=BB125_124 Depth=2
	s_and_saveexec_b64 s[62:63], s[12:13]
	s_cbranch_execz .LBB125_122
; %bb.138:                              ;   in Loop: Header=BB125_124 Depth=2
	s_ashr_i32 s59, s58, 31
	s_mov_b64 s[66:67], 0
	s_lshl_b64 s[58:59], s[58:59], 3
	v_mov_b32_e32 v0, v41
.LBB125_139:                            ;   Parent Loop BB125_121 Depth=1
                                        ;     Parent Loop BB125_124 Depth=2
                                        ; =>    This Inner Loop Header: Depth=3
	v_mad_u64_u32 v[2:3], s[68:69], v0, s75, 0
	v_mov_b32_e32 v4, v3
	v_mad_u64_u32 v[4:5], s[70:71], v0, s74, v[4:5]
	v_mov_b32_e32 v3, v4
	v_lshlrev_b64 v[2:3], 3, v[2:3]
	v_mov_b32_e32 v6, s45
	v_add_co_u32_e32 v4, vcc, s44, v2
	s_lshl_b64 s[68:69], s[30:31], 3
	v_addc_co_u32_e32 v5, vcc, v6, v3, vcc
	v_mov_b32_e32 v8, s69
	v_add_co_u32_e32 v2, vcc, s68, v4
	v_addc_co_u32_e32 v3, vcc, v5, v8, vcc
	v_mov_b32_e32 v7, s59
	v_add_co_u32_e32 v4, vcc, s58, v4
	v_addc_co_u32_e32 v5, vcc, v5, v7, vcc
	flat_load_dwordx2 v[6:7], v[4:5]
	flat_load_dwordx2 v[8:9], v[2:3]
	v_add_u32_e32 v0, s60, v0
	v_cmp_le_u32_e32 vcc, s51, v0
	s_or_b64 s[66:67], vcc, s[66:67]
	s_waitcnt vmcnt(0) lgkmcnt(0)
	flat_store_dwordx2 v[2:3], v[6:7]
	flat_store_dwordx2 v[4:5], v[8:9]
	s_andn2_b64 exec, exec, s[66:67]
	s_cbranch_execnz .LBB125_139
	s_branch .LBB125_122
.LBB125_140:
	s_mov_b64 s[58:59], exec
.LBB125_141:
	s_or_b64 exec, exec, s[20:21]
	s_branch .LBB125_228
.LBB125_142:
	s_mov_b64 s[58:59], -1
	s_and_b64 vcc, exec, s[40:41]
	s_cbranch_vccz .LBB125_228
; %bb.143:
	v_or3_b32 v0, v43, v44, v42
	v_cmp_eq_u32_e32 vcc, 0, v0
	s_barrier
	s_barrier
	s_and_saveexec_b64 s[6:7], vcc
	s_cbranch_execz .LBB125_212
; %bb.144:
	s_cmpk_lt_u32 s48, 0x2be
	s_cbranch_scc1 .LBB125_151
; %bb.145:
	s_mov_b64 s[8:9], 0x2bd
	s_mov_b32 s11, 0
	v_mov_b32_e32 v4, 0
	v_mov_b32_e32 v5, 0x1000
	s_mov_b64 s[12:13], s[36:37]
	s_branch .LBB125_147
.LBB125_146:                            ;   in Loop: Header=BB125_147 Depth=1
	s_lshl_b64 s[14:15], s[18:19], 3
	s_add_u32 s14, s36, s14
	s_addc_u32 s15, s37, s15
	s_add_u32 s8, s8, 1
	s_addc_u32 s9, s9, 0
	;; [unrolled: 2-line block ×3, first 2 shown]
	s_cmp_eq_u32 s8, s48
	global_store_dwordx2 v4, v[0:1], s[14:15]
	s_cbranch_scc1 .LBB125_151
.LBB125_147:                            ; =>This Loop Header: Depth=1
                                        ;     Child Loop BB125_149 Depth 2
	s_mov_b32 s10, s8
	s_lshl_b64 s[14:15], s[10:11], 3
	s_add_u32 s14, s36, s14
	s_addc_u32 s15, s37, s15
	global_load_dwordx2 v[0:1], v4, s[14:15]
	s_mov_b64 s[14:15], s[12:13]
	s_mov_b64 s[16:17], s[8:9]
	s_branch .LBB125_149
.LBB125_148:                            ;   in Loop: Header=BB125_149 Depth=2
	s_add_u32 s18, s16, 0xfffffd43
	s_addc_u32 s19, s17, -1
	global_store_dwordx2 v5, v[2:3], s[14:15] offset:1512
	s_add_u32 s14, s14, 0xffffea18
	s_addc_u32 s15, s15, -1
	s_cmpk_lt_i32 s16, 0x57a
	s_cselect_b64 s[20:21], -1, 0
	s_mov_b64 s[16:17], s[18:19]
	s_andn2_b64 vcc, exec, s[20:21]
	s_cbranch_vccz .LBB125_146
.LBB125_149:                            ;   Parent Loop BB125_147 Depth=1
                                        ; =>  This Inner Loop Header: Depth=2
	global_load_dwordx2 v[2:3], v4, s[14:15]
	s_mov_b64 s[20:21], -1
	s_waitcnt vmcnt(0)
	v_cmp_nlt_f64_e32 vcc, v[2:3], v[0:1]
	s_cbranch_vccz .LBB125_148
; %bb.150:                              ;   in Loop: Header=BB125_149 Depth=2
                                        ; implicit-def: $sgpr14_sgpr15
	s_mov_b64 s[18:19], s[16:17]
	s_andn2_b64 vcc, exec, s[20:21]
	s_cbranch_vccnz .LBB125_149
	s_branch .LBB125_146
.LBB125_151:
	s_cmpk_lt_i32 s48, 0x12e
	s_cbranch_scc1 .LBB125_160
; %bb.152:
	s_mov_b64 s[8:9], 0x12d
	s_mov_b32 s11, 0
	v_mov_b32_e32 v4, 0
	s_mov_b64 s[12:13], s[36:37]
	s_branch .LBB125_154
.LBB125_153:                            ;   in Loop: Header=BB125_154 Depth=1
	s_lshl_b64 s[14:15], s[14:15], 3
	s_add_u32 s14, s36, s14
	s_addc_u32 s15, s37, s15
	s_add_u32 s8, s8, 1
	s_addc_u32 s9, s9, 0
	;; [unrolled: 2-line block ×3, first 2 shown]
	s_cmp_lg_u32 s8, s48
	global_store_dwordx2 v4, v[0:1], s[14:15]
	s_cbranch_scc0 .LBB125_160
.LBB125_154:                            ; =>This Loop Header: Depth=1
                                        ;     Child Loop BB125_156 Depth 2
	s_mov_b32 s10, s8
	s_lshl_b64 s[14:15], s[10:11], 3
	s_add_u32 s14, s36, s14
	s_addc_u32 s15, s37, s15
	global_load_dwordx2 v[0:1], v4, s[14:15]
	s_mov_b64 s[16:17], s[12:13]
	s_mov_b64 s[14:15], s[8:9]
	s_branch .LBB125_156
.LBB125_155:                            ;   in Loop: Header=BB125_156 Depth=2
	s_add_u32 s18, s14, 0xfffffed3
	s_addc_u32 s19, s15, -1
	global_store_dwordx2 v4, v[2:3], s[16:17] offset:2408
	s_add_u32 s16, s16, 0xfffff698
	s_addc_u32 s17, s17, -1
	s_cmpk_lt_i32 s14, 0x25a
	s_mov_b64 s[20:21], 0
	s_cselect_b64 s[22:23], -1, 0
	s_mov_b64 s[14:15], s[18:19]
	s_andn2_b64 vcc, exec, s[22:23]
	s_cbranch_vccz .LBB125_158
.LBB125_156:                            ;   Parent Loop BB125_154 Depth=1
                                        ; =>  This Inner Loop Header: Depth=2
	global_load_dwordx2 v[2:3], v4, s[16:17]
	s_mov_b64 s[20:21], -1
	s_waitcnt vmcnt(0)
	v_cmp_nlt_f64_e32 vcc, v[2:3], v[0:1]
	s_cbranch_vccz .LBB125_155
; %bb.157:                              ;   in Loop: Header=BB125_154 Depth=1
                                        ; implicit-def: $sgpr16_sgpr17
                                        ; implicit-def: $sgpr18_sgpr19
.LBB125_158:                            ;   in Loop: Header=BB125_154 Depth=1
	s_andn2_b64 vcc, exec, s[20:21]
	s_cbranch_vccz .LBB125_153
; %bb.159:                              ;   in Loop: Header=BB125_154 Depth=1
	s_bfe_i64 s[14:15], s[18:19], 0x200000
	s_branch .LBB125_153
.LBB125_160:
	s_cmpk_lt_i32 s48, 0x85
	s_cbranch_scc1 .LBB125_169
; %bb.161:
	s_mov_b64 s[8:9], 0x84
	s_mov_b32 s11, 0
	v_mov_b32_e32 v4, 0
	s_mov_b64 s[12:13], s[36:37]
	s_branch .LBB125_163
.LBB125_162:                            ;   in Loop: Header=BB125_163 Depth=1
	s_lshl_b64 s[14:15], s[14:15], 3
	s_add_u32 s14, s36, s14
	s_addc_u32 s15, s37, s15
	s_add_u32 s8, s8, 1
	s_addc_u32 s9, s9, 0
	;; [unrolled: 2-line block ×3, first 2 shown]
	s_cmp_lg_u32 s8, s48
	global_store_dwordx2 v4, v[0:1], s[14:15]
	s_cbranch_scc0 .LBB125_169
.LBB125_163:                            ; =>This Loop Header: Depth=1
                                        ;     Child Loop BB125_165 Depth 2
	s_mov_b32 s10, s8
	s_lshl_b64 s[14:15], s[10:11], 3
	s_add_u32 s14, s36, s14
	s_addc_u32 s15, s37, s15
	global_load_dwordx2 v[0:1], v4, s[14:15]
	s_mov_b64 s[16:17], s[12:13]
	s_mov_b64 s[14:15], s[8:9]
	s_branch .LBB125_165
.LBB125_164:                            ;   in Loop: Header=BB125_165 Depth=2
	s_add_u32 s18, s14, 0xffffff7c
	s_addc_u32 s19, s15, -1
	global_store_dwordx2 v4, v[2:3], s[16:17] offset:1056
	s_add_u32 s16, s16, 0xfffffbe0
	s_addc_u32 s17, s17, -1
	s_cmpk_lt_i32 s14, 0x108
	s_mov_b64 s[20:21], 0
	s_cselect_b64 s[22:23], -1, 0
	s_mov_b64 s[14:15], s[18:19]
	s_andn2_b64 vcc, exec, s[22:23]
	s_cbranch_vccz .LBB125_167
.LBB125_165:                            ;   Parent Loop BB125_163 Depth=1
                                        ; =>  This Inner Loop Header: Depth=2
	global_load_dwordx2 v[2:3], v4, s[16:17]
	s_mov_b64 s[20:21], -1
	s_waitcnt vmcnt(0)
	v_cmp_nlt_f64_e32 vcc, v[2:3], v[0:1]
	s_cbranch_vccz .LBB125_164
; %bb.166:                              ;   in Loop: Header=BB125_163 Depth=1
                                        ; implicit-def: $sgpr16_sgpr17
                                        ; implicit-def: $sgpr18_sgpr19
.LBB125_167:                            ;   in Loop: Header=BB125_163 Depth=1
	s_andn2_b64 vcc, exec, s[20:21]
	s_cbranch_vccz .LBB125_162
; %bb.168:                              ;   in Loop: Header=BB125_163 Depth=1
	s_bfe_i64 s[14:15], s[18:19], 0x200000
	s_branch .LBB125_162
.LBB125_169:
	s_cmp_lt_i32 s48, 58
	s_cbranch_scc1 .LBB125_178
; %bb.170:
	s_mov_b64 s[8:9], 57
	s_mov_b32 s11, 0
	v_mov_b32_e32 v4, 0
	s_mov_b64 s[12:13], s[36:37]
	s_branch .LBB125_172
.LBB125_171:                            ;   in Loop: Header=BB125_172 Depth=1
	s_lshl_b64 s[14:15], s[14:15], 3
	s_add_u32 s14, s36, s14
	s_addc_u32 s15, s37, s15
	s_add_u32 s8, s8, 1
	s_addc_u32 s9, s9, 0
	;; [unrolled: 2-line block ×3, first 2 shown]
	s_cmp_lg_u32 s8, s48
	global_store_dwordx2 v4, v[0:1], s[14:15]
	s_cbranch_scc0 .LBB125_178
.LBB125_172:                            ; =>This Loop Header: Depth=1
                                        ;     Child Loop BB125_174 Depth 2
	s_mov_b32 s10, s8
	s_lshl_b64 s[14:15], s[10:11], 3
	s_add_u32 s14, s36, s14
	s_addc_u32 s15, s37, s15
	global_load_dwordx2 v[0:1], v4, s[14:15]
	s_mov_b64 s[16:17], s[12:13]
	s_mov_b64 s[14:15], s[8:9]
	s_branch .LBB125_174
.LBB125_173:                            ;   in Loop: Header=BB125_174 Depth=2
	s_add_u32 s18, s14, 0xffffffc7
	s_addc_u32 s19, s15, -1
	global_store_dwordx2 v4, v[2:3], s[16:17] offset:456
	s_add_u32 s16, s16, 0xfffffe38
	s_addc_u32 s17, s17, -1
	s_cmpk_lt_i32 s14, 0x72
	s_mov_b64 s[20:21], 0
	s_cselect_b64 s[22:23], -1, 0
	s_mov_b64 s[14:15], s[18:19]
	s_andn2_b64 vcc, exec, s[22:23]
	s_cbranch_vccz .LBB125_176
.LBB125_174:                            ;   Parent Loop BB125_172 Depth=1
                                        ; =>  This Inner Loop Header: Depth=2
	global_load_dwordx2 v[2:3], v4, s[16:17]
	s_mov_b64 s[20:21], -1
	s_waitcnt vmcnt(0)
	v_cmp_nlt_f64_e32 vcc, v[2:3], v[0:1]
	s_cbranch_vccz .LBB125_173
; %bb.175:                              ;   in Loop: Header=BB125_172 Depth=1
                                        ; implicit-def: $sgpr16_sgpr17
                                        ; implicit-def: $sgpr18_sgpr19
.LBB125_176:                            ;   in Loop: Header=BB125_172 Depth=1
	s_andn2_b64 vcc, exec, s[20:21]
	s_cbranch_vccz .LBB125_171
; %bb.177:                              ;   in Loop: Header=BB125_172 Depth=1
	s_bfe_i64 s[14:15], s[18:19], 0x200000
	s_branch .LBB125_171
.LBB125_178:
	s_cmp_lt_i32 s48, 24
	s_cbranch_scc1 .LBB125_187
; %bb.179:
	s_mov_b64 s[8:9], 23
	s_mov_b32 s11, 0
	v_mov_b32_e32 v4, 0
	s_mov_b64 s[12:13], s[36:37]
	s_branch .LBB125_181
.LBB125_180:                            ;   in Loop: Header=BB125_181 Depth=1
	s_lshl_b64 s[14:15], s[14:15], 3
	s_add_u32 s14, s36, s14
	s_addc_u32 s15, s37, s15
	s_add_u32 s8, s8, 1
	s_addc_u32 s9, s9, 0
	;; [unrolled: 2-line block ×3, first 2 shown]
	s_cmp_lg_u32 s8, s48
	global_store_dwordx2 v4, v[0:1], s[14:15]
	s_cbranch_scc0 .LBB125_187
.LBB125_181:                            ; =>This Loop Header: Depth=1
                                        ;     Child Loop BB125_183 Depth 2
	s_mov_b32 s10, s8
	s_lshl_b64 s[14:15], s[10:11], 3
	s_add_u32 s14, s36, s14
	s_addc_u32 s15, s37, s15
	global_load_dwordx2 v[0:1], v4, s[14:15]
	s_mov_b64 s[16:17], s[12:13]
	s_mov_b64 s[14:15], s[8:9]
	s_branch .LBB125_183
.LBB125_182:                            ;   in Loop: Header=BB125_183 Depth=2
	s_add_u32 s18, s14, 0xffffffe9
	s_addc_u32 s19, s15, -1
	global_store_dwordx2 v4, v[2:3], s[16:17] offset:184
	s_add_u32 s16, s16, 0xffffff48
	s_addc_u32 s17, s17, -1
	s_cmp_lt_i32 s14, 46
	s_mov_b64 s[20:21], 0
	s_cselect_b64 s[22:23], -1, 0
	s_mov_b64 s[14:15], s[18:19]
	s_andn2_b64 vcc, exec, s[22:23]
	s_cbranch_vccz .LBB125_185
.LBB125_183:                            ;   Parent Loop BB125_181 Depth=1
                                        ; =>  This Inner Loop Header: Depth=2
	global_load_dwordx2 v[2:3], v4, s[16:17]
	s_mov_b64 s[20:21], -1
	s_waitcnt vmcnt(0)
	v_cmp_nlt_f64_e32 vcc, v[2:3], v[0:1]
	s_cbranch_vccz .LBB125_182
; %bb.184:                              ;   in Loop: Header=BB125_181 Depth=1
                                        ; implicit-def: $sgpr16_sgpr17
                                        ; implicit-def: $sgpr18_sgpr19
.LBB125_185:                            ;   in Loop: Header=BB125_181 Depth=1
	s_andn2_b64 vcc, exec, s[20:21]
	s_cbranch_vccz .LBB125_180
; %bb.186:                              ;   in Loop: Header=BB125_181 Depth=1
	s_bfe_i64 s[14:15], s[18:19], 0x200000
	s_branch .LBB125_180
.LBB125_187:
	s_cmp_lt_i32 s48, 11
	s_cbranch_scc1 .LBB125_196
; %bb.188:
	s_mov_b64 s[8:9], 10
	s_mov_b32 s11, 0
	v_mov_b32_e32 v4, 0
	s_mov_b64 s[12:13], s[36:37]
	s_branch .LBB125_190
.LBB125_189:                            ;   in Loop: Header=BB125_190 Depth=1
	s_lshl_b64 s[14:15], s[14:15], 3
	s_add_u32 s14, s36, s14
	s_addc_u32 s15, s37, s15
	s_add_u32 s8, s8, 1
	s_addc_u32 s9, s9, 0
	;; [unrolled: 2-line block ×3, first 2 shown]
	s_cmp_lg_u32 s8, s48
	global_store_dwordx2 v4, v[0:1], s[14:15]
	s_cbranch_scc0 .LBB125_196
.LBB125_190:                            ; =>This Loop Header: Depth=1
                                        ;     Child Loop BB125_192 Depth 2
	s_mov_b32 s10, s8
	s_lshl_b64 s[14:15], s[10:11], 3
	s_add_u32 s14, s36, s14
	s_addc_u32 s15, s37, s15
	global_load_dwordx2 v[0:1], v4, s[14:15]
	s_mov_b64 s[16:17], s[12:13]
	s_mov_b64 s[14:15], s[8:9]
	s_branch .LBB125_192
.LBB125_191:                            ;   in Loop: Header=BB125_192 Depth=2
	s_add_u32 s18, s14, -10
	s_addc_u32 s19, s15, -1
	global_store_dwordx2 v4, v[2:3], s[16:17] offset:80
	s_add_u32 s16, s16, 0xffffffb0
	s_addc_u32 s17, s17, -1
	s_cmp_lt_i32 s14, 20
	s_mov_b64 s[20:21], 0
	s_cselect_b64 s[22:23], -1, 0
	s_mov_b64 s[14:15], s[18:19]
	s_andn2_b64 vcc, exec, s[22:23]
	s_cbranch_vccz .LBB125_194
.LBB125_192:                            ;   Parent Loop BB125_190 Depth=1
                                        ; =>  This Inner Loop Header: Depth=2
	global_load_dwordx2 v[2:3], v4, s[16:17]
	s_mov_b64 s[20:21], -1
	s_waitcnt vmcnt(0)
	v_cmp_nlt_f64_e32 vcc, v[2:3], v[0:1]
	s_cbranch_vccz .LBB125_191
; %bb.193:                              ;   in Loop: Header=BB125_190 Depth=1
                                        ; implicit-def: $sgpr16_sgpr17
                                        ; implicit-def: $sgpr18_sgpr19
.LBB125_194:                            ;   in Loop: Header=BB125_190 Depth=1
	s_andn2_b64 vcc, exec, s[20:21]
	s_cbranch_vccz .LBB125_189
; %bb.195:                              ;   in Loop: Header=BB125_190 Depth=1
	s_bfe_i64 s[14:15], s[18:19], 0x200000
	s_branch .LBB125_189
.LBB125_196:
	s_cmp_lt_i32 s48, 5
	s_cbranch_scc1 .LBB125_205
; %bb.197:
	s_add_u32 s8, s54, s52
	s_addc_u32 s9, s55, s53
	s_add_u32 s8, s8, 32
	s_addc_u32 s9, s9, 0
	s_mov_b64 s[10:11], 4
	s_mov_b32 s13, 0
	v_mov_b32_e32 v4, 0
	s_branch .LBB125_199
.LBB125_198:                            ;   in Loop: Header=BB125_199 Depth=1
	s_lshl_b64 s[14:15], s[14:15], 3
	s_add_u32 s14, s36, s14
	s_addc_u32 s15, s37, s15
	s_add_u32 s10, s10, 1
	s_addc_u32 s11, s11, 0
	;; [unrolled: 2-line block ×3, first 2 shown]
	s_cmp_lg_u32 s10, s48
	global_store_dwordx2 v4, v[0:1], s[14:15]
	s_cbranch_scc0 .LBB125_205
.LBB125_199:                            ; =>This Loop Header: Depth=1
                                        ;     Child Loop BB125_201 Depth 2
	s_mov_b32 s12, s10
	s_lshl_b64 s[14:15], s[12:13], 3
	s_add_u32 s14, s36, s14
	s_addc_u32 s15, s37, s15
	global_load_dwordx2 v[0:1], v4, s[14:15]
	s_mov_b64 s[16:17], s[8:9]
	s_mov_b64 s[14:15], s[10:11]
	s_branch .LBB125_201
.LBB125_200:                            ;   in Loop: Header=BB125_201 Depth=2
	s_add_u32 s20, s14, -4
	s_addc_u32 s21, s15, -1
	s_cmp_lt_i32 s14, 8
	global_store_dwordx2 v4, v[2:3], s[16:17]
	s_mov_b64 s[18:19], 0
	s_cselect_b64 s[24:25], -1, 0
	s_mov_b64 s[14:15], s[20:21]
	s_mov_b64 s[16:17], s[22:23]
	s_andn2_b64 vcc, exec, s[24:25]
	s_cbranch_vccz .LBB125_203
.LBB125_201:                            ;   Parent Loop BB125_199 Depth=1
                                        ; =>  This Inner Loop Header: Depth=2
	global_load_dwordx2 v[2:3], v4, s[16:17] offset:-32
	s_add_u32 s22, s16, 0xffffffe0
	s_addc_u32 s23, s17, -1
	s_mov_b64 s[18:19], -1
	s_waitcnt vmcnt(0)
	v_cmp_nlt_f64_e32 vcc, v[2:3], v[0:1]
	s_cbranch_vccz .LBB125_200
; %bb.202:                              ;   in Loop: Header=BB125_199 Depth=1
                                        ; implicit-def: $sgpr16_sgpr17
                                        ; implicit-def: $sgpr20_sgpr21
.LBB125_203:                            ;   in Loop: Header=BB125_199 Depth=1
	s_andn2_b64 vcc, exec, s[18:19]
	s_cbranch_vccz .LBB125_198
; %bb.204:                              ;   in Loop: Header=BB125_199 Depth=1
	s_bfe_i64 s[14:15], s[20:21], 0x200000
	s_branch .LBB125_198
.LBB125_205:
	s_cmp_lt_i32 s48, 2
	s_cbranch_scc1 .LBB125_212
; %bb.206:
	s_add_u32 s8, s54, s52
	s_addc_u32 s9, s55, s53
	s_add_u32 s8, s8, 8
	s_addc_u32 s9, s9, 0
	s_mov_b64 s[10:11], 1
	s_mov_b32 s13, 0
	v_mov_b32_e32 v4, 0
	s_branch .LBB125_208
.LBB125_207:                            ;   in Loop: Header=BB125_208 Depth=1
	s_lshl_b64 s[14:15], s[18:19], 3
	s_add_u32 s14, s36, s14
	s_addc_u32 s15, s37, s15
	s_add_u32 s10, s10, 1
	s_addc_u32 s11, s11, 0
	;; [unrolled: 2-line block ×3, first 2 shown]
	s_cmp_eq_u32 s10, s48
	global_store_dwordx2 v4, v[0:1], s[14:15]
	s_cbranch_scc1 .LBB125_212
.LBB125_208:                            ; =>This Loop Header: Depth=1
                                        ;     Child Loop BB125_210 Depth 2
	s_mov_b32 s12, s10
	s_lshl_b64 s[14:15], s[12:13], 3
	s_add_u32 s14, s36, s14
	s_addc_u32 s15, s37, s15
	global_load_dwordx2 v[0:1], v4, s[14:15]
	s_mov_b64 s[16:17], s[8:9]
	s_mov_b64 s[14:15], s[10:11]
	s_branch .LBB125_210
.LBB125_209:                            ;   in Loop: Header=BB125_210 Depth=2
	global_store_dwordx2 v4, v[2:3], s[16:17]
	s_add_u32 s16, s14, -1
	s_addc_u32 s17, s15, -1
	s_cmp_lt_i32 s14, 2
	s_mov_b64 s[18:19], 0
	s_cselect_b64 s[20:21], -1, 0
	s_mov_b64 s[14:15], s[16:17]
	s_mov_b64 s[16:17], s[22:23]
	s_andn2_b64 vcc, exec, s[20:21]
	s_cbranch_vccz .LBB125_207
.LBB125_210:                            ;   Parent Loop BB125_208 Depth=1
                                        ; =>  This Inner Loop Header: Depth=2
	global_load_dwordx2 v[2:3], v4, s[16:17] offset:-8
	s_add_u32 s22, s16, -8
	s_addc_u32 s23, s17, -1
	s_mov_b64 s[20:21], -1
	s_waitcnt vmcnt(0)
	v_cmp_nlt_f64_e32 vcc, v[2:3], v[0:1]
	s_cbranch_vccz .LBB125_209
; %bb.211:                              ;   in Loop: Header=BB125_210 Depth=2
                                        ; implicit-def: $sgpr16_sgpr17
	s_mov_b64 s[18:19], s[14:15]
	s_andn2_b64 vcc, exec, s[20:21]
	s_cbranch_vccnz .LBB125_210
	s_branch .LBB125_207
.LBB125_212:
	s_or_b64 exec, exec, s[6:7]
	s_cmp_lt_i32 s48, 2
	s_cselect_b64 s[10:11], -1, 0
	s_mov_b64 s[58:59], 0
	s_and_b64 vcc, exec, s[10:11]
	s_barrier
	s_cbranch_vccnz .LBB125_220
; %bb.213:
	s_add_i32 s20, s48, -1
	v_cmp_gt_u32_e32 vcc, s20, v41
	s_mov_b64 s[10:11], -1
	s_mov_b64 s[6:7], 0
	s_and_saveexec_b64 s[8:9], vcc
	s_cbranch_execz .LBB125_222
; %bb.214:
	s_add_u32 s21, s36, 8
	s_addc_u32 s22, s37, 0
	s_mov_b64 s[10:11], 0
	v_mov_b32_e32 v1, 0
	v_mov_b32_e32 v4, s37
	v_mov_b32_e32 v0, v41
                                        ; implicit-def: $sgpr12_sgpr13
	s_branch .LBB125_216
.LBB125_215:                            ;   in Loop: Header=BB125_216 Depth=1
	s_or_b64 exec, exec, s[18:19]
	s_xor_b64 s[14:15], s[14:15], -1
	s_and_b64 s[6:7], exec, s[6:7]
	s_or_b64 s[10:11], s[6:7], s[10:11]
	s_andn2_b64 s[6:7], s[12:13], exec
	s_and_b64 s[12:13], s[14:15], exec
	s_or_b64 s[12:13], s[6:7], s[12:13]
	s_andn2_b64 exec, exec, s[10:11]
	s_cbranch_execz .LBB125_221
.LBB125_216:                            ; =>This Inner Loop Header: Depth=1
	v_lshlrev_b64 v[2:3], 3, v[0:1]
	v_add_co_u32_e32 v2, vcc, s36, v2
	v_addc_co_u32_e32 v3, vcc, v4, v3, vcc
	global_load_dwordx2 v[2:3], v[2:3], off
                                        ; implicit-def: $sgpr14_sgpr15
	s_waitcnt vmcnt(0)
	v_cmp_u_f64_e64 s[16:17], v[2:3], v[2:3]
	v_cmp_o_f64_e32 vcc, v[2:3], v[2:3]
	s_and_saveexec_b64 s[18:19], vcc
	s_cbranch_execz .LBB125_218
; %bb.217:                              ;   in Loop: Header=BB125_216 Depth=1
	v_ashrrev_i32_e32 v7, 31, v0
	v_mov_b32_e32 v6, v0
	v_lshlrev_b64 v[6:7], 3, v[6:7]
	v_mov_b32_e32 v5, s22
	v_add_co_u32_e32 v6, vcc, s21, v6
	v_addc_co_u32_e32 v7, vcc, v5, v7, vcc
	global_load_dwordx2 v[6:7], v[6:7], off
	s_andn2_b64 s[16:17], s[16:17], exec
	s_mov_b64 s[14:15], -1
	s_waitcnt vmcnt(0)
	v_cmp_u_f64_e32 vcc, v[6:7], v[6:7]
	v_cmp_ge_f64_e64 s[6:7], v[2:3], v[6:7]
	s_or_b64 s[6:7], vcc, s[6:7]
	s_and_b64 s[6:7], s[6:7], exec
	s_or_b64 s[16:17], s[16:17], s[6:7]
.LBB125_218:                            ;   in Loop: Header=BB125_216 Depth=1
	s_or_b64 exec, exec, s[18:19]
	s_mov_b64 s[6:7], -1
	s_and_saveexec_b64 s[18:19], s[16:17]
	s_cbranch_execz .LBB125_215
; %bb.219:                              ;   in Loop: Header=BB125_216 Depth=1
	v_add_u32_e32 v0, s60, v0
	v_cmp_le_u32_e32 vcc, s20, v0
	s_andn2_b64 s[14:15], s[14:15], exec
	s_orn2_b64 s[6:7], vcc, exec
	s_branch .LBB125_215
.LBB125_220:
	s_mov_b64 s[6:7], 0
	s_branch .LBB125_223
.LBB125_221:
	s_or_b64 exec, exec, s[10:11]
	s_mov_b64 s[6:7], exec
	s_orn2_b64 s[10:11], s[12:13], exec
.LBB125_222:
	s_or_b64 exec, exec, s[8:9]
.LBB125_223:
	s_and_saveexec_b64 s[8:9], s[10:11]
	s_cbranch_execz .LBB125_225
; %bb.224:
	s_mov_b64 s[58:59], exec
	s_barrier
	s_andn2_b64 s[6:7], s[6:7], exec
.LBB125_225:
	s_or_b64 exec, exec, s[8:9]
	s_and_saveexec_b64 s[40:41], s[6:7]
	s_cbranch_execz .LBB125_227
; %bb.226:
	s_add_u32 s8, s4, 0x90
	s_addc_u32 s9, s5, 0
	s_getpc_b64 s[4:5]
	s_add_u32 s4, s4, __PRETTY_FUNCTION__._ZN9rocsolver6v33100L21shell_sort_descendingIdiEEvT0_PT_PS2_@rel32@lo+4
	s_addc_u32 s5, s5, __PRETTY_FUNCTION__._ZN9rocsolver6v33100L21shell_sort_descendingIdiEEvT0_PT_PS2_@rel32@hi+12
	v_mov_b32_e32 v0, s4
	v_mov_b32_e32 v1, s5
	s_getpc_b64 s[6:7]
	s_add_u32 s6, s6, __assert_fail@rel32@lo+4
	s_addc_u32 s7, s7, __assert_fail@rel32@hi+12
	s_swappc_b64 s[30:31], s[6:7]
	s_or_b64 s[64:65], s[64:65], exec
.LBB125_227:
	s_or_b64 exec, exec, s[40:41]
.LBB125_228:
	s_and_saveexec_b64 s[4:5], s[64:65]
; %bb.229:
	; divergent unreachable
; %bb.230:
	s_or_b64 exec, exec, s[4:5]
	s_and_saveexec_b64 s[4:5], s[58:59]
	s_cbranch_execz .LBB125_232
; %bb.231:
	s_barrier
.LBB125_232:
	s_or_b64 exec, exec, s[4:5]
	s_cbranch_execnz .LBB125_256
.LBB125_233:
	s_cmp_lt_i32 s48, 2
	s_cbranch_scc1 .LBB125_256
; %bb.234:
	s_cmp_lg_u32 s49, 0
	s_cselect_b64 s[12:13], -1, 0
	s_cmp_lg_u32 s50, 0
	s_cselect_b64 s[14:15], -1, 0
	;; [unrolled: 2-line block ×3, first 2 shown]
	s_add_i32 s33, s48, -2
	s_add_u32 s18, s54, s52
	v_cndmask_b32_e64 v0, 0, 1, s[12:13]
	s_addc_u32 s21, s55, s53
	v_cmp_ne_u32_e64 s[12:13], 1, v0
	v_cndmask_b32_e64 v0, 0, 1, s[14:15]
	s_add_u32 s20, s18, 8
	v_cmp_ne_u32_e64 s[14:15], 1, v0
	v_cndmask_b32_e64 v0, 0, 1, s[16:17]
	s_mov_b32 s19, 0
	v_cmp_eq_u32_e64 s[4:5], 0, v41
	v_cmp_gt_i32_e64 s[6:7], s49, v41
	v_cmp_gt_i32_e64 s[8:9], s50, v41
	;; [unrolled: 1-line block ×3, first 2 shown]
	s_addc_u32 s21, s21, 0
	v_mul_lo_u32 v2, s47, v41
	s_mul_i32 s40, s47, s42
	v_mul_lo_u32 v3, s61, v41
	s_mul_i32 s41, s61, s42
	v_mov_b32_e32 v4, 0
	v_cmp_ne_u32_e64 s[16:17], 1, v0
	s_mov_b32 s47, 0
	s_mov_b32 s52, 0
	s_branch .LBB125_237
.LBB125_235:                            ;   in Loop: Header=BB125_237 Depth=1
	s_or_b64 exec, exec, s[24:25]
	s_waitcnt lgkmcnt(0)
	s_barrier
.LBB125_236:                            ;   in Loop: Header=BB125_237 Depth=1
	s_add_u32 s20, s20, 8
	s_addc_u32 s21, s21, 0
	s_add_i32 s47, s47, s43
	s_cmp_eq_u32 s18, s33
	s_cbranch_scc1 .LBB125_256
.LBB125_237:                            ; =>This Loop Header: Depth=1
                                        ;     Child Loop BB125_238 Depth 2
                                        ;     Child Loop BB125_245 Depth 2
	;; [unrolled: 1-line block ×4, first 2 shown]
	s_mov_b32 s18, s52
	s_lshl_b64 s[22:23], s[18:19], 3
	s_add_u32 s24, s36, s22
	s_addc_u32 s25, s37, s23
	global_load_dwordx2 v[0:1], v4, s[24:25]
	s_add_i32 s52, s52, 1
	s_mov_b64 s[30:31], s[20:21]
	s_mov_b32 s23, s52
	s_mov_b32 s22, s18
.LBB125_238:                            ;   Parent Loop BB125_237 Depth=1
                                        ; =>  This Inner Loop Header: Depth=2
	global_load_dwordx2 v[6:7], v4, s[30:31]
	s_waitcnt vmcnt(0)
	v_cmp_gt_f64_e32 vcc, v[6:7], v[0:1]
	s_and_b64 s[54:55], vcc, exec
	s_cselect_b32 s22, s23, s22
	s_add_i32 s23, s23, 1
	s_add_u32 s30, s30, 8
	s_addc_u32 s31, s31, 0
	v_cndmask_b32_e32 v1, v1, v7, vcc
	s_cmp_lt_i32 s23, s48
	v_cndmask_b32_e32 v0, v0, v6, vcc
	s_cbranch_scc1 .LBB125_238
; %bb.239:                              ;   in Loop: Header=BB125_237 Depth=1
	s_cmp_eq_u32 s22, s18
	s_barrier
	s_cbranch_scc1 .LBB125_236
; %bb.240:                              ;   in Loop: Header=BB125_237 Depth=1
	s_and_saveexec_b64 s[30:31], s[4:5]
	s_cbranch_execz .LBB125_242
; %bb.241:                              ;   in Loop: Header=BB125_237 Depth=1
	global_load_dwordx2 v[6:7], v4, s[24:25]
	s_ashr_i32 s23, s22, 31
	s_lshl_b64 s[54:55], s[22:23], 3
	s_add_u32 s54, s36, s54
	s_addc_u32 s55, s37, s55
	s_waitcnt vmcnt(0)
	global_store_dwordx2 v4, v[6:7], s[54:55]
	global_store_dwordx2 v4, v[0:1], s[24:25]
.LBB125_242:                            ;   in Loop: Header=BB125_237 Depth=1
	s_or_b64 exec, exec, s[30:31]
	s_and_b64 vcc, exec, s[12:13]
	s_cbranch_vccnz .LBB125_247
; %bb.243:                              ;   in Loop: Header=BB125_237 Depth=1
	s_and_saveexec_b64 s[24:25], s[6:7]
	s_cbranch_execz .LBB125_246
; %bb.244:                              ;   in Loop: Header=BB125_237 Depth=1
	s_mov_b64 s[30:31], 0
	v_mov_b32_e32 v0, v2
	v_mov_b32_e32 v1, v41
.LBB125_245:                            ;   Parent Loop BB125_237 Depth=1
                                        ; =>  This Inner Loop Header: Depth=2
	v_add_u32_e32 v6, s22, v0
	v_ashrrev_i32_e32 v7, 31, v6
	v_add_u32_e32 v8, s18, v0
	v_lshlrev_b64 v[6:7], 3, v[6:7]
	v_mov_b32_e32 v5, s35
	v_ashrrev_i32_e32 v9, 31, v8
	v_add_co_u32_e32 v6, vcc, s34, v6
	v_lshlrev_b64 v[8:9], 3, v[8:9]
	v_addc_co_u32_e32 v7, vcc, v5, v7, vcc
	v_add_co_u32_e32 v8, vcc, s34, v8
	v_addc_co_u32_e32 v9, vcc, v5, v9, vcc
	flat_load_dwordx2 v[10:11], v[8:9]
	flat_load_dwordx2 v[12:13], v[6:7]
	v_add_u32_e32 v1, s42, v1
	v_cmp_le_i32_e32 vcc, s49, v1
	v_add_u32_e32 v0, s40, v0
	s_or_b64 s[30:31], vcc, s[30:31]
	s_waitcnt vmcnt(0) lgkmcnt(0)
	flat_store_dwordx2 v[6:7], v[10:11]
	flat_store_dwordx2 v[8:9], v[12:13]
	s_andn2_b64 exec, exec, s[30:31]
	s_cbranch_execnz .LBB125_245
.LBB125_246:                            ;   in Loop: Header=BB125_237 Depth=1
	s_or_b64 exec, exec, s[24:25]
	s_waitcnt lgkmcnt(0)
	s_barrier
.LBB125_247:                            ;   in Loop: Header=BB125_237 Depth=1
	s_and_b64 vcc, exec, s[14:15]
	s_cbranch_vccnz .LBB125_252
; %bb.248:                              ;   in Loop: Header=BB125_237 Depth=1
	s_and_saveexec_b64 s[24:25], s[8:9]
	s_cbranch_execz .LBB125_251
; %bb.249:                              ;   in Loop: Header=BB125_237 Depth=1
	s_mul_i32 s23, s22, s43
	s_mov_b64 s[30:31], 0
	v_mov_b32_e32 v0, v41
.LBB125_250:                            ;   Parent Loop BB125_237 Depth=1
                                        ; =>  This Inner Loop Header: Depth=2
	v_add_u32_e32 v6, s23, v0
	v_ashrrev_i32_e32 v7, 31, v6
	v_add_u32_e32 v8, s47, v0
	v_lshlrev_b64 v[6:7], 3, v[6:7]
	v_mov_b32_e32 v1, s29
	v_ashrrev_i32_e32 v9, 31, v8
	v_add_co_u32_e32 v6, vcc, s28, v6
	v_lshlrev_b64 v[8:9], 3, v[8:9]
	v_addc_co_u32_e32 v7, vcc, v1, v7, vcc
	v_add_co_u32_e32 v8, vcc, s28, v8
	v_addc_co_u32_e32 v9, vcc, v1, v9, vcc
	flat_load_dwordx2 v[10:11], v[8:9]
	flat_load_dwordx2 v[12:13], v[6:7]
	v_add_u32_e32 v0, s42, v0
	v_cmp_le_i32_e32 vcc, s50, v0
	s_or_b64 s[30:31], vcc, s[30:31]
	s_waitcnt vmcnt(0) lgkmcnt(0)
	flat_store_dwordx2 v[6:7], v[10:11]
	flat_store_dwordx2 v[8:9], v[12:13]
	s_andn2_b64 exec, exec, s[30:31]
	s_cbranch_execnz .LBB125_250
.LBB125_251:                            ;   in Loop: Header=BB125_237 Depth=1
	s_or_b64 exec, exec, s[24:25]
	s_waitcnt lgkmcnt(0)
	s_barrier
.LBB125_252:                            ;   in Loop: Header=BB125_237 Depth=1
	s_and_b64 vcc, exec, s[16:17]
	s_cbranch_vccnz .LBB125_236
; %bb.253:                              ;   in Loop: Header=BB125_237 Depth=1
	s_and_saveexec_b64 s[24:25], s[10:11]
	s_cbranch_execz .LBB125_235
; %bb.254:                              ;   in Loop: Header=BB125_237 Depth=1
	s_mov_b64 s[30:31], 0
	v_mov_b32_e32 v0, v3
	v_mov_b32_e32 v1, v41
.LBB125_255:                            ;   Parent Loop BB125_237 Depth=1
                                        ; =>  This Inner Loop Header: Depth=2
	v_add_u32_e32 v6, s22, v0
	v_ashrrev_i32_e32 v7, 31, v6
	v_add_u32_e32 v8, s18, v0
	v_lshlrev_b64 v[6:7], 3, v[6:7]
	v_mov_b32_e32 v5, s45
	v_ashrrev_i32_e32 v9, 31, v8
	v_add_co_u32_e32 v6, vcc, s44, v6
	v_lshlrev_b64 v[8:9], 3, v[8:9]
	v_addc_co_u32_e32 v7, vcc, v5, v7, vcc
	v_add_co_u32_e32 v8, vcc, s44, v8
	v_addc_co_u32_e32 v9, vcc, v5, v9, vcc
	flat_load_dwordx2 v[10:11], v[8:9]
	flat_load_dwordx2 v[12:13], v[6:7]
	v_add_u32_e32 v1, s42, v1
	v_cmp_le_i32_e32 vcc, s51, v1
	v_add_u32_e32 v0, s41, v0
	s_or_b64 s[30:31], vcc, s[30:31]
	s_waitcnt vmcnt(0) lgkmcnt(0)
	flat_store_dwordx2 v[6:7], v[10:11]
	flat_store_dwordx2 v[8:9], v[12:13]
	s_andn2_b64 exec, exec, s[30:31]
	s_cbranch_execnz .LBB125_255
	s_branch .LBB125_235
.LBB125_256:
	s_mov_b64 s[6:7], 0
.LBB125_257:
	s_andn2_b64 vcc, exec, s[6:7]
	s_cbranch_vccnz .LBB125_260
; %bb.258:
	v_cmp_eq_u32_e32 vcc, 0, v41
	s_and_saveexec_b64 s[4:5], vcc
	s_cbranch_execz .LBB125_260
; %bb.259:
	s_add_u32 s4, s38, s26
	s_addc_u32 s5, s39, s27
	v_mov_b32_e32 v0, 0
	v_mov_b32_e32 v1, s46
	global_store_dword v0, v1, s[4:5]
.LBB125_260:
	s_endpgm
	.section	.rodata,"a",@progbits
	.p2align	6, 0x0
	.amdhsa_kernel _ZN9rocsolver6v33100L14bdsqr_finalizeIddPdS2_S2_EEviiiiPT0_lS4_lT1_iilT2_iilT3_iilPiS8_S8_
		.amdhsa_group_segment_fixed_size 0
		.amdhsa_private_segment_fixed_size 64
		.amdhsa_kernarg_size 400
		.amdhsa_user_sgpr_count 8
		.amdhsa_user_sgpr_private_segment_buffer 1
		.amdhsa_user_sgpr_dispatch_ptr 0
		.amdhsa_user_sgpr_queue_ptr 0
		.amdhsa_user_sgpr_kernarg_segment_ptr 1
		.amdhsa_user_sgpr_dispatch_id 0
		.amdhsa_user_sgpr_flat_scratch_init 1
		.amdhsa_user_sgpr_kernarg_preload_length 0
		.amdhsa_user_sgpr_kernarg_preload_offset 0
		.amdhsa_user_sgpr_private_segment_size 0
		.amdhsa_uses_dynamic_stack 0
		.amdhsa_system_sgpr_private_segment_wavefront_offset 1
		.amdhsa_system_sgpr_workgroup_id_x 1
		.amdhsa_system_sgpr_workgroup_id_y 1
		.amdhsa_system_sgpr_workgroup_id_z 0
		.amdhsa_system_sgpr_workgroup_info 0
		.amdhsa_system_vgpr_workitem_id 2
		.amdhsa_next_free_vgpr 45
		.amdhsa_next_free_sgpr 78
		.amdhsa_accum_offset 48
		.amdhsa_reserve_vcc 1
		.amdhsa_reserve_flat_scratch 1
		.amdhsa_float_round_mode_32 0
		.amdhsa_float_round_mode_16_64 0
		.amdhsa_float_denorm_mode_32 3
		.amdhsa_float_denorm_mode_16_64 3
		.amdhsa_dx10_clamp 1
		.amdhsa_ieee_mode 1
		.amdhsa_fp16_overflow 0
		.amdhsa_tg_split 0
		.amdhsa_exception_fp_ieee_invalid_op 0
		.amdhsa_exception_fp_denorm_src 0
		.amdhsa_exception_fp_ieee_div_zero 0
		.amdhsa_exception_fp_ieee_overflow 0
		.amdhsa_exception_fp_ieee_underflow 0
		.amdhsa_exception_fp_ieee_inexact 0
		.amdhsa_exception_int_div_zero 0
	.end_amdhsa_kernel
	.section	.text._ZN9rocsolver6v33100L14bdsqr_finalizeIddPdS2_S2_EEviiiiPT0_lS4_lT1_iilT2_iilT3_iilPiS8_S8_,"axG",@progbits,_ZN9rocsolver6v33100L14bdsqr_finalizeIddPdS2_S2_EEviiiiPT0_lS4_lT1_iilT2_iilT3_iilPiS8_S8_,comdat
.Lfunc_end125:
	.size	_ZN9rocsolver6v33100L14bdsqr_finalizeIddPdS2_S2_EEviiiiPT0_lS4_lT1_iilT2_iilT3_iilPiS8_S8_, .Lfunc_end125-_ZN9rocsolver6v33100L14bdsqr_finalizeIddPdS2_S2_EEviiiiPT0_lS4_lT1_iilT2_iilT3_iilPiS8_S8_
                                        ; -- End function
	.section	.AMDGPU.csdata,"",@progbits
; Kernel info:
; codeLenInByte = 7824
; NumSgprs: 84
; NumVgprs: 45
; NumAgprs: 0
; TotalNumVgprs: 45
; ScratchSize: 64
; MemoryBound: 0
; FloatMode: 240
; IeeeMode: 1
; LDSByteSize: 0 bytes/workgroup (compile time only)
; SGPRBlocks: 10
; VGPRBlocks: 5
; NumSGPRsForWavesPerEU: 84
; NumVGPRsForWavesPerEU: 45
; AccumOffset: 48
; Occupancy: 8
; WaveLimiterHint : 1
; COMPUTE_PGM_RSRC2:SCRATCH_EN: 1
; COMPUTE_PGM_RSRC2:USER_SGPR: 8
; COMPUTE_PGM_RSRC2:TRAP_HANDLER: 0
; COMPUTE_PGM_RSRC2:TGID_X_EN: 1
; COMPUTE_PGM_RSRC2:TGID_Y_EN: 1
; COMPUTE_PGM_RSRC2:TGID_Z_EN: 0
; COMPUTE_PGM_RSRC2:TIDIG_COMP_CNT: 2
; COMPUTE_PGM_RSRC3_GFX90A:ACCUM_OFFSET: 11
; COMPUTE_PGM_RSRC3_GFX90A:TG_SPLIT: 0
	.section	.text._ZN9rocsolver6v33100L8copy_matIdPdPKS2_NS0_7no_maskEEEviiT0_iilT1_iilT2_13rocblas_fill_17rocblas_diagonal_,"axG",@progbits,_ZN9rocsolver6v33100L8copy_matIdPdPKS2_NS0_7no_maskEEEviiT0_iilT1_iilT2_13rocblas_fill_17rocblas_diagonal_,comdat
	.globl	_ZN9rocsolver6v33100L8copy_matIdPdPKS2_NS0_7no_maskEEEviiT0_iilT1_iilT2_13rocblas_fill_17rocblas_diagonal_ ; -- Begin function _ZN9rocsolver6v33100L8copy_matIdPdPKS2_NS0_7no_maskEEEviiT0_iilT1_iilT2_13rocblas_fill_17rocblas_diagonal_
	.p2align	8
	.type	_ZN9rocsolver6v33100L8copy_matIdPdPKS2_NS0_7no_maskEEEviiT0_iilT1_iilT2_13rocblas_fill_17rocblas_diagonal_,@function
_ZN9rocsolver6v33100L8copy_matIdPdPKS2_NS0_7no_maskEEEviiT0_iilT1_iilT2_13rocblas_fill_17rocblas_diagonal_: ; @_ZN9rocsolver6v33100L8copy_matIdPdPKS2_NS0_7no_maskEEEviiT0_iilT1_iilT2_13rocblas_fill_17rocblas_diagonal_
; %bb.0:
	s_load_dword s2, s[4:5], 0x54
	s_load_dwordx2 s[0:1], s[4:5], 0x0
	v_bfe_u32 v1, v0, 10, 10
	v_and_b32_e32 v0, 0x3ff, v0
	s_waitcnt lgkmcnt(0)
	s_lshr_b32 s3, s2, 16
	s_and_b32 s2, s2, 0xffff
	s_mul_i32 s7, s7, s3
	s_mul_i32 s6, s6, s2
	v_add_u32_e32 v1, s7, v1
	v_add_u32_e32 v0, s6, v0
	v_cmp_gt_u32_e32 vcc, s0, v0
	v_cmp_gt_u32_e64 s[0:1], s1, v1
	s_and_b64 s[0:1], s[0:1], vcc
	s_and_saveexec_b64 s[2:3], s[0:1]
	s_cbranch_execz .LBB126_14
; %bb.1:
	s_load_dwordx2 s[2:3], s[4:5], 0x3c
	s_waitcnt lgkmcnt(0)
	s_cmpk_lt_i32 s2, 0x7a
	s_cbranch_scc1 .LBB126_4
; %bb.2:
	s_cmpk_gt_i32 s2, 0x7a
	s_cbranch_scc0 .LBB126_5
; %bb.3:
	s_cmpk_lg_i32 s2, 0x7b
	s_mov_b64 s[6:7], -1
	s_cselect_b64 s[10:11], -1, 0
	s_cbranch_execz .LBB126_6
	s_branch .LBB126_7
.LBB126_4:
	s_mov_b64 s[10:11], 0
	s_mov_b64 s[6:7], 0
	s_cbranch_execnz .LBB126_8
	s_branch .LBB126_10
.LBB126_5:
	s_mov_b64 s[6:7], 0
	s_mov_b64 s[10:11], 0
.LBB126_6:
	v_cmp_gt_u32_e32 vcc, v0, v1
	v_cmp_le_u32_e64 s[0:1], v0, v1
	s_andn2_b64 s[6:7], s[6:7], exec
	s_and_b64 s[12:13], vcc, exec
	s_andn2_b64 s[10:11], s[10:11], exec
	s_and_b64 s[0:1], s[0:1], exec
	s_or_b64 s[6:7], s[6:7], s[12:13]
	s_or_b64 s[10:11], s[10:11], s[0:1]
.LBB126_7:
	s_branch .LBB126_10
.LBB126_8:
	s_cmpk_eq_i32 s2, 0x79
	s_mov_b64 s[10:11], -1
	s_cbranch_scc0 .LBB126_10
; %bb.9:
	v_cmp_gt_u32_e32 vcc, v1, v0
	v_cmp_le_u32_e64 s[0:1], v1, v0
	s_andn2_b64 s[6:7], s[6:7], exec
	s_and_b64 s[10:11], vcc, exec
	s_or_b64 s[6:7], s[6:7], s[10:11]
	s_orn2_b64 s[10:11], s[0:1], exec
.LBB126_10:
	s_and_saveexec_b64 s[0:1], s[10:11]
; %bb.11:
	s_cmpk_eq_i32 s3, 0x83
	s_cselect_b64 s[2:3], -1, 0
	v_cmp_eq_u32_e32 vcc, v0, v1
	s_and_b64 s[2:3], s[2:3], vcc
	s_andn2_b64 s[6:7], s[6:7], exec
	s_and_b64 s[2:3], s[2:3], exec
	s_or_b64 s[6:7], s[6:7], s[2:3]
; %bb.12:
	s_or_b64 exec, exec, s[0:1]
	s_and_b64 exec, exec, s[6:7]
	s_cbranch_execz .LBB126_14
; %bb.13:
	s_load_dwordx8 s[12:19], s[4:5], 0x8
	s_mov_b32 s9, 0
	s_waitcnt lgkmcnt(0)
	s_mul_i32 s3, s8, s17
	s_mul_hi_u32 s6, s8, s16
	s_mul_i32 s2, s8, s16
	s_add_i32 s3, s6, s3
	s_ashr_i32 s1, s14, 31
	s_lshl_b64 s[2:3], s[2:3], 3
	s_mov_b32 s0, s14
	s_add_u32 s2, s12, s2
	s_addc_u32 s3, s13, s3
	s_lshl_b64 s[0:1], s[0:1], 3
	s_add_u32 s2, s2, s0
	s_addc_u32 s3, s3, s1
	v_mad_u64_u32 v[2:3], s[0:1], v1, s15, v[0:1]
	v_mov_b32_e32 v3, 0
	v_lshlrev_b64 v[4:5], 3, v[2:3]
	v_mov_b32_e32 v2, s3
	v_add_co_u32_e32 v4, vcc, s2, v4
	v_addc_co_u32_e32 v5, vcc, v2, v5, vcc
	global_load_dwordx2 v[4:5], v[4:5], off
	s_load_dwordx2 s[0:1], s[4:5], 0x28
	s_lshl_b64 s[4:5], s[8:9], 3
	s_waitcnt lgkmcnt(0)
	s_ashr_i32 s3, s0, 31
	s_add_u32 s4, s18, s4
	s_addc_u32 s5, s19, s5
	s_load_dwordx2 s[4:5], s[4:5], 0x0
	s_mov_b32 s2, s0
	s_lshl_b64 s[2:3], s[2:3], 3
	v_mad_u64_u32 v[0:1], s[0:1], v1, s1, v[0:1]
	s_waitcnt lgkmcnt(0)
	s_add_u32 s2, s4, s2
	v_mov_b32_e32 v1, v3
	s_addc_u32 s3, s5, s3
	v_lshlrev_b64 v[0:1], 3, v[0:1]
	v_mov_b32_e32 v2, s3
	v_add_co_u32_e32 v0, vcc, s2, v0
	v_addc_co_u32_e32 v1, vcc, v2, v1, vcc
	s_waitcnt vmcnt(0)
	global_store_dwordx2 v[0:1], v[4:5], off
.LBB126_14:
	s_endpgm
	.section	.rodata,"a",@progbits
	.p2align	6, 0x0
	.amdhsa_kernel _ZN9rocsolver6v33100L8copy_matIdPdPKS2_NS0_7no_maskEEEviiT0_iilT1_iilT2_13rocblas_fill_17rocblas_diagonal_
		.amdhsa_group_segment_fixed_size 0
		.amdhsa_private_segment_fixed_size 0
		.amdhsa_kernarg_size 328
		.amdhsa_user_sgpr_count 6
		.amdhsa_user_sgpr_private_segment_buffer 1
		.amdhsa_user_sgpr_dispatch_ptr 0
		.amdhsa_user_sgpr_queue_ptr 0
		.amdhsa_user_sgpr_kernarg_segment_ptr 1
		.amdhsa_user_sgpr_dispatch_id 0
		.amdhsa_user_sgpr_flat_scratch_init 0
		.amdhsa_user_sgpr_kernarg_preload_length 0
		.amdhsa_user_sgpr_kernarg_preload_offset 0
		.amdhsa_user_sgpr_private_segment_size 0
		.amdhsa_uses_dynamic_stack 0
		.amdhsa_system_sgpr_private_segment_wavefront_offset 0
		.amdhsa_system_sgpr_workgroup_id_x 1
		.amdhsa_system_sgpr_workgroup_id_y 1
		.amdhsa_system_sgpr_workgroup_id_z 1
		.amdhsa_system_sgpr_workgroup_info 0
		.amdhsa_system_vgpr_workitem_id 1
		.amdhsa_next_free_vgpr 6
		.amdhsa_next_free_sgpr 20
		.amdhsa_accum_offset 8
		.amdhsa_reserve_vcc 1
		.amdhsa_reserve_flat_scratch 0
		.amdhsa_float_round_mode_32 0
		.amdhsa_float_round_mode_16_64 0
		.amdhsa_float_denorm_mode_32 3
		.amdhsa_float_denorm_mode_16_64 3
		.amdhsa_dx10_clamp 1
		.amdhsa_ieee_mode 1
		.amdhsa_fp16_overflow 0
		.amdhsa_tg_split 0
		.amdhsa_exception_fp_ieee_invalid_op 0
		.amdhsa_exception_fp_denorm_src 0
		.amdhsa_exception_fp_ieee_div_zero 0
		.amdhsa_exception_fp_ieee_overflow 0
		.amdhsa_exception_fp_ieee_underflow 0
		.amdhsa_exception_fp_ieee_inexact 0
		.amdhsa_exception_int_div_zero 0
	.end_amdhsa_kernel
	.section	.text._ZN9rocsolver6v33100L8copy_matIdPdPKS2_NS0_7no_maskEEEviiT0_iilT1_iilT2_13rocblas_fill_17rocblas_diagonal_,"axG",@progbits,_ZN9rocsolver6v33100L8copy_matIdPdPKS2_NS0_7no_maskEEEviiT0_iilT1_iilT2_13rocblas_fill_17rocblas_diagonal_,comdat
.Lfunc_end126:
	.size	_ZN9rocsolver6v33100L8copy_matIdPdPKS2_NS0_7no_maskEEEviiT0_iilT1_iilT2_13rocblas_fill_17rocblas_diagonal_, .Lfunc_end126-_ZN9rocsolver6v33100L8copy_matIdPdPKS2_NS0_7no_maskEEEviiT0_iilT1_iilT2_13rocblas_fill_17rocblas_diagonal_
                                        ; -- End function
	.section	.AMDGPU.csdata,"",@progbits
; Kernel info:
; codeLenInByte = 492
; NumSgprs: 24
; NumVgprs: 6
; NumAgprs: 0
; TotalNumVgprs: 6
; ScratchSize: 0
; MemoryBound: 0
; FloatMode: 240
; IeeeMode: 1
; LDSByteSize: 0 bytes/workgroup (compile time only)
; SGPRBlocks: 2
; VGPRBlocks: 0
; NumSGPRsForWavesPerEU: 24
; NumVGPRsForWavesPerEU: 6
; AccumOffset: 8
; Occupancy: 8
; WaveLimiterHint : 1
; COMPUTE_PGM_RSRC2:SCRATCH_EN: 0
; COMPUTE_PGM_RSRC2:USER_SGPR: 6
; COMPUTE_PGM_RSRC2:TRAP_HANDLER: 0
; COMPUTE_PGM_RSRC2:TGID_X_EN: 1
; COMPUTE_PGM_RSRC2:TGID_Y_EN: 1
; COMPUTE_PGM_RSRC2:TGID_Z_EN: 1
; COMPUTE_PGM_RSRC2:TIDIG_COMP_CNT: 1
; COMPUTE_PGM_RSRC3_GFX90A:ACCUM_OFFSET: 1
; COMPUTE_PGM_RSRC3_GFX90A:TG_SPLIT: 0
	.section	.text._ZN9rocsolver6v33100L6iota_nI19rocblas_complex_numIfEEEvPT_jS4_,"axG",@progbits,_ZN9rocsolver6v33100L6iota_nI19rocblas_complex_numIfEEEvPT_jS4_,comdat
	.globl	_ZN9rocsolver6v33100L6iota_nI19rocblas_complex_numIfEEEvPT_jS4_ ; -- Begin function _ZN9rocsolver6v33100L6iota_nI19rocblas_complex_numIfEEEvPT_jS4_
	.p2align	8
	.type	_ZN9rocsolver6v33100L6iota_nI19rocblas_complex_numIfEEEvPT_jS4_,@function
_ZN9rocsolver6v33100L6iota_nI19rocblas_complex_numIfEEEvPT_jS4_: ; @_ZN9rocsolver6v33100L6iota_nI19rocblas_complex_numIfEEEvPT_jS4_
; %bb.0:
	s_load_dword s0, s[4:5], 0x8
	s_waitcnt lgkmcnt(0)
	v_cmp_gt_u32_e32 vcc, s0, v0
	s_and_saveexec_b64 s[0:1], vcc
	s_cbranch_execz .LBB127_2
; %bb.1:
	s_load_dwordx2 s[0:1], s[4:5], 0xc
	s_load_dwordx2 s[2:3], s[4:5], 0x0
	v_cvt_f32_ubyte0_e32 v2, v0
	v_mov_b32_e32 v3, 0
	v_lshlrev_b32_e32 v4, 3, v0
	s_waitcnt lgkmcnt(0)
	v_pk_add_f32 v[0:1], s[0:1], v[2:3]
	global_store_dwordx2 v4, v[0:1], s[2:3]
.LBB127_2:
	s_endpgm
	.section	.rodata,"a",@progbits
	.p2align	6, 0x0
	.amdhsa_kernel _ZN9rocsolver6v33100L6iota_nI19rocblas_complex_numIfEEEvPT_jS4_
		.amdhsa_group_segment_fixed_size 0
		.amdhsa_private_segment_fixed_size 0
		.amdhsa_kernarg_size 20
		.amdhsa_user_sgpr_count 6
		.amdhsa_user_sgpr_private_segment_buffer 1
		.amdhsa_user_sgpr_dispatch_ptr 0
		.amdhsa_user_sgpr_queue_ptr 0
		.amdhsa_user_sgpr_kernarg_segment_ptr 1
		.amdhsa_user_sgpr_dispatch_id 0
		.amdhsa_user_sgpr_flat_scratch_init 0
		.amdhsa_user_sgpr_kernarg_preload_length 0
		.amdhsa_user_sgpr_kernarg_preload_offset 0
		.amdhsa_user_sgpr_private_segment_size 0
		.amdhsa_uses_dynamic_stack 0
		.amdhsa_system_sgpr_private_segment_wavefront_offset 0
		.amdhsa_system_sgpr_workgroup_id_x 1
		.amdhsa_system_sgpr_workgroup_id_y 0
		.amdhsa_system_sgpr_workgroup_id_z 0
		.amdhsa_system_sgpr_workgroup_info 0
		.amdhsa_system_vgpr_workitem_id 0
		.amdhsa_next_free_vgpr 5
		.amdhsa_next_free_sgpr 6
		.amdhsa_accum_offset 8
		.amdhsa_reserve_vcc 1
		.amdhsa_reserve_flat_scratch 0
		.amdhsa_float_round_mode_32 0
		.amdhsa_float_round_mode_16_64 0
		.amdhsa_float_denorm_mode_32 3
		.amdhsa_float_denorm_mode_16_64 3
		.amdhsa_dx10_clamp 1
		.amdhsa_ieee_mode 1
		.amdhsa_fp16_overflow 0
		.amdhsa_tg_split 0
		.amdhsa_exception_fp_ieee_invalid_op 0
		.amdhsa_exception_fp_denorm_src 0
		.amdhsa_exception_fp_ieee_div_zero 0
		.amdhsa_exception_fp_ieee_overflow 0
		.amdhsa_exception_fp_ieee_underflow 0
		.amdhsa_exception_fp_ieee_inexact 0
		.amdhsa_exception_int_div_zero 0
	.end_amdhsa_kernel
	.section	.text._ZN9rocsolver6v33100L6iota_nI19rocblas_complex_numIfEEEvPT_jS4_,"axG",@progbits,_ZN9rocsolver6v33100L6iota_nI19rocblas_complex_numIfEEEvPT_jS4_,comdat
.Lfunc_end127:
	.size	_ZN9rocsolver6v33100L6iota_nI19rocblas_complex_numIfEEEvPT_jS4_, .Lfunc_end127-_ZN9rocsolver6v33100L6iota_nI19rocblas_complex_numIfEEEvPT_jS4_
                                        ; -- End function
	.section	.AMDGPU.csdata,"",@progbits
; Kernel info:
; codeLenInByte = 76
; NumSgprs: 10
; NumVgprs: 5
; NumAgprs: 0
; TotalNumVgprs: 5
; ScratchSize: 0
; MemoryBound: 0
; FloatMode: 240
; IeeeMode: 1
; LDSByteSize: 0 bytes/workgroup (compile time only)
; SGPRBlocks: 1
; VGPRBlocks: 0
; NumSGPRsForWavesPerEU: 10
; NumVGPRsForWavesPerEU: 5
; AccumOffset: 8
; Occupancy: 8
; WaveLimiterHint : 0
; COMPUTE_PGM_RSRC2:SCRATCH_EN: 0
; COMPUTE_PGM_RSRC2:USER_SGPR: 6
; COMPUTE_PGM_RSRC2:TRAP_HANDLER: 0
; COMPUTE_PGM_RSRC2:TGID_X_EN: 1
; COMPUTE_PGM_RSRC2:TGID_Y_EN: 0
; COMPUTE_PGM_RSRC2:TGID_Z_EN: 0
; COMPUTE_PGM_RSRC2:TIDIG_COMP_CNT: 0
; COMPUTE_PGM_RSRC3_GFX90A:ACCUM_OFFSET: 1
; COMPUTE_PGM_RSRC3_GFX90A:TG_SPLIT: 0
	.section	.text._ZN9rocsolver6v33100L18geqr2_kernel_smallILi256E19rocblas_complex_numIfEifPKPS3_EEvT1_S7_T3_lS7_lPT2_lPT0_l,"axG",@progbits,_ZN9rocsolver6v33100L18geqr2_kernel_smallILi256E19rocblas_complex_numIfEifPKPS3_EEvT1_S7_T3_lS7_lPT2_lPT0_l,comdat
	.globl	_ZN9rocsolver6v33100L18geqr2_kernel_smallILi256E19rocblas_complex_numIfEifPKPS3_EEvT1_S7_T3_lS7_lPT2_lPT0_l ; -- Begin function _ZN9rocsolver6v33100L18geqr2_kernel_smallILi256E19rocblas_complex_numIfEifPKPS3_EEvT1_S7_T3_lS7_lPT2_lPT0_l
	.p2align	8
	.type	_ZN9rocsolver6v33100L18geqr2_kernel_smallILi256E19rocblas_complex_numIfEifPKPS3_EEvT1_S7_T3_lS7_lPT2_lPT0_l,@function
_ZN9rocsolver6v33100L18geqr2_kernel_smallILi256E19rocblas_complex_numIfEifPKPS3_EEvT1_S7_T3_lS7_lPT2_lPT0_l: ; @_ZN9rocsolver6v33100L18geqr2_kernel_smallILi256E19rocblas_complex_numIfEifPKPS3_EEvT1_S7_T3_lS7_lPT2_lPT0_l
; %bb.0:
	s_load_dwordx4 s[0:3], s[4:5], 0x8
	s_mov_b32 s6, s7
	s_ashr_i32 s7, s7, 31
	s_lshl_b64 s[8:9], s[6:7], 3
	v_and_b32_e32 v2, 0x7f, v0
	s_waitcnt lgkmcnt(0)
	s_add_u32 s0, s0, s8
	s_addc_u32 s1, s1, s9
	s_load_dwordx2 s[8:9], s[0:1], 0x0
	s_load_dwordx2 s[16:17], s[4:5], 0x0
	s_load_dword s28, s[4:5], 0x18
	s_lshl_b64 s[0:1], s[2:3], 3
	v_lshrrev_b32_e32 v3, 7, v0
	s_waitcnt lgkmcnt(0)
	s_add_u32 s26, s8, s0
	s_addc_u32 s27, s9, s1
	v_cmp_gt_i32_e64 s[0:1], s16, v2
	v_lshlrev_b32_e32 v10, 3, v2
	s_and_saveexec_b64 s[8:9], s[0:1]
	s_cbranch_execz .LBB128_6
; %bb.1:
	v_lshrrev_b32_e32 v1, 7, v0
	v_mul_lo_u32 v4, s16, v1
	v_lshlrev_b32_e32 v4, 3, v4
	v_add3_u32 v8, v4, v10, 0
	v_mad_u64_u32 v[4:5], s[2:3], s28, v1, v[2:3]
	v_cmp_gt_i32_e32 vcc, s17, v1
	s_lshl_b32 s18, s16, 4
	s_lshl_b32 s19, s28, 1
	s_mov_b64 s[10:11], 0
	v_mov_b32_e32 v5, v2
	s_branch .LBB128_3
.LBB128_2:                              ;   in Loop: Header=BB128_3 Depth=1
	s_or_b64 exec, exec, s[12:13]
	v_add_u32_e32 v5, 0x80, v5
	v_cmp_le_i32_e64 s[2:3], s16, v5
	v_add_u32_e32 v8, 0x400, v8
	s_or_b64 s[10:11], s[2:3], s[10:11]
	v_add_u32_e32 v4, 0x80, v4
	s_andn2_b64 exec, exec, s[10:11]
	s_cbranch_execz .LBB128_6
.LBB128_3:                              ; =>This Loop Header: Depth=1
                                        ;     Child Loop BB128_5 Depth 2
	s_and_saveexec_b64 s[12:13], vcc
	s_cbranch_execz .LBB128_2
; %bb.4:                                ;   in Loop: Header=BB128_3 Depth=1
	s_mov_b64 s[14:15], 0
	v_mov_b32_e32 v6, v4
	v_mov_b32_e32 v9, v8
	;; [unrolled: 1-line block ×3, first 2 shown]
.LBB128_5:                              ;   Parent Loop BB128_3 Depth=1
                                        ; =>  This Inner Loop Header: Depth=2
	v_ashrrev_i32_e32 v7, 31, v6
	v_lshlrev_b64 v[12:13], 3, v[6:7]
	v_mov_b32_e32 v14, s27
	v_add_co_u32_e64 v12, s[2:3], s26, v12
	v_addc_co_u32_e64 v13, s[2:3], v14, v13, s[2:3]
	global_load_dwordx2 v[12:13], v[12:13], off
	v_add_u32_e32 v11, 2, v11
	v_cmp_le_i32_e64 s[2:3], s17, v11
	v_add_u32_e32 v6, s19, v6
	s_or_b64 s[14:15], s[2:3], s[14:15]
	s_waitcnt vmcnt(0)
	ds_write_b64 v9, v[12:13]
	v_add_u32_e32 v9, s18, v9
	s_andn2_b64 exec, exec, s[14:15]
	s_cbranch_execnz .LBB128_5
	s_branch .LBB128_2
.LBB128_6:
	s_or_b64 exec, exec, s[8:9]
	s_min_i32 s29, s17, s16
	s_cmp_lt_i32 s29, 1
	s_waitcnt lgkmcnt(0)
	s_barrier
	s_cbranch_scc1 .LBB128_44
; %bb.7:
	s_load_dwordx8 s[8:15], s[4:5], 0x28
	v_mbcnt_lo_u32_b32 v1, -1, 0
	v_mbcnt_hi_u32_b32 v5, -1, v1
	v_and_b32_e32 v6, 63, v5
	v_cmp_ne_u32_e32 vcc, 63, v6
	s_waitcnt lgkmcnt(0)
	s_mul_i32 s3, s6, s11
	s_mul_hi_u32 s4, s6, s10
	s_mul_i32 s5, s7, s10
	s_add_i32 s3, s4, s3
	s_mul_i32 s2, s6, s10
	s_add_i32 s3, s3, s5
	v_addc_co_u32_e32 v1, vcc, 0, v5, vcc
	s_lshl_b64 s[2:3], s[2:3], 2
	v_cmp_gt_u32_e32 vcc, 62, v6
	s_mul_i32 s10, s6, s15
	s_add_u32 s30, s8, s2
	s_mul_hi_u32 s2, s6, s14
	v_cndmask_b32_e64 v7, 0, 1, vcc
	s_addc_u32 s31, s9, s3
	s_add_i32 s2, s2, s10
	s_mul_i32 s3, s7, s14
	v_lshlrev_b32_e32 v7, 1, v7
	v_cmp_gt_u32_e32 vcc, 60, v6
	s_add_i32 s3, s2, s3
	s_mul_i32 s2, s6, s14
	v_add_lshl_u32 v11, v7, v5, 2
	v_cndmask_b32_e64 v7, 0, 1, vcc
	s_lshl_b64 s[2:3], s[2:3], 3
	v_lshlrev_b32_e32 v7, 2, v7
	v_cmp_gt_u32_e32 vcc, 56, v6
	s_add_u32 s33, s12, s2
	s_mul_i32 s2, s17, s16
	v_add_lshl_u32 v12, v7, v5, 2
	v_cndmask_b32_e64 v7, 0, 1, vcc
	s_addc_u32 s34, s13, s3
	s_lshl_b32 s2, s2, 3
	v_lshlrev_b32_e32 v7, 3, v7
	v_cmp_gt_u32_e32 vcc, 48, v6
	s_add_i32 s35, s2, 0
	s_lshl_b32 s2, s17, 3
	v_add_lshl_u32 v13, v7, v5, 2
	v_cndmask_b32_e64 v7, 0, 1, vcc
	v_cmp_gt_u32_e32 vcc, 32, v6
	s_add_i32 s36, s35, s2
	v_cndmask_b32_e64 v6, 0, 1, vcc
	v_lshlrev_b32_e32 v7, 4, v7
	v_lshlrev_b32_e32 v6, 5, v6
	s_cmp_lg_u64 s[8:9], 0
	v_add_lshl_u32 v14, v7, v5, 2
	v_add_lshl_u32 v15, v6, v5, 2
	v_and_b32_e32 v5, 63, v0
	s_cselect_b64 s[12:13], -1, 0
	s_lshl_b32 s37, s16, 3
	v_mul_lo_u32 v7, s16, v0
	s_mov_b32 s11, 0
	v_cmp_eq_u32_e64 s[2:3], 0, v5
	v_lshrrev_b32_e32 v5, 3, v0
	v_lshlrev_b32_e32 v6, 3, v0
	v_add_u32_e32 v7, s16, v7
	s_add_i32 s6, s37, 0
	v_mov_b32_e32 v4, 0
	v_lshlrev_b32_e32 v1, 2, v1
	v_cmp_eq_u32_e64 s[4:5], 0, v0
	v_add3_u32 v16, v6, 0, 8
	s_add_i32 s38, s37, 8
	v_lshl_add_u32 v17, v7, 3, 0
	s_lshl_b32 s39, s16, 11
	v_add_u32_e32 v18, s6, v6
	v_add_u32_e32 v19, s36, v5
	v_mov_b32_e32 v20, 1.0
	s_mov_b32 s40, 0xf800000
	v_mov_b32_e32 v21, 0x260
	s_mov_b32 s41, 0
	s_mov_b32 s10, s11
	s_branch .LBB128_9
.LBB128_8:                              ;   in Loop: Header=BB128_9 Depth=1
	s_or_b64 exec, exec, s[6:7]
	s_add_i32 s10, s10, 1
	s_add_i32 s41, s41, s38
	v_add_u32_e32 v16, s38, v16
	v_add_u32_e32 v17, s38, v17
	s_cmp_eq_u32 s10, s29
	v_add_u32_e32 v18, s38, v18
	s_waitcnt lgkmcnt(0)
	s_barrier
	s_cbranch_scc1 .LBB128_44
.LBB128_9:                              ; =>This Loop Header: Depth=1
                                        ;     Child Loop BB128_11 Depth 2
                                        ;     Child Loop BB128_30 Depth 2
	;; [unrolled: 1-line block ×3, first 2 shown]
                                        ;       Child Loop BB128_36 Depth 3
                                        ;     Child Loop BB128_40 Depth 2
                                        ;       Child Loop BB128_42 Depth 3
	s_sub_i32 s42, s16, s10
	s_add_i32 s44, s42, -1
	v_cmp_gt_i32_e64 s[6:7], s44, v0
	v_mov_b32_e32 v5, 0
	v_mov_b32_e32 v6, 0
	s_and_saveexec_b64 s[8:9], s[6:7]
	s_cbranch_execz .LBB128_13
; %bb.10:                               ;   in Loop: Header=BB128_9 Depth=1
	s_mov_b64 s[14:15], 0
	v_mov_b32_e32 v5, 0
	v_mov_b32_e32 v7, v16
	;; [unrolled: 1-line block ×4, first 2 shown]
.LBB128_11:                             ;   Parent Loop BB128_9 Depth=1
                                        ; =>  This Inner Loop Header: Depth=2
	ds_read_b64 v[22:23], v7
	v_add_u32_e32 v8, 0x100, v8
	v_cmp_le_i32_e32 vcc, s44, v8
	v_add_u32_e32 v7, 0x800, v7
	s_or_b64 s[14:15], vcc, s[14:15]
	s_waitcnt lgkmcnt(0)
	v_mul_f32_e32 v9, v23, v23
	v_mul_f32_e32 v24, v23, v22
	v_fmac_f32_e32 v9, v22, v22
	v_fma_f32 v22, v22, v23, -v24
	v_add_f32_e32 v6, v6, v9
	v_add_f32_e32 v5, v5, v22
	s_andn2_b64 exec, exec, s[14:15]
	s_cbranch_execnz .LBB128_11
; %bb.12:                               ;   in Loop: Header=BB128_9 Depth=1
	s_or_b64 exec, exec, s[14:15]
.LBB128_13:                             ;   in Loop: Header=BB128_9 Depth=1
	s_or_b64 exec, exec, s[8:9]
	ds_bpermute_b32 v7, v1, v6
	ds_bpermute_b32 v8, v1, v5
	s_waitcnt lgkmcnt(1)
	v_add_f32_e32 v6, v6, v7
	s_waitcnt lgkmcnt(0)
	v_add_f32_e32 v5, v5, v8
	ds_bpermute_b32 v7, v11, v6
	ds_bpermute_b32 v8, v11, v5
	s_waitcnt lgkmcnt(1)
	v_add_f32_e32 v6, v6, v7
	s_waitcnt lgkmcnt(0)
	v_add_f32_e32 v5, v5, v8
	;; [unrolled: 6-line block ×5, first 2 shown]
	ds_bpermute_b32 v8, v15, v6
	ds_bpermute_b32 v7, v15, v5
	s_waitcnt lgkmcnt(1)
	v_add_f32_e32 v6, v6, v8
	s_and_saveexec_b64 s[8:9], s[2:3]
	s_cbranch_execz .LBB128_15
; %bb.14:                               ;   in Loop: Header=BB128_9 Depth=1
	s_waitcnt lgkmcnt(0)
	v_add_f32_e32 v5, v5, v7
	ds_write2_b32 v19, v6, v5 offset0:2 offset1:3
.LBB128_15:                             ;   in Loop: Header=BB128_9 Depth=1
	s_or_b64 exec, exec, s[8:9]
	s_lshl_b32 s8, s10, 3
	s_add_i32 s43, s8, 0
	s_mul_i32 s8, s10, s16
	s_lshl_b32 s8, s8, 3
	s_add_i32 s43, s43, s8
	s_waitcnt lgkmcnt(0)
	s_barrier
	s_and_saveexec_b64 s[14:15], s[4:5]
	s_cbranch_execz .LBB128_28
; %bb.16:                               ;   in Loop: Header=BB128_9 Depth=1
	v_mov_b32_e32 v5, s36
	ds_read2_b32 v[8:9], v5 offset0:4 offset1:6
	ds_read_b32 v7, v5 offset:32
	v_mov_b32_e32 v5, s43
	ds_read_b32 v5, v5 offset:4
	s_lshl_b64 s[8:9], s[10:11], 2
	s_waitcnt lgkmcnt(2)
	v_add_f32_e32 v6, v6, v8
	v_add_f32_e32 v6, v6, v9
	s_waitcnt lgkmcnt(1)
	v_add_f32_e32 v7, v6, v7
	s_waitcnt lgkmcnt(0)
	v_mul_f32_e32 v6, v5, v5
	s_add_u32 s22, s30, s8
	v_max_f32_e32 v8, v7, v6
	s_addc_u32 s23, s31, s9
	v_cmp_nlt_f32_e32 vcc, 0, v8
	s_mov_b64 s[20:21], 0
                                        ; implicit-def: $sgpr48
                                        ; implicit-def: $sgpr47
                                        ; implicit-def: $sgpr45
                                        ; implicit-def: $sgpr46
                                        ; implicit-def: $sgpr18_sgpr19
	s_and_saveexec_b64 s[8:9], vcc
	s_xor_b64 s[8:9], exec, s[8:9]
	s_cbranch_execz .LBB128_20
; %bb.17:                               ;   in Loop: Header=BB128_9 Depth=1
	v_mov_b32_e32 v5, v4
	v_mov_b32_e32 v6, s36
	s_mov_b64 s[18:19], 0
	s_and_b64 vcc, exec, s[12:13]
	ds_write_b64 v6, v[4:5]
                                        ; implicit-def: $sgpr48
                                        ; implicit-def: $sgpr47
	s_cbranch_vccz .LBB128_19
; %bb.18:                               ;   in Loop: Header=BB128_9 Depth=1
	v_mov_b32_e32 v5, s43
	ds_read_b32 v6, v5
	s_mov_b64 s[20:21], -1
	s_mov_b32 s47, 1.0
	s_mov_b32 s48, 0
	ds_write_b32 v5, v20
	s_waitcnt lgkmcnt(1)
	global_store_dword v4, v6, s[22:23]
.LBB128_19:                             ;   in Loop: Header=BB128_9 Depth=1
	s_mov_b32 s46, 1.0
	s_mov_b32 s45, 0
	s_and_b64 s[20:21], s[20:21], exec
                                        ; implicit-def: $vgpr6
                                        ; implicit-def: $vgpr7
                                        ; implicit-def: $vgpr5
.LBB128_20:                             ;   in Loop: Header=BB128_9 Depth=1
	s_or_saveexec_b64 s[24:25], s[8:9]
	v_mov_b32_e32 v23, s48
	v_mov_b32_e32 v22, s47
	s_xor_b64 exec, exec, s[24:25]
	s_cbranch_execz .LBB128_25
; %bb.21:                               ;   in Loop: Header=BB128_9 Depth=1
	v_mov_b32_e32 v8, s43
	ds_read_b32 v8, v8
	s_waitcnt lgkmcnt(0)
	v_fma_f32 v9, v8, v8, v6
	v_add_f32_e32 v7, v7, v9
	v_mul_f32_e32 v9, 0x4f800000, v7
	v_cmp_gt_f32_e32 vcc, s40, v7
	v_cndmask_b32_e32 v7, v7, v9, vcc
	v_sqrt_f32_e32 v9, v7
	v_add_u32_e32 v22, -1, v9
	v_add_u32_e32 v23, 1, v9
	v_fma_f32 v24, -v22, v9, v7
	v_fma_f32 v25, -v23, v9, v7
	v_cmp_ge_f32_e64 s[8:9], 0, v24
	v_cndmask_b32_e64 v9, v9, v22, s[8:9]
	v_cmp_lt_f32_e64 s[8:9], 0, v25
	v_cndmask_b32_e64 v9, v9, v23, s[8:9]
	v_mul_f32_e32 v22, 0x37800000, v9
	v_cndmask_b32_e32 v9, v9, v22, vcc
	v_cmp_class_f32_e32 vcc, v7, v21
	v_cndmask_b32_e32 v7, v9, v7, vcc
	v_cmp_le_f32_e32 vcc, 0, v8
	v_cndmask_b32_e64 v7, v7, -v7, vcc
	v_sub_f32_e32 v9, v8, v7
	v_fmac_f32_e32 v6, v9, v9
	v_div_scale_f32 v22, s[8:9], v6, v6, v9
	v_rcp_f32_e32 v23, v22
	v_div_scale_f32 v24, vcc, v9, v6, v9
	v_sub_f32_e32 v8, v7, v8
	v_fma_f32 v25, -v22, v23, 1.0
	v_fmac_f32_e32 v23, v25, v23
	v_mul_f32_e32 v25, v24, v23
	v_fma_f32 v26, -v22, v25, v24
	v_fmac_f32_e32 v25, v26, v23
	v_fma_f32 v22, -v22, v25, v24
	v_div_scale_f32 v24, s[8:9], v6, v6, -v5
	v_rcp_f32_e32 v26, v24
	v_div_fmas_f32 v22, v22, v23, v25
	v_div_fixup_f32 v22, v22, v6, v9
	v_fma_f32 v9, -v24, v26, 1.0
	v_fmac_f32_e32 v26, v9, v26
	v_div_scale_f32 v9, vcc, -v5, v6, -v5
	v_mul_f32_e32 v23, v9, v26
	v_fma_f32 v25, -v24, v23, v9
	v_fmac_f32_e32 v23, v25, v26
	v_fma_f32 v9, -v24, v23, v9
	v_div_scale_f32 v24, s[8:9], v7, v7, v8
	v_rcp_f32_e32 v25, v24
	v_div_fmas_f32 v9, v9, v26, v23
	v_div_fixup_f32 v23, v9, v6, -v5
	v_fma_f32 v6, -v24, v25, 1.0
	v_fmac_f32_e32 v25, v6, v25
	v_div_scale_f32 v6, vcc, v8, v7, v8
	v_mul_f32_e32 v9, v6, v25
	v_fma_f32 v26, -v24, v9, v6
	v_fmac_f32_e32 v9, v26, v25
	v_fma_f32 v6, -v24, v9, v6
	v_div_scale_f32 v24, s[8:9], v7, v7, -v5
	v_rcp_f32_e32 v26, v24
	v_div_fmas_f32 v6, v6, v25, v9
	v_div_fixup_f32 v8, v6, v7, v8
	v_fma_f32 v6, -v24, v26, 1.0
	v_fmac_f32_e32 v26, v6, v26
	v_div_scale_f32 v6, vcc, -v5, v7, -v5
	v_mul_f32_e32 v9, v6, v26
	v_fma_f32 v25, -v24, v9, v6
	v_fmac_f32_e32 v9, v25, v26
	v_fma_f32 v6, -v24, v9, v6
	v_div_fmas_f32 v6, v6, v26, v9
	v_div_fixup_f32 v9, v6, v7, -v5
	v_mov_b32_e32 v5, s36
	s_and_b64 vcc, exec, s[12:13]
	ds_write_b64 v5, v[8:9]
	s_cbranch_vccz .LBB128_43
; %bb.22:                               ;   in Loop: Header=BB128_9 Depth=1
	v_mov_b32_e32 v5, s43
	global_store_dword v4, v7, s[22:23]
	ds_write_b32 v5, v20
	s_cbranch_execnz .LBB128_24
.LBB128_23:                             ;   in Loop: Header=BB128_9 Depth=1
	v_mov_b32_e32 v5, s43
	ds_write_b32 v5, v7
.LBB128_24:                             ;   in Loop: Header=BB128_9 Depth=1
	s_or_b64 s[20:21], s[20:21], exec
.LBB128_25:                             ;   in Loop: Header=BB128_9 Depth=1
	s_or_b64 exec, exec, s[24:25]
	v_pk_mov_b32 v[6:7], s[18:19], s[18:19] op_sel:[0,1]
	v_mov_b32_e32 v8, s46
	v_mov_b32_e32 v9, s45
	s_and_saveexec_b64 s[8:9], s[20:21]
	s_cbranch_execz .LBB128_27
; %bb.26:                               ;   in Loop: Header=BB128_9 Depth=1
	v_mov_b32_e32 v5, s43
	ds_write_b32 v5, v4 offset:4
	v_mov_b32_e32 v5, s36
	ds_read_b64 v[6:7], v5
	v_mov_b32_e32 v8, v22
	v_mov_b32_e32 v9, v23
.LBB128_27:                             ;   in Loop: Header=BB128_9 Depth=1
	s_or_b64 exec, exec, s[8:9]
	s_lshl_b64 s[8:9], s[10:11], 3
	s_add_u32 s8, s33, s8
	s_addc_u32 s9, s34, s9
	s_waitcnt lgkmcnt(0)
	global_store_dwordx2 v4, v[6:7], s[8:9]
	v_xor_b32_e32 v7, 0x80000000, v7
	v_mov_b32_e32 v5, s36
	ds_write2_b64 v5, v[6:7], v[8:9] offset1:1
.LBB128_28:                             ;   in Loop: Header=BB128_9 Depth=1
	s_or_b64 exec, exec, s[14:15]
	s_waitcnt lgkmcnt(0)
	s_barrier
	s_and_saveexec_b64 s[8:9], s[6:7]
	s_cbranch_execz .LBB128_31
; %bb.29:                               ;   in Loop: Header=BB128_9 Depth=1
	s_mov_b32 s14, 0
	s_mov_b64 s[6:7], 0
	v_mov_b32_e32 v5, v0
.LBB128_30:                             ;   Parent Loop BB128_9 Depth=1
                                        ; =>  This Inner Loop Header: Depth=2
	v_mov_b32_e32 v6, s36
	v_add_u32_e32 v24, s14, v16
	ds_read_b64 v[6:7], v6 offset:8
	ds_read_b64 v[8:9], v24
	v_add_u32_e32 v5, 0x100, v5
	s_addk_i32 s14, 0x800
	v_cmp_le_i32_e32 vcc, s44, v5
	s_or_b64 s[6:7], vcc, s[6:7]
	s_waitcnt lgkmcnt(0)
	v_mul_f32_e32 v22, v7, v9
	v_mul_f32_e32 v23, v6, v9
	v_fma_f32 v22, v6, v8, -v22
	v_fmac_f32_e32 v23, v7, v8
	ds_write_b64 v24, v[22:23]
	s_andn2_b64 exec, exec, s[6:7]
	s_cbranch_execnz .LBB128_30
.LBB128_31:                             ;   in Loop: Header=BB128_9 Depth=1
	s_or_b64 exec, exec, s[8:9]
	s_not_b32 s18, s10
	s_add_i32 s18, s18, s17
	v_cmp_gt_i32_e32 vcc, s18, v0
	s_waitcnt lgkmcnt(0)
	s_barrier
	s_and_saveexec_b64 s[6:7], vcc
	s_cbranch_execz .LBB128_37
; %bb.32:                               ;   in Loop: Header=BB128_9 Depth=1
	s_cmp_gt_i32 s42, 0
	s_mov_b64 s[8:9], 0
	s_cselect_b64 s[14:15], -1, 0
	v_mov_b32_e32 v5, v17
	v_mov_b32_e32 v6, v0
	s_branch .LBB128_34
.LBB128_33:                             ;   in Loop: Header=BB128_34 Depth=2
	v_mov_b32_e32 v9, s36
	ds_read_b64 v[22:23], v9
	v_lshl_add_u32 v24, v6, 3, s35
	v_add_u32_e32 v6, 0x100, v6
	v_cmp_le_i32_e32 vcc, s18, v6
	s_or_b64 s[8:9], vcc, s[8:9]
	s_waitcnt lgkmcnt(0)
	v_mul_f32_e32 v25, v7, v23
	v_mul_f32_e32 v9, v8, v23
	v_fma_f32 v8, v8, v22, -v25
	v_fmac_f32_e32 v9, v7, v22
	v_add_u32_e32 v5, s39, v5
	ds_write_b64 v24, v[8:9]
	s_andn2_b64 exec, exec, s[8:9]
	s_cbranch_execz .LBB128_37
.LBB128_34:                             ;   Parent Loop BB128_9 Depth=1
                                        ; =>  This Loop Header: Depth=2
                                        ;       Child Loop BB128_36 Depth 3
	s_andn2_b64 vcc, exec, s[14:15]
	v_mov_b32_e32 v7, 0
	v_mov_b32_e32 v8, 0
	s_cbranch_vccnz .LBB128_33
; %bb.35:                               ;   in Loop: Header=BB128_34 Depth=2
	s_mov_b32 s19, 0
	v_mov_b32_e32 v7, 0
	s_mov_b32 s20, s41
	v_mov_b32_e32 v9, v5
	v_mov_b32_e32 v8, 0
.LBB128_36:                             ;   Parent Loop BB128_9 Depth=1
                                        ;     Parent Loop BB128_34 Depth=2
                                        ; =>    This Inner Loop Header: Depth=3
	v_mov_b32_e32 v24, s20
	ds_read_b64 v[22:23], v9
	ds_read_b64 v[24:25], v24
	s_add_i32 s19, s19, 1
	s_add_i32 s20, s20, 8
	v_add_u32_e32 v9, 8, v9
	s_cmp_ge_i32 s19, s42
	s_waitcnt lgkmcnt(0)
	v_mul_f32_e32 v26, v25, v23
	v_mul_f32_e32 v25, v25, v22
	v_fmac_f32_e32 v26, v24, v22
	v_fma_f32 v22, v24, v23, -v25
	v_add_f32_e32 v8, v8, v26
	v_add_f32_e32 v7, v7, v22
	s_cbranch_scc0 .LBB128_36
	s_branch .LBB128_33
.LBB128_37:                             ;   in Loop: Header=BB128_9 Depth=1
	s_or_b64 exec, exec, s[6:7]
	v_cmp_gt_i32_e32 vcc, s42, v0
	s_waitcnt lgkmcnt(0)
	s_barrier
	s_and_saveexec_b64 s[6:7], vcc
	s_cbranch_execz .LBB128_8
; %bb.38:                               ;   in Loop: Header=BB128_9 Depth=1
	s_cmp_gt_i32 s18, 0
	s_mov_b64 s[8:9], 0
	s_cselect_b64 s[14:15], -1, 0
	v_mov_b32_e32 v5, v18
	v_mov_b32_e32 v6, v0
	s_branch .LBB128_40
.LBB128_39:                             ;   in Loop: Header=BB128_40 Depth=2
	v_add_u32_e32 v6, 0x100, v6
	v_cmp_le_i32_e32 vcc, s42, v6
	s_or_b64 s[8:9], vcc, s[8:9]
	v_add_u32_e32 v5, 0x800, v5
	s_andn2_b64 exec, exec, s[8:9]
	s_cbranch_execz .LBB128_8
.LBB128_40:                             ;   Parent Loop BB128_9 Depth=1
                                        ; =>  This Loop Header: Depth=2
                                        ;       Child Loop BB128_42 Depth 3
	s_andn2_b64 vcc, exec, s[14:15]
	s_cbranch_vccnz .LBB128_39
; %bb.41:                               ;   in Loop: Header=BB128_40 Depth=2
	v_lshl_add_u32 v7, v6, 3, s43
	s_mov_b32 s19, 0
	s_mov_b32 s20, s35
	v_mov_b32_e32 v8, v5
.LBB128_42:                             ;   Parent Loop BB128_9 Depth=1
                                        ;     Parent Loop BB128_40 Depth=2
                                        ; =>    This Inner Loop Header: Depth=3
	v_mov_b32_e32 v9, s20
	ds_read_b64 v[22:23], v7
	ds_read_b64 v[24:25], v8
	;; [unrolled: 1-line block ×3, first 2 shown]
	s_add_i32 s19, s19, 1
	s_add_i32 s20, s20, 8
	s_cmp_ge_i32 s19, s18
	s_waitcnt lgkmcnt(0)
	v_pk_mul_f32 v[28:29], v[26:27], v[22:23] op_sel:[0,1]
	v_pk_fma_f32 v[30:31], v[26:27], v[22:23], v[28:29] op_sel:[0,0,1] op_sel_hi:[1,1,0] neg_lo:[0,0,1] neg_hi:[0,0,1]
	v_pk_fma_f32 v[22:23], v[26:27], v[22:23], v[28:29] op_sel:[0,0,1] op_sel_hi:[1,0,0]
	v_mov_b32_e32 v31, v23
	v_pk_add_f32 v[22:23], v[24:25], v[30:31] neg_lo:[0,1] neg_hi:[0,1]
	ds_write_b64 v8, v[22:23]
	v_add_u32_e32 v8, s37, v8
	s_cbranch_scc0 .LBB128_42
	s_branch .LBB128_39
.LBB128_43:                             ;   in Loop: Header=BB128_9 Depth=1
	s_branch .LBB128_23
.LBB128_44:
	s_and_saveexec_b64 s[2:3], s[0:1]
	s_cbranch_execz .LBB128_50
; %bb.45:
	v_mad_u64_u32 v[0:1], s[0:1], s28, v3, v[2:3]
	v_mul_lo_u32 v1, s16, v3
	v_lshlrev_b32_e32 v1, 3, v1
	v_cmp_gt_i32_e32 vcc, s17, v3
	s_lshl_b32 s10, s28, 1
	v_add3_u32 v1, v1, v10, 0
	s_lshl_b32 s11, s16, 4
	s_mov_b64 s[4:5], 0
	s_branch .LBB128_47
.LBB128_46:                             ;   in Loop: Header=BB128_47 Depth=1
	s_or_b64 exec, exec, s[6:7]
	v_add_u32_e32 v2, 0x80, v2
	v_cmp_le_i32_e64 s[0:1], s16, v2
	v_add_u32_e32 v0, 0x80, v0
	s_or_b64 s[4:5], s[0:1], s[4:5]
	v_add_u32_e32 v1, 0x400, v1
	s_andn2_b64 exec, exec, s[4:5]
	s_cbranch_execz .LBB128_50
.LBB128_47:                             ; =>This Loop Header: Depth=1
                                        ;     Child Loop BB128_49 Depth 2
	s_and_saveexec_b64 s[6:7], vcc
	s_cbranch_execz .LBB128_46
; %bb.48:                               ;   in Loop: Header=BB128_47 Depth=1
	s_mov_b64 s[8:9], 0
	v_mov_b32_e32 v6, v1
	v_mov_b32_e32 v4, v0
	v_mov_b32_e32 v7, v3
.LBB128_49:                             ;   Parent Loop BB128_47 Depth=1
                                        ; =>  This Inner Loop Header: Depth=2
	ds_read_b64 v[8:9], v6
	v_ashrrev_i32_e32 v5, 31, v4
	v_add_u32_e32 v7, 2, v7
	v_lshlrev_b64 v[10:11], 3, v[4:5]
	v_mov_b32_e32 v12, s27
	v_cmp_le_i32_e64 s[0:1], s17, v7
	v_add_co_u32_e64 v10, s[2:3], s26, v10
	v_add_u32_e32 v6, s11, v6
	v_add_u32_e32 v4, s10, v4
	v_addc_co_u32_e64 v11, s[2:3], v12, v11, s[2:3]
	s_or_b64 s[8:9], s[0:1], s[8:9]
	s_waitcnt lgkmcnt(0)
	global_store_dwordx2 v[10:11], v[8:9], off
	s_andn2_b64 exec, exec, s[8:9]
	s_cbranch_execnz .LBB128_49
	s_branch .LBB128_46
.LBB128_50:
	s_endpgm
	.section	.rodata,"a",@progbits
	.p2align	6, 0x0
	.amdhsa_kernel _ZN9rocsolver6v33100L18geqr2_kernel_smallILi256E19rocblas_complex_numIfEifPKPS3_EEvT1_S7_T3_lS7_lPT2_lPT0_l
		.amdhsa_group_segment_fixed_size 0
		.amdhsa_private_segment_fixed_size 0
		.amdhsa_kernarg_size 72
		.amdhsa_user_sgpr_count 6
		.amdhsa_user_sgpr_private_segment_buffer 1
		.amdhsa_user_sgpr_dispatch_ptr 0
		.amdhsa_user_sgpr_queue_ptr 0
		.amdhsa_user_sgpr_kernarg_segment_ptr 1
		.amdhsa_user_sgpr_dispatch_id 0
		.amdhsa_user_sgpr_flat_scratch_init 0
		.amdhsa_user_sgpr_kernarg_preload_length 0
		.amdhsa_user_sgpr_kernarg_preload_offset 0
		.amdhsa_user_sgpr_private_segment_size 0
		.amdhsa_uses_dynamic_stack 0
		.amdhsa_system_sgpr_private_segment_wavefront_offset 0
		.amdhsa_system_sgpr_workgroup_id_x 1
		.amdhsa_system_sgpr_workgroup_id_y 0
		.amdhsa_system_sgpr_workgroup_id_z 1
		.amdhsa_system_sgpr_workgroup_info 0
		.amdhsa_system_vgpr_workitem_id 0
		.amdhsa_next_free_vgpr 32
		.amdhsa_next_free_sgpr 49
		.amdhsa_accum_offset 32
		.amdhsa_reserve_vcc 1
		.amdhsa_reserve_flat_scratch 0
		.amdhsa_float_round_mode_32 0
		.amdhsa_float_round_mode_16_64 0
		.amdhsa_float_denorm_mode_32 3
		.amdhsa_float_denorm_mode_16_64 3
		.amdhsa_dx10_clamp 1
		.amdhsa_ieee_mode 1
		.amdhsa_fp16_overflow 0
		.amdhsa_tg_split 0
		.amdhsa_exception_fp_ieee_invalid_op 0
		.amdhsa_exception_fp_denorm_src 0
		.amdhsa_exception_fp_ieee_div_zero 0
		.amdhsa_exception_fp_ieee_overflow 0
		.amdhsa_exception_fp_ieee_underflow 0
		.amdhsa_exception_fp_ieee_inexact 0
		.amdhsa_exception_int_div_zero 0
	.end_amdhsa_kernel
	.section	.text._ZN9rocsolver6v33100L18geqr2_kernel_smallILi256E19rocblas_complex_numIfEifPKPS3_EEvT1_S7_T3_lS7_lPT2_lPT0_l,"axG",@progbits,_ZN9rocsolver6v33100L18geqr2_kernel_smallILi256E19rocblas_complex_numIfEifPKPS3_EEvT1_S7_T3_lS7_lPT2_lPT0_l,comdat
.Lfunc_end128:
	.size	_ZN9rocsolver6v33100L18geqr2_kernel_smallILi256E19rocblas_complex_numIfEifPKPS3_EEvT1_S7_T3_lS7_lPT2_lPT0_l, .Lfunc_end128-_ZN9rocsolver6v33100L18geqr2_kernel_smallILi256E19rocblas_complex_numIfEifPKPS3_EEvT1_S7_T3_lS7_lPT2_lPT0_l
                                        ; -- End function
	.section	.AMDGPU.csdata,"",@progbits
; Kernel info:
; codeLenInByte = 2748
; NumSgprs: 53
; NumVgprs: 32
; NumAgprs: 0
; TotalNumVgprs: 32
; ScratchSize: 0
; MemoryBound: 0
; FloatMode: 240
; IeeeMode: 1
; LDSByteSize: 0 bytes/workgroup (compile time only)
; SGPRBlocks: 6
; VGPRBlocks: 3
; NumSGPRsForWavesPerEU: 53
; NumVGPRsForWavesPerEU: 32
; AccumOffset: 32
; Occupancy: 8
; WaveLimiterHint : 1
; COMPUTE_PGM_RSRC2:SCRATCH_EN: 0
; COMPUTE_PGM_RSRC2:USER_SGPR: 6
; COMPUTE_PGM_RSRC2:TRAP_HANDLER: 0
; COMPUTE_PGM_RSRC2:TGID_X_EN: 1
; COMPUTE_PGM_RSRC2:TGID_Y_EN: 0
; COMPUTE_PGM_RSRC2:TGID_Z_EN: 1
; COMPUTE_PGM_RSRC2:TIDIG_COMP_CNT: 0
; COMPUTE_PGM_RSRC3_GFX90A:ACCUM_OFFSET: 7
; COMPUTE_PGM_RSRC3_GFX90A:TG_SPLIT: 0
	.section	.text._ZN9rocsolver6v33100L16reset_batch_infoI19rocblas_complex_numIfEiiPS3_EEvT2_lT0_T1_,"axG",@progbits,_ZN9rocsolver6v33100L16reset_batch_infoI19rocblas_complex_numIfEiiPS3_EEvT2_lT0_T1_,comdat
	.globl	_ZN9rocsolver6v33100L16reset_batch_infoI19rocblas_complex_numIfEiiPS3_EEvT2_lT0_T1_ ; -- Begin function _ZN9rocsolver6v33100L16reset_batch_infoI19rocblas_complex_numIfEiiPS3_EEvT2_lT0_T1_
	.p2align	8
	.type	_ZN9rocsolver6v33100L16reset_batch_infoI19rocblas_complex_numIfEiiPS3_EEvT2_lT0_T1_,@function
_ZN9rocsolver6v33100L16reset_batch_infoI19rocblas_complex_numIfEiiPS3_EEvT2_lT0_T1_: ; @_ZN9rocsolver6v33100L16reset_batch_infoI19rocblas_complex_numIfEiiPS3_EEvT2_lT0_T1_
; %bb.0:
	s_load_dword s2, s[4:5], 0x24
	s_load_dwordx2 s[0:1], s[4:5], 0x10
	s_waitcnt lgkmcnt(0)
	s_and_b32 s2, s2, 0xffff
	s_mul_i32 s6, s6, s2
	v_add_u32_e32 v0, s6, v0
	v_cmp_gt_i32_e32 vcc, s0, v0
	s_and_saveexec_b64 s[2:3], vcc
	s_cbranch_execz .LBB129_2
; %bb.1:
	s_load_dwordx4 s[8:11], s[4:5], 0x0
	s_ashr_i32 s0, s7, 31
	v_ashrrev_i32_e32 v1, 31, v0
	v_cvt_f32_i32_e32 v2, s1
	v_lshlrev_b64 v[0:1], 3, v[0:1]
	s_waitcnt lgkmcnt(0)
	s_mul_i32 s3, s7, s11
	s_mul_hi_u32 s4, s7, s10
	s_mul_i32 s0, s0, s10
	s_add_i32 s3, s4, s3
	s_mul_i32 s2, s7, s10
	s_add_i32 s3, s3, s0
	s_lshl_b64 s[2:3], s[2:3], 3
	s_add_u32 s0, s8, s2
	s_addc_u32 s2, s9, s3
	v_mov_b32_e32 v3, s2
	v_add_co_u32_e32 v0, vcc, s0, v0
	v_addc_co_u32_e32 v1, vcc, v3, v1, vcc
	v_mov_b32_e32 v3, 0
	global_store_dwordx2 v[0:1], v[2:3], off
.LBB129_2:
	s_endpgm
	.section	.rodata,"a",@progbits
	.p2align	6, 0x0
	.amdhsa_kernel _ZN9rocsolver6v33100L16reset_batch_infoI19rocblas_complex_numIfEiiPS3_EEvT2_lT0_T1_
		.amdhsa_group_segment_fixed_size 0
		.amdhsa_private_segment_fixed_size 0
		.amdhsa_kernarg_size 280
		.amdhsa_user_sgpr_count 6
		.amdhsa_user_sgpr_private_segment_buffer 1
		.amdhsa_user_sgpr_dispatch_ptr 0
		.amdhsa_user_sgpr_queue_ptr 0
		.amdhsa_user_sgpr_kernarg_segment_ptr 1
		.amdhsa_user_sgpr_dispatch_id 0
		.amdhsa_user_sgpr_flat_scratch_init 0
		.amdhsa_user_sgpr_kernarg_preload_length 0
		.amdhsa_user_sgpr_kernarg_preload_offset 0
		.amdhsa_user_sgpr_private_segment_size 0
		.amdhsa_uses_dynamic_stack 0
		.amdhsa_system_sgpr_private_segment_wavefront_offset 0
		.amdhsa_system_sgpr_workgroup_id_x 1
		.amdhsa_system_sgpr_workgroup_id_y 1
		.amdhsa_system_sgpr_workgroup_id_z 0
		.amdhsa_system_sgpr_workgroup_info 0
		.amdhsa_system_vgpr_workitem_id 0
		.amdhsa_next_free_vgpr 4
		.amdhsa_next_free_sgpr 12
		.amdhsa_accum_offset 4
		.amdhsa_reserve_vcc 1
		.amdhsa_reserve_flat_scratch 0
		.amdhsa_float_round_mode_32 0
		.amdhsa_float_round_mode_16_64 0
		.amdhsa_float_denorm_mode_32 3
		.amdhsa_float_denorm_mode_16_64 3
		.amdhsa_dx10_clamp 1
		.amdhsa_ieee_mode 1
		.amdhsa_fp16_overflow 0
		.amdhsa_tg_split 0
		.amdhsa_exception_fp_ieee_invalid_op 0
		.amdhsa_exception_fp_denorm_src 0
		.amdhsa_exception_fp_ieee_div_zero 0
		.amdhsa_exception_fp_ieee_overflow 0
		.amdhsa_exception_fp_ieee_underflow 0
		.amdhsa_exception_fp_ieee_inexact 0
		.amdhsa_exception_int_div_zero 0
	.end_amdhsa_kernel
	.section	.text._ZN9rocsolver6v33100L16reset_batch_infoI19rocblas_complex_numIfEiiPS3_EEvT2_lT0_T1_,"axG",@progbits,_ZN9rocsolver6v33100L16reset_batch_infoI19rocblas_complex_numIfEiiPS3_EEvT2_lT0_T1_,comdat
.Lfunc_end129:
	.size	_ZN9rocsolver6v33100L16reset_batch_infoI19rocblas_complex_numIfEiiPS3_EEvT2_lT0_T1_, .Lfunc_end129-_ZN9rocsolver6v33100L16reset_batch_infoI19rocblas_complex_numIfEiiPS3_EEvT2_lT0_T1_
                                        ; -- End function
	.section	.AMDGPU.csdata,"",@progbits
; Kernel info:
; codeLenInByte = 144
; NumSgprs: 16
; NumVgprs: 4
; NumAgprs: 0
; TotalNumVgprs: 4
; ScratchSize: 0
; MemoryBound: 0
; FloatMode: 240
; IeeeMode: 1
; LDSByteSize: 0 bytes/workgroup (compile time only)
; SGPRBlocks: 1
; VGPRBlocks: 0
; NumSGPRsForWavesPerEU: 16
; NumVGPRsForWavesPerEU: 4
; AccumOffset: 4
; Occupancy: 8
; WaveLimiterHint : 0
; COMPUTE_PGM_RSRC2:SCRATCH_EN: 0
; COMPUTE_PGM_RSRC2:USER_SGPR: 6
; COMPUTE_PGM_RSRC2:TRAP_HANDLER: 0
; COMPUTE_PGM_RSRC2:TGID_X_EN: 1
; COMPUTE_PGM_RSRC2:TGID_Y_EN: 1
; COMPUTE_PGM_RSRC2:TGID_Z_EN: 0
; COMPUTE_PGM_RSRC2:TIDIG_COMP_CNT: 0
; COMPUTE_PGM_RSRC3_GFX90A:ACCUM_OFFSET: 0
; COMPUTE_PGM_RSRC3_GFX90A:TG_SPLIT: 0
	.section	.text._ZN9rocsolver6v33100L8set_diagI19rocblas_complex_numIfEifPKPS3_TnNSt9enable_ifIXaa18rocblas_is_complexIT_Ent18rocblas_is_complexIT1_EEiE4typeELi0EEEvPS9_llT2_lT0_lSE_b,"axG",@progbits,_ZN9rocsolver6v33100L8set_diagI19rocblas_complex_numIfEifPKPS3_TnNSt9enable_ifIXaa18rocblas_is_complexIT_Ent18rocblas_is_complexIT1_EEiE4typeELi0EEEvPS9_llT2_lT0_lSE_b,comdat
	.globl	_ZN9rocsolver6v33100L8set_diagI19rocblas_complex_numIfEifPKPS3_TnNSt9enable_ifIXaa18rocblas_is_complexIT_Ent18rocblas_is_complexIT1_EEiE4typeELi0EEEvPS9_llT2_lT0_lSE_b ; -- Begin function _ZN9rocsolver6v33100L8set_diagI19rocblas_complex_numIfEifPKPS3_TnNSt9enable_ifIXaa18rocblas_is_complexIT_Ent18rocblas_is_complexIT1_EEiE4typeELi0EEEvPS9_llT2_lT0_lSE_b
	.p2align	8
	.type	_ZN9rocsolver6v33100L8set_diagI19rocblas_complex_numIfEifPKPS3_TnNSt9enable_ifIXaa18rocblas_is_complexIT_Ent18rocblas_is_complexIT1_EEiE4typeELi0EEEvPS9_llT2_lT0_lSE_b,@function
_ZN9rocsolver6v33100L8set_diagI19rocblas_complex_numIfEifPKPS3_TnNSt9enable_ifIXaa18rocblas_is_complexIT_Ent18rocblas_is_complexIT1_EEiE4typeELi0EEEvPS9_llT2_lT0_lSE_b: ; @_ZN9rocsolver6v33100L8set_diagI19rocblas_complex_numIfEifPKPS3_TnNSt9enable_ifIXaa18rocblas_is_complexIT_Ent18rocblas_is_complexIT1_EEiE4typeELi0EEEvPS9_llT2_lT0_lSE_b
; %bb.0:
	s_load_dword s2, s[4:5], 0x4c
	s_load_dwordx2 s[0:1], s[4:5], 0x38
	v_bfe_u32 v0, v0, 10, 10
	s_waitcnt lgkmcnt(0)
	s_lshr_b32 s2, s2, 16
	s_mul_i32 s7, s7, s2
	v_add_u32_e32 v0, s7, v0
	v_cmp_gt_i32_e32 vcc, s0, v0
	s_and_saveexec_b64 s[2:3], vcc
	s_cbranch_execz .LBB130_5
; %bb.1:
	s_load_dwordx8 s[8:15], s[4:5], 0x0
	s_bitcmp1_b32 s1, 0
	s_cselect_b64 s[0:1], -1, 0
	s_ashr_i32 s7, s6, 31
	s_lshl_b64 s[2:3], s[6:7], 3
	s_waitcnt lgkmcnt(0)
	s_add_u32 s2, s14, s2
	s_addc_u32 s3, s15, s3
	s_load_dwordx2 s[14:15], s[4:5], 0x20
	s_load_dwordx2 s[16:17], s[2:3], 0x0
	s_load_dword s18, s[4:5], 0x28
	s_waitcnt lgkmcnt(0)
	s_lshl_b64 s[2:3], s[14:15], 3
	s_add_u32 s4, s16, s2
	s_addc_u32 s5, s17, s3
	v_mad_u64_u32 v[2:3], s[2:3], v0, s18, v[0:1]
	v_ashrrev_i32_e32 v3, 31, v2
	v_lshlrev_b64 v[2:3], 3, v[2:3]
	v_mov_b32_e32 v1, s5
	v_add_co_u32_e32 v2, vcc, s4, v2
	v_addc_co_u32_e32 v3, vcc, v1, v3, vcc
	global_load_dword v4, v[2:3], off
	s_mul_i32 s3, s6, s13
	s_mul_hi_u32 s4, s6, s12
	s_mul_i32 s5, s7, s12
	s_add_i32 s3, s4, s3
	s_mul_i32 s2, s6, s12
	s_add_i32 s3, s3, s5
	s_lshl_b64 s[2:3], s[2:3], 2
	s_add_u32 s4, s8, s2
	s_addc_u32 s5, s9, s3
	s_lshl_b64 s[2:3], s[10:11], 2
	v_ashrrev_i32_e32 v1, 31, v0
	s_add_u32 s2, s4, s2
	v_lshlrev_b64 v[0:1], 2, v[0:1]
	s_addc_u32 s3, s5, s3
	s_and_b64 vcc, exec, s[0:1]
	v_mov_b32_e32 v5, s3
	v_add_co_u32_e64 v0, s[0:1], s2, v0
	v_addc_co_u32_e64 v1, s[0:1], v5, v1, s[0:1]
	s_waitcnt vmcnt(0)
	global_store_dword v[0:1], v4, off
	s_cbranch_vccnz .LBB130_3
; %bb.2:
	global_load_dword v5, v[2:3], off offset:4
	s_branch .LBB130_4
.LBB130_3:
	v_mov_b32_e32 v4, 1.0
	v_mov_b32_e32 v5, 0
.LBB130_4:
	s_waitcnt vmcnt(0)
	global_store_dwordx2 v[2:3], v[4:5], off
.LBB130_5:
	s_endpgm
	.section	.rodata,"a",@progbits
	.p2align	6, 0x0
	.amdhsa_kernel _ZN9rocsolver6v33100L8set_diagI19rocblas_complex_numIfEifPKPS3_TnNSt9enable_ifIXaa18rocblas_is_complexIT_Ent18rocblas_is_complexIT1_EEiE4typeELi0EEEvPS9_llT2_lT0_lSE_b
		.amdhsa_group_segment_fixed_size 0
		.amdhsa_private_segment_fixed_size 0
		.amdhsa_kernarg_size 320
		.amdhsa_user_sgpr_count 6
		.amdhsa_user_sgpr_private_segment_buffer 1
		.amdhsa_user_sgpr_dispatch_ptr 0
		.amdhsa_user_sgpr_queue_ptr 0
		.amdhsa_user_sgpr_kernarg_segment_ptr 1
		.amdhsa_user_sgpr_dispatch_id 0
		.amdhsa_user_sgpr_flat_scratch_init 0
		.amdhsa_user_sgpr_kernarg_preload_length 0
		.amdhsa_user_sgpr_kernarg_preload_offset 0
		.amdhsa_user_sgpr_private_segment_size 0
		.amdhsa_uses_dynamic_stack 0
		.amdhsa_system_sgpr_private_segment_wavefront_offset 0
		.amdhsa_system_sgpr_workgroup_id_x 1
		.amdhsa_system_sgpr_workgroup_id_y 1
		.amdhsa_system_sgpr_workgroup_id_z 0
		.amdhsa_system_sgpr_workgroup_info 0
		.amdhsa_system_vgpr_workitem_id 1
		.amdhsa_next_free_vgpr 6
		.amdhsa_next_free_sgpr 19
		.amdhsa_accum_offset 8
		.amdhsa_reserve_vcc 1
		.amdhsa_reserve_flat_scratch 0
		.amdhsa_float_round_mode_32 0
		.amdhsa_float_round_mode_16_64 0
		.amdhsa_float_denorm_mode_32 3
		.amdhsa_float_denorm_mode_16_64 3
		.amdhsa_dx10_clamp 1
		.amdhsa_ieee_mode 1
		.amdhsa_fp16_overflow 0
		.amdhsa_tg_split 0
		.amdhsa_exception_fp_ieee_invalid_op 0
		.amdhsa_exception_fp_denorm_src 0
		.amdhsa_exception_fp_ieee_div_zero 0
		.amdhsa_exception_fp_ieee_overflow 0
		.amdhsa_exception_fp_ieee_underflow 0
		.amdhsa_exception_fp_ieee_inexact 0
		.amdhsa_exception_int_div_zero 0
	.end_amdhsa_kernel
	.section	.text._ZN9rocsolver6v33100L8set_diagI19rocblas_complex_numIfEifPKPS3_TnNSt9enable_ifIXaa18rocblas_is_complexIT_Ent18rocblas_is_complexIT1_EEiE4typeELi0EEEvPS9_llT2_lT0_lSE_b,"axG",@progbits,_ZN9rocsolver6v33100L8set_diagI19rocblas_complex_numIfEifPKPS3_TnNSt9enable_ifIXaa18rocblas_is_complexIT_Ent18rocblas_is_complexIT1_EEiE4typeELi0EEEvPS9_llT2_lT0_lSE_b,comdat
.Lfunc_end130:
	.size	_ZN9rocsolver6v33100L8set_diagI19rocblas_complex_numIfEifPKPS3_TnNSt9enable_ifIXaa18rocblas_is_complexIT_Ent18rocblas_is_complexIT1_EEiE4typeELi0EEEvPS9_llT2_lT0_lSE_b, .Lfunc_end130-_ZN9rocsolver6v33100L8set_diagI19rocblas_complex_numIfEifPKPS3_TnNSt9enable_ifIXaa18rocblas_is_complexIT_Ent18rocblas_is_complexIT1_EEiE4typeELi0EEEvPS9_llT2_lT0_lSE_b
                                        ; -- End function
	.section	.AMDGPU.csdata,"",@progbits
; Kernel info:
; codeLenInByte = 304
; NumSgprs: 23
; NumVgprs: 6
; NumAgprs: 0
; TotalNumVgprs: 6
; ScratchSize: 0
; MemoryBound: 0
; FloatMode: 240
; IeeeMode: 1
; LDSByteSize: 0 bytes/workgroup (compile time only)
; SGPRBlocks: 2
; VGPRBlocks: 0
; NumSGPRsForWavesPerEU: 23
; NumVGPRsForWavesPerEU: 6
; AccumOffset: 8
; Occupancy: 8
; WaveLimiterHint : 1
; COMPUTE_PGM_RSRC2:SCRATCH_EN: 0
; COMPUTE_PGM_RSRC2:USER_SGPR: 6
; COMPUTE_PGM_RSRC2:TRAP_HANDLER: 0
; COMPUTE_PGM_RSRC2:TGID_X_EN: 1
; COMPUTE_PGM_RSRC2:TGID_Y_EN: 1
; COMPUTE_PGM_RSRC2:TGID_Z_EN: 0
; COMPUTE_PGM_RSRC2:TIDIG_COMP_CNT: 1
; COMPUTE_PGM_RSRC3_GFX90A:ACCUM_OFFSET: 1
; COMPUTE_PGM_RSRC3_GFX90A:TG_SPLIT: 0
	.section	.text._ZN9rocsolver6v33100L11set_taubetaI19rocblas_complex_numIfEifPKPS3_EEvPT_lS8_T2_llPT1_ll,"axG",@progbits,_ZN9rocsolver6v33100L11set_taubetaI19rocblas_complex_numIfEifPKPS3_EEvPT_lS8_T2_llPT1_ll,comdat
	.globl	_ZN9rocsolver6v33100L11set_taubetaI19rocblas_complex_numIfEifPKPS3_EEvPT_lS8_T2_llPT1_ll ; -- Begin function _ZN9rocsolver6v33100L11set_taubetaI19rocblas_complex_numIfEifPKPS3_EEvPT_lS8_T2_llPT1_ll
	.p2align	8
	.type	_ZN9rocsolver6v33100L11set_taubetaI19rocblas_complex_numIfEifPKPS3_EEvPT_lS8_T2_llPT1_ll,@function
_ZN9rocsolver6v33100L11set_taubetaI19rocblas_complex_numIfEifPKPS3_EEvPT_lS8_T2_llPT1_ll: ; @_ZN9rocsolver6v33100L11set_taubetaI19rocblas_complex_numIfEifPKPS3_EEvPT_lS8_T2_llPT1_ll
; %bb.0:
	s_load_dwordx8 s[8:15], s[4:5], 0x0
	s_load_dwordx2 s[20:21], s[4:5], 0x20
	s_load_dwordx4 s[0:3], s[4:5], 0x30
	s_ashr_i32 s7, s6, 31
	s_lshl_b64 s[18:19], s[6:7], 3
	s_waitcnt lgkmcnt(0)
	s_add_u32 s14, s14, s18
	s_addc_u32 s15, s15, s19
	s_load_dwordx2 s[22:23], s[14:15], 0x0
	s_mov_b64 s[16:17], 0
	s_cmp_eq_u64 s[0:1], 0
	s_mov_b64 s[14:15], 0
	s_cbranch_scc1 .LBB131_2
; %bb.1:
	s_load_dwordx2 s[4:5], s[4:5], 0x40
	s_waitcnt lgkmcnt(0)
	s_mul_i32 s5, s6, s5
	s_mul_hi_u32 s14, s6, s4
	s_mul_i32 s15, s7, s4
	s_add_i32 s5, s14, s5
	s_mul_i32 s4, s6, s4
	s_add_i32 s5, s5, s15
	s_lshl_b64 s[4:5], s[4:5], 2
	s_add_u32 s4, s0, s4
	s_addc_u32 s5, s1, s5
	s_lshl_b64 s[0:1], s[2:3], 2
	s_add_u32 s14, s4, s0
	s_addc_u32 s15, s5, s1
.LBB131_2:
	s_lshl_b64 s[0:1], s[20:21], 3
	s_waitcnt lgkmcnt(0)
	s_add_u32 s2, s22, s0
	s_addc_u32 s3, s23, s1
	s_mul_i32 s0, s6, s11
	s_mul_hi_u32 s1, s6, s10
	s_add_i32 s0, s1, s0
	s_mul_i32 s1, s7, s10
	s_add_i32 s1, s0, s1
	s_mul_i32 s0, s6, s10
	s_lshl_b64 s[0:1], s[0:1], 3
	s_add_u32 s4, s8, s0
	s_addc_u32 s5, s9, s1
	s_add_u32 s8, s12, s18
	s_addc_u32 s9, s13, s19
	s_load_dword s10, s[2:3], 0x4
	s_load_dword s11, s[8:9], 0x0
	s_cmp_lg_u64 s[14:15], 0
	s_cselect_b64 s[6:7], -1, 0
	s_mov_b64 s[0:1], -1
	s_waitcnt lgkmcnt(0)
	v_mul_f32_e64 v2, s10, s10
	v_max_f32_e64 v0, s11, s11
	v_max_f32_e32 v0, v0, v2
	v_cmp_nlt_f32_e32 vcc, 0, v0
	s_cbranch_vccz .LBB131_5
; %bb.3:
	v_mov_b32_e32 v1, 0
	v_mov_b32_e32 v0, 1.0
	v_mov_b32_e32 v4, v1
	v_mov_b32_e32 v5, v1
	s_mov_b64 s[0:1], 0
	s_and_b64 vcc, exec, s[6:7]
	global_store_dwordx2 v1, v[0:1], s[8:9]
	global_store_dwordx2 v1, v[4:5], s[4:5]
	s_cbranch_vccz .LBB131_5
; %bb.4:
	global_load_dword v3, v1, s[2:3]
	v_pk_mov_b32 v[4:5], s[14:15], s[14:15] op_sel:[0,1]
	s_mov_b64 s[16:17], -1
	s_waitcnt vmcnt(0)
	flat_store_dword v[4:5], v3
	global_store_dword v1, v0, s[2:3]
.LBB131_5:
	s_and_b64 vcc, exec, s[0:1]
	s_cbranch_vccnz .LBB131_8
; %bb.6:
	s_andn2_b64 vcc, exec, s[16:17]
	s_cbranch_vccz .LBB131_12
; %bb.7:
	s_endpgm
.LBB131_8:
	s_load_dword s12, s[2:3], 0x0
	s_mov_b32 s0, 0xf800000
	v_mov_b32_e32 v3, 0x260
	s_waitcnt lgkmcnt(0)
	v_fma_f32 v0, s12, s12, v2
	v_add_f32_e32 v0, s11, v0
	v_mul_f32_e32 v1, 0x4f800000, v0
	v_cmp_gt_f32_e32 vcc, s0, v0
	v_cndmask_b32_e32 v0, v0, v1, vcc
	v_sqrt_f32_e32 v1, v0
	v_add_u32_e32 v4, -1, v1
	v_add_u32_e32 v5, 1, v1
	v_fma_f32 v6, -v4, v1, v0
	v_fma_f32 v7, -v5, v1, v0
	v_cmp_ge_f32_e64 s[0:1], 0, v6
	v_cndmask_b32_e64 v1, v1, v4, s[0:1]
	v_cmp_lt_f32_e64 s[0:1], 0, v7
	v_cndmask_b32_e64 v1, v1, v5, s[0:1]
	v_mul_f32_e32 v4, 0x37800000, v1
	v_cndmask_b32_e32 v1, v1, v4, vcc
	v_cmp_class_f32_e32 vcc, v0, v3
	v_cndmask_b32_e32 v0, v1, v0, vcc
	v_cmp_ge_f32_e64 s[0:1], s12, 0
	v_cndmask_b32_e64 v0, v0, -v0, s[0:1]
	v_sub_f32_e32 v1, s12, v0
	v_fmac_f32_e32 v2, v1, v1
	v_div_scale_f32 v3, s[0:1], v2, v2, v1
	v_rcp_f32_e32 v4, v3
	v_fma_f32 v5, -v3, v4, 1.0
	v_fmac_f32_e32 v4, v5, v4
	v_div_scale_f32 v5, vcc, v1, v2, v1
	v_mul_f32_e32 v6, v5, v4
	v_fma_f32 v7, -v3, v6, v5
	v_fmac_f32_e32 v6, v7, v4
	v_fma_f32 v3, -v3, v6, v5
	v_div_scale_f32 v5, s[0:1], v2, v2, -s10
	v_rcp_f32_e32 v7, v5
	v_div_fmas_f32 v3, v3, v4, v6
	v_div_fixup_f32 v4, v3, v2, v1
	v_fma_f32 v1, -v5, v7, 1.0
	v_fmac_f32_e32 v7, v1, v7
	v_div_scale_f32 v1, vcc, -s10, v2, -s10
	v_mul_f32_e32 v3, v1, v7
	v_fma_f32 v6, -v5, v3, v1
	v_fmac_f32_e32 v3, v6, v7
	v_fma_f32 v1, -v5, v3, v1
	v_div_fmas_f32 v1, v1, v7, v3
	v_subrev_f32_e32 v3, s12, v0
	v_div_scale_f32 v6, s[0:1], v0, v0, v3
	v_rcp_f32_e32 v7, v6
	v_div_fixup_f32 v5, v1, v2, -s10
	v_mov_b32_e32 v1, 0
	global_store_dwordx2 v1, v[4:5], s[8:9]
	v_fma_f32 v2, -v6, v7, 1.0
	v_fmac_f32_e32 v7, v2, v7
	v_div_scale_f32 v2, vcc, v3, v0, v3
	v_mul_f32_e32 v4, v2, v7
	v_fma_f32 v5, -v6, v4, v2
	v_fmac_f32_e32 v4, v5, v7
	v_div_scale_f32 v5, s[0:1], v0, v0, -s10
	v_fma_f32 v2, -v6, v4, v2
	v_rcp_f32_e32 v6, v5
	v_div_fmas_f32 v2, v2, v7, v4
	v_div_fixup_f32 v2, v2, v0, v3
	v_fma_f32 v3, -v5, v6, 1.0
	v_fmac_f32_e32 v6, v3, v6
	v_div_scale_f32 v3, vcc, -s10, v0, -s10
	v_mul_f32_e32 v4, v3, v6
	v_fma_f32 v7, -v5, v4, v3
	v_fmac_f32_e32 v4, v7, v6
	v_fma_f32 v3, -v5, v4, v3
	v_div_fmas_f32 v3, v3, v6, v4
	v_div_fixup_f32 v3, v3, v0, -s10
	s_and_b64 vcc, exec, s[6:7]
	global_store_dwordx2 v1, v[2:3], s[4:5]
	s_cbranch_vccz .LBB131_13
; %bb.9:
	v_pk_mov_b32 v[2:3], s[14:15], s[14:15] op_sel:[0,1]
	flat_store_dword v[2:3], v0
	v_mov_b32_e32 v2, 1.0
	s_waitcnt lgkmcnt(0)
	global_store_dword v1, v2, s[2:3]
	s_cbranch_execnz .LBB131_11
.LBB131_10:
	v_mov_b32_e32 v1, 0
	global_store_dword v1, v0, s[2:3]
.LBB131_11:
.LBB131_12:
	v_mov_b32_e32 v0, 0
	global_store_dword v0, v0, s[2:3] offset:4
	s_endpgm
.LBB131_13:
	s_branch .LBB131_10
	.section	.rodata,"a",@progbits
	.p2align	6, 0x0
	.amdhsa_kernel _ZN9rocsolver6v33100L11set_taubetaI19rocblas_complex_numIfEifPKPS3_EEvPT_lS8_T2_llPT1_ll
		.amdhsa_group_segment_fixed_size 0
		.amdhsa_private_segment_fixed_size 0
		.amdhsa_kernarg_size 72
		.amdhsa_user_sgpr_count 6
		.amdhsa_user_sgpr_private_segment_buffer 1
		.amdhsa_user_sgpr_dispatch_ptr 0
		.amdhsa_user_sgpr_queue_ptr 0
		.amdhsa_user_sgpr_kernarg_segment_ptr 1
		.amdhsa_user_sgpr_dispatch_id 0
		.amdhsa_user_sgpr_flat_scratch_init 0
		.amdhsa_user_sgpr_kernarg_preload_length 0
		.amdhsa_user_sgpr_kernarg_preload_offset 0
		.amdhsa_user_sgpr_private_segment_size 0
		.amdhsa_uses_dynamic_stack 0
		.amdhsa_system_sgpr_private_segment_wavefront_offset 0
		.amdhsa_system_sgpr_workgroup_id_x 1
		.amdhsa_system_sgpr_workgroup_id_y 0
		.amdhsa_system_sgpr_workgroup_id_z 0
		.amdhsa_system_sgpr_workgroup_info 0
		.amdhsa_system_vgpr_workitem_id 0
		.amdhsa_next_free_vgpr 8
		.amdhsa_next_free_sgpr 24
		.amdhsa_accum_offset 8
		.amdhsa_reserve_vcc 1
		.amdhsa_reserve_flat_scratch 0
		.amdhsa_float_round_mode_32 0
		.amdhsa_float_round_mode_16_64 0
		.amdhsa_float_denorm_mode_32 3
		.amdhsa_float_denorm_mode_16_64 3
		.amdhsa_dx10_clamp 1
		.amdhsa_ieee_mode 1
		.amdhsa_fp16_overflow 0
		.amdhsa_tg_split 0
		.amdhsa_exception_fp_ieee_invalid_op 0
		.amdhsa_exception_fp_denorm_src 0
		.amdhsa_exception_fp_ieee_div_zero 0
		.amdhsa_exception_fp_ieee_overflow 0
		.amdhsa_exception_fp_ieee_underflow 0
		.amdhsa_exception_fp_ieee_inexact 0
		.amdhsa_exception_int_div_zero 0
	.end_amdhsa_kernel
	.section	.text._ZN9rocsolver6v33100L11set_taubetaI19rocblas_complex_numIfEifPKPS3_EEvPT_lS8_T2_llPT1_ll,"axG",@progbits,_ZN9rocsolver6v33100L11set_taubetaI19rocblas_complex_numIfEifPKPS3_EEvPT_lS8_T2_llPT1_ll,comdat
.Lfunc_end131:
	.size	_ZN9rocsolver6v33100L11set_taubetaI19rocblas_complex_numIfEifPKPS3_EEvPT_lS8_T2_llPT1_ll, .Lfunc_end131-_ZN9rocsolver6v33100L11set_taubetaI19rocblas_complex_numIfEifPKPS3_EEvPT_lS8_T2_llPT1_ll
                                        ; -- End function
	.section	.AMDGPU.csdata,"",@progbits
; Kernel info:
; codeLenInByte = 900
; NumSgprs: 28
; NumVgprs: 8
; NumAgprs: 0
; TotalNumVgprs: 8
; ScratchSize: 0
; MemoryBound: 0
; FloatMode: 240
; IeeeMode: 1
; LDSByteSize: 0 bytes/workgroup (compile time only)
; SGPRBlocks: 3
; VGPRBlocks: 0
; NumSGPRsForWavesPerEU: 28
; NumVGPRsForWavesPerEU: 8
; AccumOffset: 8
; Occupancy: 8
; WaveLimiterHint : 1
; COMPUTE_PGM_RSRC2:SCRATCH_EN: 0
; COMPUTE_PGM_RSRC2:USER_SGPR: 6
; COMPUTE_PGM_RSRC2:TRAP_HANDLER: 0
; COMPUTE_PGM_RSRC2:TGID_X_EN: 1
; COMPUTE_PGM_RSRC2:TGID_Y_EN: 0
; COMPUTE_PGM_RSRC2:TGID_Z_EN: 0
; COMPUTE_PGM_RSRC2:TIDIG_COMP_CNT: 0
; COMPUTE_PGM_RSRC3_GFX90A:ACCUM_OFFSET: 1
; COMPUTE_PGM_RSRC3_GFX90A:TG_SPLIT: 0
	.section	.text._ZN9rocsolver6v33100L13conj_in_placeI19rocblas_complex_numIfEiPS3_TnNSt9enable_ifIX18rocblas_is_complexIT_EEiE4typeELi0EEEvT0_S9_T1_lS9_l,"axG",@progbits,_ZN9rocsolver6v33100L13conj_in_placeI19rocblas_complex_numIfEiPS3_TnNSt9enable_ifIX18rocblas_is_complexIT_EEiE4typeELi0EEEvT0_S9_T1_lS9_l,comdat
	.globl	_ZN9rocsolver6v33100L13conj_in_placeI19rocblas_complex_numIfEiPS3_TnNSt9enable_ifIX18rocblas_is_complexIT_EEiE4typeELi0EEEvT0_S9_T1_lS9_l ; -- Begin function _ZN9rocsolver6v33100L13conj_in_placeI19rocblas_complex_numIfEiPS3_TnNSt9enable_ifIX18rocblas_is_complexIT_EEiE4typeELi0EEEvT0_S9_T1_lS9_l
	.p2align	8
	.type	_ZN9rocsolver6v33100L13conj_in_placeI19rocblas_complex_numIfEiPS3_TnNSt9enable_ifIX18rocblas_is_complexIT_EEiE4typeELi0EEEvT0_S9_T1_lS9_l,@function
_ZN9rocsolver6v33100L13conj_in_placeI19rocblas_complex_numIfEiPS3_TnNSt9enable_ifIX18rocblas_is_complexIT_EEiE4typeELi0EEEvT0_S9_T1_lS9_l: ; @_ZN9rocsolver6v33100L13conj_in_placeI19rocblas_complex_numIfEiPS3_TnNSt9enable_ifIX18rocblas_is_complexIT_EEiE4typeELi0EEEvT0_S9_T1_lS9_l
; %bb.0:
	s_load_dword s2, s[4:5], 0x34
	s_load_dwordx2 s[0:1], s[4:5], 0x0
	v_and_b32_e32 v1, 0x3ff, v0
	v_bfe_u32 v0, v0, 10, 10
	s_waitcnt lgkmcnt(0)
	s_lshr_b32 s3, s2, 16
	s_and_b32 s2, s2, 0xffff
	s_mul_i32 s6, s6, s2
	s_mul_i32 s7, s7, s3
	v_add_u32_e32 v2, s6, v1
	v_add_u32_e32 v0, s7, v0
	v_cmp_gt_i32_e32 vcc, s0, v2
	v_cmp_gt_i32_e64 s[0:1], s1, v0
	s_and_b64 s[0:1], vcc, s[0:1]
	s_and_saveexec_b64 s[2:3], s[0:1]
	s_cbranch_execz .LBB132_2
; %bb.1:
	s_load_dwordx2 s[6:7], s[4:5], 0x20
	s_load_dwordx4 s[0:3], s[4:5], 0x8
	s_load_dword s9, s[4:5], 0x18
	s_ashr_i32 s4, s8, 31
	v_ashrrev_i32_e32 v3, 31, v2
	s_waitcnt lgkmcnt(0)
	s_mul_i32 s5, s8, s7
	s_mul_hi_u32 s7, s8, s6
	s_add_i32 s5, s7, s5
	s_mul_i32 s4, s4, s6
	s_add_i32 s5, s5, s4
	s_mul_i32 s4, s8, s6
	s_lshl_b64 s[4:5], s[4:5], 3
	s_add_u32 s4, s0, s4
	s_addc_u32 s5, s1, s5
	s_lshl_b64 s[0:1], s[2:3], 3
	s_add_u32 s2, s4, s0
	s_addc_u32 s3, s5, s1
	v_mad_i64_i32 v[0:1], s[0:1], v0, s9, 0
	v_lshlrev_b64 v[4:5], 3, v[0:1]
	v_mov_b32_e32 v1, s3
	v_add_co_u32_e32 v6, vcc, s2, v4
	v_addc_co_u32_e32 v1, vcc, v1, v5, vcc
	v_lshlrev_b64 v[4:5], 3, v[2:3]
	v_add_co_u32_e32 v4, vcc, v6, v4
	v_addc_co_u32_e32 v5, vcc, v1, v5, vcc
	global_load_dwordx2 v[4:5], v[4:5], off
	v_add_u32_e32 v0, v0, v2
	v_ashrrev_i32_e32 v1, 31, v0
	v_lshlrev_b64 v[0:1], 3, v[0:1]
	v_mov_b32_e32 v2, s3
	v_add_co_u32_e32 v0, vcc, s2, v0
	v_addc_co_u32_e32 v1, vcc, v2, v1, vcc
	s_waitcnt vmcnt(0)
	v_xor_b32_e32 v5, 0x80000000, v5
	global_store_dwordx2 v[0:1], v[4:5], off
.LBB132_2:
	s_endpgm
	.section	.rodata,"a",@progbits
	.p2align	6, 0x0
	.amdhsa_kernel _ZN9rocsolver6v33100L13conj_in_placeI19rocblas_complex_numIfEiPS3_TnNSt9enable_ifIX18rocblas_is_complexIT_EEiE4typeELi0EEEvT0_S9_T1_lS9_l
		.amdhsa_group_segment_fixed_size 0
		.amdhsa_private_segment_fixed_size 0
		.amdhsa_kernarg_size 296
		.amdhsa_user_sgpr_count 6
		.amdhsa_user_sgpr_private_segment_buffer 1
		.amdhsa_user_sgpr_dispatch_ptr 0
		.amdhsa_user_sgpr_queue_ptr 0
		.amdhsa_user_sgpr_kernarg_segment_ptr 1
		.amdhsa_user_sgpr_dispatch_id 0
		.amdhsa_user_sgpr_flat_scratch_init 0
		.amdhsa_user_sgpr_kernarg_preload_length 0
		.amdhsa_user_sgpr_kernarg_preload_offset 0
		.amdhsa_user_sgpr_private_segment_size 0
		.amdhsa_uses_dynamic_stack 0
		.amdhsa_system_sgpr_private_segment_wavefront_offset 0
		.amdhsa_system_sgpr_workgroup_id_x 1
		.amdhsa_system_sgpr_workgroup_id_y 1
		.amdhsa_system_sgpr_workgroup_id_z 1
		.amdhsa_system_sgpr_workgroup_info 0
		.amdhsa_system_vgpr_workitem_id 1
		.amdhsa_next_free_vgpr 7
		.amdhsa_next_free_sgpr 10
		.amdhsa_accum_offset 8
		.amdhsa_reserve_vcc 1
		.amdhsa_reserve_flat_scratch 0
		.amdhsa_float_round_mode_32 0
		.amdhsa_float_round_mode_16_64 0
		.amdhsa_float_denorm_mode_32 3
		.amdhsa_float_denorm_mode_16_64 3
		.amdhsa_dx10_clamp 1
		.amdhsa_ieee_mode 1
		.amdhsa_fp16_overflow 0
		.amdhsa_tg_split 0
		.amdhsa_exception_fp_ieee_invalid_op 0
		.amdhsa_exception_fp_denorm_src 0
		.amdhsa_exception_fp_ieee_div_zero 0
		.amdhsa_exception_fp_ieee_overflow 0
		.amdhsa_exception_fp_ieee_underflow 0
		.amdhsa_exception_fp_ieee_inexact 0
		.amdhsa_exception_int_div_zero 0
	.end_amdhsa_kernel
	.section	.text._ZN9rocsolver6v33100L13conj_in_placeI19rocblas_complex_numIfEiPS3_TnNSt9enable_ifIX18rocblas_is_complexIT_EEiE4typeELi0EEEvT0_S9_T1_lS9_l,"axG",@progbits,_ZN9rocsolver6v33100L13conj_in_placeI19rocblas_complex_numIfEiPS3_TnNSt9enable_ifIX18rocblas_is_complexIT_EEiE4typeELi0EEEvT0_S9_T1_lS9_l,comdat
.Lfunc_end132:
	.size	_ZN9rocsolver6v33100L13conj_in_placeI19rocblas_complex_numIfEiPS3_TnNSt9enable_ifIX18rocblas_is_complexIT_EEiE4typeELi0EEEvT0_S9_T1_lS9_l, .Lfunc_end132-_ZN9rocsolver6v33100L13conj_in_placeI19rocblas_complex_numIfEiPS3_TnNSt9enable_ifIX18rocblas_is_complexIT_EEiE4typeELi0EEEvT0_S9_T1_lS9_l
                                        ; -- End function
	.section	.AMDGPU.csdata,"",@progbits
; Kernel info:
; codeLenInByte = 276
; NumSgprs: 14
; NumVgprs: 7
; NumAgprs: 0
; TotalNumVgprs: 7
; ScratchSize: 0
; MemoryBound: 0
; FloatMode: 240
; IeeeMode: 1
; LDSByteSize: 0 bytes/workgroup (compile time only)
; SGPRBlocks: 1
; VGPRBlocks: 0
; NumSGPRsForWavesPerEU: 14
; NumVGPRsForWavesPerEU: 7
; AccumOffset: 8
; Occupancy: 8
; WaveLimiterHint : 0
; COMPUTE_PGM_RSRC2:SCRATCH_EN: 0
; COMPUTE_PGM_RSRC2:USER_SGPR: 6
; COMPUTE_PGM_RSRC2:TRAP_HANDLER: 0
; COMPUTE_PGM_RSRC2:TGID_X_EN: 1
; COMPUTE_PGM_RSRC2:TGID_Y_EN: 1
; COMPUTE_PGM_RSRC2:TGID_Z_EN: 1
; COMPUTE_PGM_RSRC2:TIDIG_COMP_CNT: 1
; COMPUTE_PGM_RSRC3_GFX90A:ACCUM_OFFSET: 1
; COMPUTE_PGM_RSRC3_GFX90A:TG_SPLIT: 0
	.section	.text._ZN9rocsolver6v33100L16larf_left_kernelILi1024E19rocblas_complex_numIfEiPKPS3_EEvT1_S7_T2_lS7_lPKT0_lS8_lS7_l,"axG",@progbits,_ZN9rocsolver6v33100L16larf_left_kernelILi1024E19rocblas_complex_numIfEiPKPS3_EEvT1_S7_T2_lS7_lPKT0_lS8_lS7_l,comdat
	.globl	_ZN9rocsolver6v33100L16larf_left_kernelILi1024E19rocblas_complex_numIfEiPKPS3_EEvT1_S7_T2_lS7_lPKT0_lS8_lS7_l ; -- Begin function _ZN9rocsolver6v33100L16larf_left_kernelILi1024E19rocblas_complex_numIfEiPKPS3_EEvT1_S7_T2_lS7_lPKT0_lS8_lS7_l
	.p2align	8
	.type	_ZN9rocsolver6v33100L16larf_left_kernelILi1024E19rocblas_complex_numIfEiPKPS3_EEvT1_S7_T2_lS7_lPKT0_lS8_lS7_l,@function
_ZN9rocsolver6v33100L16larf_left_kernelILi1024E19rocblas_complex_numIfEiPKPS3_EEvT1_S7_T2_lS7_lPKT0_lS8_lS7_l: ; @_ZN9rocsolver6v33100L16larf_left_kernelILi1024E19rocblas_complex_numIfEiPKPS3_EEvT1_S7_T2_lS7_lPKT0_lS8_lS7_l
; %bb.0:
	s_load_dwordx8 s[12:19], s[4:5], 0x28
	s_load_dword s22, s[4:5], 0x0
	s_load_dword s6, s[4:5], 0x48
	s_ashr_i32 s9, s8, 31
	s_lshl_b64 s[20:21], s[8:9], 3
	s_waitcnt lgkmcnt(0)
	s_add_u32 s0, s16, s20
	s_addc_u32 s1, s17, s21
	s_load_dwordx2 s[2:3], s[0:1], 0x0
	v_mov_b32_e32 v5, 0
	s_mul_hi_i32 s11, s6, s7
	s_mul_i32 s10, s6, s7
	v_cmp_gt_i32_e64 s[0:1], s22, v0
	v_mov_b32_e32 v4, v5
	s_and_saveexec_b64 s[6:7], s[0:1]
	s_cbranch_execz .LBB133_6
; %bb.1:
	s_load_dword s16, s[4:5], 0x18
	s_load_dwordx4 s[24:27], s[4:5], 0x8
	s_sub_i32 s4, 1, s22
	v_lshl_add_u32 v1, v0, 3, 0
	v_add_u32_e32 v1, 0x80, v1
	s_waitcnt lgkmcnt(0)
	s_ashr_i32 s17, s16, 31
	s_mul_i32 s23, s4, s16
	v_cmp_lt_i64_e64 s[4:5], s[16:17], 1
	s_and_b64 s[4:5], s[4:5], exec
	s_cselect_b32 s4, s23, 0
	s_ashr_i32 s5, s4, 31
	s_add_u32 s20, s24, s20
	s_addc_u32 s21, s25, s21
	s_load_dwordx2 s[20:21], s[20:21], 0x0
	v_mad_i64_i32 v[2:3], s[24:25], s16, v0, 0
	s_lshl_b64 s[24:25], s[26:27], 3
	s_lshl_b64 s[4:5], s[4:5], 3
	s_waitcnt lgkmcnt(0)
	s_add_u32 s4, s20, s4
	s_addc_u32 s5, s21, s5
	s_add_u32 s4, s4, s24
	v_lshlrev_b64 v[2:3], 3, v[2:3]
	s_addc_u32 s5, s5, s25
	v_mov_b32_e32 v4, s5
	v_add_co_u32_e32 v2, vcc, s4, v2
	s_lshl_b64 s[16:17], s[16:17], 13
	v_addc_co_u32_e32 v3, vcc, v4, v3, vcc
	s_mov_b64 s[4:5], 0
	v_mov_b32_e32 v4, s17
	v_mov_b32_e32 v5, v1
	;; [unrolled: 1-line block ×3, first 2 shown]
.LBB133_2:                              ; =>This Inner Loop Header: Depth=1
	global_load_dwordx2 v[8:9], v[2:3], off
	v_add_co_u32_e32 v2, vcc, s16, v2
	v_add_u32_e32 v6, 0x400, v6
	v_addc_co_u32_e32 v3, vcc, v3, v4, vcc
	v_cmp_le_i32_e32 vcc, s22, v6
	s_or_b64 s[4:5], vcc, s[4:5]
	s_waitcnt vmcnt(0)
	ds_write_b64 v5, v[8:9]
	v_add_u32_e32 v5, 0x2000, v5
	s_andn2_b64 exec, exec, s[4:5]
	s_cbranch_execnz .LBB133_2
; %bb.3:
	s_or_b64 exec, exec, s[4:5]
	s_lshl_b64 s[4:5], s[10:11], 3
	s_lshl_b64 s[16:17], s[18:19], 3
	s_add_u32 s4, s4, s16
	s_addc_u32 s5, s5, s17
	s_add_u32 s4, s2, s4
	v_lshlrev_b32_e32 v2, 3, v0
	s_addc_u32 s5, s3, s5
	v_mov_b32_e32 v3, s5
	v_add_co_u32_e32 v4, vcc, s4, v2
	v_mov_b32_e32 v2, 0
	v_addc_co_u32_e32 v5, vcc, 0, v3, vcc
	s_mov_b64 s[4:5], 0
	v_mov_b32_e32 v6, v0
	v_mov_b32_e32 v3, v2
.LBB133_4:                              ; =>This Inner Loop Header: Depth=1
	global_load_dwordx2 v[8:9], v[4:5], off
	ds_read_b64 v[10:11], v1
	v_add_co_u32_e32 v4, vcc, 0x2000, v4
	v_add_u32_e32 v6, 0x400, v6
	v_addc_co_u32_e32 v5, vcc, 0, v5, vcc
	v_cmp_le_i32_e32 vcc, s22, v6
	v_add_u32_e32 v1, 0x2000, v1
	s_or_b64 s[4:5], vcc, s[4:5]
	s_waitcnt vmcnt(0)
	v_mov_b32_e32 v12, v9
	s_waitcnt lgkmcnt(0)
	v_pk_mul_f32 v[14:15], v[8:9], v[10:11] op_sel:[0,1] op_sel_hi:[1,0]
	v_pk_mul_f32 v[12:13], v[12:13], v[10:11] op_sel:[0,1] op_sel_hi:[1,0]
	v_mov_b32_e32 v14, v15
	v_pk_fma_f32 v[12:13], v[8:9], v[10:11], v[12:13]
	v_pk_fma_f32 v[8:9], v[8:9], v[10:11], v[14:15] op_sel:[0,1,0] op_sel_hi:[1,0,1] neg_lo:[0,0,1] neg_hi:[0,0,1]
	v_mov_b32_e32 v9, v12
	v_pk_add_f32 v[2:3], v[2:3], v[8:9]
	s_andn2_b64 exec, exec, s[4:5]
	s_cbranch_execnz .LBB133_4
; %bb.5:
	s_or_b64 exec, exec, s[4:5]
	v_mov_b32_e32 v5, v2
	v_mov_b32_e32 v4, v3
.LBB133_6:
	s_or_b64 exec, exec, s[6:7]
	v_mbcnt_lo_u32_b32 v1, -1, 0
	v_mbcnt_hi_u32_b32 v1, -1, v1
	v_and_b32_e32 v6, 63, v1
	v_cmp_ne_u32_e32 vcc, 63, v6
	v_addc_co_u32_e32 v2, vcc, 0, v1, vcc
	v_lshlrev_b32_e32 v3, 2, v2
	ds_bpermute_b32 v2, v3, v4
	ds_bpermute_b32 v3, v3, v5
	v_cmp_gt_u32_e32 vcc, 62, v6
	v_cndmask_b32_e64 v7, 0, 1, vcc
	v_lshlrev_b32_e32 v7, 1, v7
	v_add_lshl_u32 v7, v7, v1, 2
	s_waitcnt lgkmcnt(0)
	v_pk_add_f32 v[2:3], v[4:5], v[2:3]
	ds_bpermute_b32 v4, v7, v2
	ds_bpermute_b32 v5, v7, v3
	v_cmp_gt_u32_e32 vcc, 60, v6
	v_cndmask_b32_e64 v7, 0, 1, vcc
	v_lshlrev_b32_e32 v7, 2, v7
	v_add_lshl_u32 v7, v7, v1, 2
	s_waitcnt lgkmcnt(0)
	v_pk_add_f32 v[2:3], v[2:3], v[4:5]
	ds_bpermute_b32 v4, v7, v2
	ds_bpermute_b32 v5, v7, v3
	v_cmp_gt_u32_e32 vcc, 56, v6
	v_cndmask_b32_e64 v7, 0, 1, vcc
	v_lshlrev_b32_e32 v7, 3, v7
	v_add_lshl_u32 v7, v7, v1, 2
	s_waitcnt lgkmcnt(0)
	v_pk_add_f32 v[2:3], v[2:3], v[4:5]
	ds_bpermute_b32 v4, v7, v2
	ds_bpermute_b32 v5, v7, v3
	v_cmp_gt_u32_e32 vcc, 48, v6
	v_cndmask_b32_e64 v7, 0, 1, vcc
	v_lshlrev_b32_e32 v7, 4, v7
	v_add_lshl_u32 v7, v7, v1, 2
	s_waitcnt lgkmcnt(0)
	v_pk_add_f32 v[2:3], v[2:3], v[4:5]
	ds_bpermute_b32 v4, v7, v2
	ds_bpermute_b32 v5, v7, v3
	v_cmp_gt_u32_e32 vcc, 32, v6
	v_cndmask_b32_e64 v6, 0, 1, vcc
	v_lshlrev_b32_e32 v6, 5, v6
	v_add_lshl_u32 v1, v6, v1, 2
	s_waitcnt lgkmcnt(0)
	v_pk_add_f32 v[2:3], v[2:3], v[4:5]
	ds_bpermute_b32 v4, v1, v2
	ds_bpermute_b32 v5, v1, v3
	v_and_b32_e32 v1, 63, v0
	v_cmp_eq_u32_e32 vcc, 0, v1
	s_waitcnt lgkmcnt(0)
	v_pk_add_f32 v[2:3], v[2:3], v[4:5]
	s_and_saveexec_b64 s[4:5], vcc
	s_cbranch_execz .LBB133_8
; %bb.7:
	v_lshrrev_b32_e32 v1, 3, v0
	v_add_u32_e32 v1, 0, v1
	ds_write2_b32 v1, v2, v3 offset1:1
.LBB133_8:
	s_or_b64 exec, exec, s[4:5]
	v_cmp_eq_u32_e32 vcc, 0, v0
	s_waitcnt lgkmcnt(0)
	s_barrier
	s_and_saveexec_b64 s[4:5], vcc
	s_cbranch_execz .LBB133_10
; %bb.9:
	v_mov_b32_e32 v1, 0
	ds_read2_b64 v[4:7], v1 offset0:1 offset1:2
	ds_read2_b64 v[8:11], v1 offset0:3 offset1:4
	;; [unrolled: 1-line block ×4, first 2 shown]
	s_waitcnt lgkmcnt(3)
	v_pk_add_f32 v[2:3], v[2:3], v[4:5]
	v_pk_add_f32 v[2:3], v[2:3], v[6:7]
	s_waitcnt lgkmcnt(2)
	v_pk_add_f32 v[2:3], v[2:3], v[8:9]
	v_pk_add_f32 v[2:3], v[2:3], v[10:11]
	s_waitcnt lgkmcnt(1)
	v_pk_add_f32 v[6:7], v[2:3], v[12:13]
	ds_read2_b64 v[2:5], v1 offset0:9 offset1:10
	v_pk_add_f32 v[6:7], v[6:7], v[14:15]
	s_waitcnt lgkmcnt(1)
	v_pk_add_f32 v[6:7], v[6:7], v[16:17]
	v_pk_add_f32 v[10:11], v[6:7], v[18:19]
	ds_read2_b64 v[6:9], v1 offset0:11 offset1:12
	s_waitcnt lgkmcnt(1)
	v_pk_add_f32 v[2:3], v[10:11], v[2:3]
	ds_read2_b64 v[10:13], v1 offset0:13 offset1:14
	v_pk_add_f32 v[2:3], v[2:3], v[4:5]
	ds_read_b64 v[4:5], v1 offset:120
	s_waitcnt lgkmcnt(2)
	v_pk_add_f32 v[2:3], v[2:3], v[6:7]
	v_pk_add_f32 v[2:3], v[2:3], v[8:9]
	s_waitcnt lgkmcnt(1)
	v_pk_add_f32 v[2:3], v[2:3], v[10:11]
	v_pk_add_f32 v[2:3], v[2:3], v[12:13]
	s_waitcnt lgkmcnt(0)
	v_pk_add_f32 v[2:3], v[2:3], v[4:5]
	ds_write_b64 v1, v[2:3]
.LBB133_10:
	s_or_b64 exec, exec, s[4:5]
	s_waitcnt lgkmcnt(0)
	s_barrier
	s_and_saveexec_b64 s[4:5], s[0:1]
	s_cbranch_execz .LBB133_20
; %bb.11:
	s_mul_i32 s0, s8, s15
	s_mul_hi_u32 s1, s8, s14
	s_add_i32 s0, s1, s0
	s_mul_i32 s1, s9, s14
	s_add_i32 s1, s0, s1
	s_mul_i32 s0, s8, s14
	s_lshl_b64 s[0:1], s[0:1], 3
	s_add_u32 s0, s12, s0
	s_addc_u32 s1, s13, s1
	v_mov_b32_e32 v7, 0
	s_load_dwordx2 s[0:1], s[0:1], 0x0
	ds_read_b64 v[4:5], v7
	s_mov_b64 s[4:5], 0
	s_waitcnt lgkmcnt(0)
	v_mul_f32_e32 v1, s1, v5
	v_fma_f32 v2, v4, -s0, -v1
	v_mul_f32_e32 v1, s1, v4
	v_fma_f32 v4, s0, v5, -v1
	v_xad_u32 v1, v0, -1, s22
	s_movk_i32 s0, 0x3ff
	v_cmp_lt_u32_e32 vcc, s0, v1
	s_and_saveexec_b64 s[0:1], vcc
	s_xor_b64 s[0:1], exec, s[0:1]
	s_cbranch_execnz .LBB133_14
; %bb.12:
	s_andn2_saveexec_b64 s[0:1], s[0:1]
	s_cbranch_execnz .LBB133_17
.LBB133_13:
	s_or_b64 exec, exec, s[0:1]
	s_and_b64 exec, exec, s[4:5]
	s_cbranch_execnz .LBB133_18
	s_branch .LBB133_20
.LBB133_14:
	s_lshl_b64 s[4:5], s[18:19], 3
	s_add_u32 s6, s2, s4
	v_lshrrev_b32_e32 v1, 10, v1
	s_addc_u32 s7, s3, s5
	s_lshl_b64 s[4:5], s[10:11], 3
	v_add_u32_e32 v10, 1, v1
	s_add_u32 s6, s6, s4
	s_addc_u32 s7, s7, s5
	v_and_b32_e32 v11, 0x7ffffe, v10
	v_or_b32_e32 v1, 0x400, v0
	v_lshl_add_u32 v6, v0, 3, 0
	v_mov_b32_e32 v3, v2
	v_mov_b32_e32 v5, v4
	v_add_u32_e32 v12, 0x80, v6
	s_mov_b64 s[4:5], 0
	v_mov_b32_e32 v13, s7
	v_mov_b32_e32 v14, v11
	v_pk_mov_b32 v[8:9], v[0:1], v[0:1] op_sel:[0,1]
.LBB133_15:                             ; =>This Inner Loop Header: Depth=1
	v_mov_b32_e32 v6, v8
	v_lshlrev_b64 v[16:17], 3, v[6:7]
	v_mov_b32_e32 v6, v9
	v_add_co_u32_e32 v20, vcc, s6, v16
	v_addc_co_u32_e32 v21, vcc, v13, v17, vcc
	v_lshlrev_b64 v[16:17], 3, v[6:7]
	v_add_co_u32_e32 v22, vcc, s6, v16
	v_addc_co_u32_e32 v23, vcc, v13, v17, vcc
	global_load_dwordx2 v[24:25], v[20:21], off
	global_load_dwordx2 v[26:27], v[22:23], off
	ds_read2st64_b64 v[16:19], v12 offset1:16
	v_add_u32_e32 v14, -2, v14
	v_cmp_eq_u32_e32 vcc, 0, v14
	v_add_u32_e32 v8, 0x800, v8
	v_add_u32_e32 v12, 0x4000, v12
	s_waitcnt lgkmcnt(0)
	v_mov_b32_e32 v29, v18
	v_mov_b32_e32 v18, v17
	;; [unrolled: 1-line block ×3, first 2 shown]
	v_pk_mul_f32 v[16:17], v[4:5], v[18:19]
	v_pk_mul_f32 v[18:19], v[2:3], v[18:19]
	v_pk_fma_f32 v[16:17], v[2:3], v[28:29], v[16:17] neg_lo:[0,0,1] neg_hi:[0,0,1]
	v_pk_fma_f32 v[18:19], v[4:5], v[28:29], v[18:19]
	v_add_u32_e32 v9, 0x800, v9
	s_or_b64 s[4:5], vcc, s[4:5]
	s_waitcnt vmcnt(1)
	v_mov_b32_e32 v28, v24
	s_waitcnt vmcnt(0)
	v_mov_b32_e32 v29, v26
	v_mov_b32_e32 v26, v25
	v_pk_add_f32 v[16:17], v[28:29], v[16:17]
	v_pk_add_f32 v[18:19], v[26:27], v[18:19]
	v_mov_b32_e32 v24, v16
	v_mov_b32_e32 v25, v18
	;; [unrolled: 1-line block ×3, first 2 shown]
	global_store_dwordx2 v[20:21], v[24:25], off
	global_store_dwordx2 v[22:23], v[18:19], off
	s_andn2_b64 exec, exec, s[4:5]
	s_cbranch_execnz .LBB133_15
; %bb.16:
	s_or_b64 exec, exec, s[4:5]
	v_cmp_ne_u32_e32 vcc, v10, v11
	v_lshl_or_b32 v0, v11, 10, v0
	s_and_b64 s[4:5], vcc, exec
	s_andn2_saveexec_b64 s[0:1], s[0:1]
	s_cbranch_execz .LBB133_13
.LBB133_17:
	s_or_b64 s[4:5], s[4:5], exec
	s_or_b64 exec, exec, s[0:1]
	s_and_b64 exec, exec, s[4:5]
	s_cbranch_execz .LBB133_20
.LBB133_18:
	s_lshl_b64 s[0:1], s[10:11], 3
	s_lshl_b64 s[4:5], s[18:19], 3
	s_add_u32 s0, s0, s4
	v_lshl_add_u32 v1, v0, 3, 0
	s_addc_u32 s1, s1, s5
	v_add_u32_e32 v8, 0x80, v1
	v_mov_b32_e32 v1, 0
	s_add_u32 s0, s2, s0
	v_lshlrev_b64 v[6:7], 3, v[0:1]
	s_addc_u32 s1, s3, s1
	v_mov_b32_e32 v1, s1
	v_add_co_u32_e32 v6, vcc, s0, v6
	v_mov_b32_e32 v5, v4
	v_mov_b32_e32 v3, v2
	v_addc_co_u32_e32 v7, vcc, v1, v7, vcc
	s_mov_b64 s[0:1], 0
.LBB133_19:                             ; =>This Inner Loop Header: Depth=1
	global_load_dwordx2 v[10:11], v[6:7], off
	ds_read_b64 v[12:13], v8
	v_add_u32_e32 v0, 0x400, v0
	v_cmp_le_i32_e32 vcc, s22, v0
	s_or_b64 s[0:1], vcc, s[0:1]
	v_add_u32_e32 v8, 0x2000, v8
	s_waitcnt lgkmcnt(0)
	v_pk_mul_f32 v[14:15], v[4:5], v[12:13]
	v_pk_fma_f32 v[16:17], v[2:3], v[12:13], v[14:15] op_sel:[0,0,1] op_sel_hi:[1,1,0] neg_lo:[0,0,1] neg_hi:[0,0,1]
	v_pk_fma_f32 v[12:13], v[2:3], v[12:13], v[14:15] op_sel:[0,0,1] op_sel_hi:[1,1,0]
	v_mov_b32_e32 v17, v13
	s_waitcnt vmcnt(0)
	v_pk_add_f32 v[10:11], v[10:11], v[16:17]
	global_store_dwordx2 v[6:7], v[10:11], off
	v_add_co_u32_e32 v6, vcc, 0x2000, v6
	v_addc_co_u32_e32 v7, vcc, 0, v7, vcc
	s_andn2_b64 exec, exec, s[0:1]
	s_cbranch_execnz .LBB133_19
.LBB133_20:
	s_endpgm
	.section	.rodata,"a",@progbits
	.p2align	6, 0x0
	.amdhsa_kernel _ZN9rocsolver6v33100L16larf_left_kernelILi1024E19rocblas_complex_numIfEiPKPS3_EEvT1_S7_T2_lS7_lPKT0_lS8_lS7_l
		.amdhsa_group_segment_fixed_size 0
		.amdhsa_private_segment_fixed_size 0
		.amdhsa_kernarg_size 88
		.amdhsa_user_sgpr_count 6
		.amdhsa_user_sgpr_private_segment_buffer 1
		.amdhsa_user_sgpr_dispatch_ptr 0
		.amdhsa_user_sgpr_queue_ptr 0
		.amdhsa_user_sgpr_kernarg_segment_ptr 1
		.amdhsa_user_sgpr_dispatch_id 0
		.amdhsa_user_sgpr_flat_scratch_init 0
		.amdhsa_user_sgpr_kernarg_preload_length 0
		.amdhsa_user_sgpr_kernarg_preload_offset 0
		.amdhsa_user_sgpr_private_segment_size 0
		.amdhsa_uses_dynamic_stack 0
		.amdhsa_system_sgpr_private_segment_wavefront_offset 0
		.amdhsa_system_sgpr_workgroup_id_x 1
		.amdhsa_system_sgpr_workgroup_id_y 1
		.amdhsa_system_sgpr_workgroup_id_z 1
		.amdhsa_system_sgpr_workgroup_info 0
		.amdhsa_system_vgpr_workitem_id 0
		.amdhsa_next_free_vgpr 30
		.amdhsa_next_free_sgpr 28
		.amdhsa_accum_offset 32
		.amdhsa_reserve_vcc 1
		.amdhsa_reserve_flat_scratch 0
		.amdhsa_float_round_mode_32 0
		.amdhsa_float_round_mode_16_64 0
		.amdhsa_float_denorm_mode_32 3
		.amdhsa_float_denorm_mode_16_64 3
		.amdhsa_dx10_clamp 1
		.amdhsa_ieee_mode 1
		.amdhsa_fp16_overflow 0
		.amdhsa_tg_split 0
		.amdhsa_exception_fp_ieee_invalid_op 0
		.amdhsa_exception_fp_denorm_src 0
		.amdhsa_exception_fp_ieee_div_zero 0
		.amdhsa_exception_fp_ieee_overflow 0
		.amdhsa_exception_fp_ieee_underflow 0
		.amdhsa_exception_fp_ieee_inexact 0
		.amdhsa_exception_int_div_zero 0
	.end_amdhsa_kernel
	.section	.text._ZN9rocsolver6v33100L16larf_left_kernelILi1024E19rocblas_complex_numIfEiPKPS3_EEvT1_S7_T2_lS7_lPKT0_lS8_lS7_l,"axG",@progbits,_ZN9rocsolver6v33100L16larf_left_kernelILi1024E19rocblas_complex_numIfEiPKPS3_EEvT1_S7_T2_lS7_lPKT0_lS8_lS7_l,comdat
.Lfunc_end133:
	.size	_ZN9rocsolver6v33100L16larf_left_kernelILi1024E19rocblas_complex_numIfEiPKPS3_EEvT1_S7_T2_lS7_lPKT0_lS8_lS7_l, .Lfunc_end133-_ZN9rocsolver6v33100L16larf_left_kernelILi1024E19rocblas_complex_numIfEiPKPS3_EEvT1_S7_T2_lS7_lPKT0_lS8_lS7_l
                                        ; -- End function
	.section	.AMDGPU.csdata,"",@progbits
; Kernel info:
; codeLenInByte = 1812
; NumSgprs: 32
; NumVgprs: 30
; NumAgprs: 0
; TotalNumVgprs: 30
; ScratchSize: 0
; MemoryBound: 0
; FloatMode: 240
; IeeeMode: 1
; LDSByteSize: 0 bytes/workgroup (compile time only)
; SGPRBlocks: 3
; VGPRBlocks: 3
; NumSGPRsForWavesPerEU: 32
; NumVGPRsForWavesPerEU: 30
; AccumOffset: 32
; Occupancy: 8
; WaveLimiterHint : 1
; COMPUTE_PGM_RSRC2:SCRATCH_EN: 0
; COMPUTE_PGM_RSRC2:USER_SGPR: 6
; COMPUTE_PGM_RSRC2:TRAP_HANDLER: 0
; COMPUTE_PGM_RSRC2:TGID_X_EN: 1
; COMPUTE_PGM_RSRC2:TGID_Y_EN: 1
; COMPUTE_PGM_RSRC2:TGID_Z_EN: 1
; COMPUTE_PGM_RSRC2:TIDIG_COMP_CNT: 0
; COMPUTE_PGM_RSRC3_GFX90A:ACCUM_OFFSET: 7
; COMPUTE_PGM_RSRC3_GFX90A:TG_SPLIT: 0
	.section	.text._ZN9rocsolver6v33100L17larf_right_kernelILi1024E19rocblas_complex_numIfEiPKPS3_EEvT1_S7_T2_lS7_lPKT0_lS8_lS7_l,"axG",@progbits,_ZN9rocsolver6v33100L17larf_right_kernelILi1024E19rocblas_complex_numIfEiPKPS3_EEvT1_S7_T2_lS7_lPKT0_lS8_lS7_l,comdat
	.globl	_ZN9rocsolver6v33100L17larf_right_kernelILi1024E19rocblas_complex_numIfEiPKPS3_EEvT1_S7_T2_lS7_lPKT0_lS8_lS7_l ; -- Begin function _ZN9rocsolver6v33100L17larf_right_kernelILi1024E19rocblas_complex_numIfEiPKPS3_EEvT1_S7_T2_lS7_lPKT0_lS8_lS7_l
	.p2align	8
	.type	_ZN9rocsolver6v33100L17larf_right_kernelILi1024E19rocblas_complex_numIfEiPKPS3_EEvT1_S7_T2_lS7_lPKT0_lS8_lS7_l,@function
_ZN9rocsolver6v33100L17larf_right_kernelILi1024E19rocblas_complex_numIfEiPKPS3_EEvT1_S7_T2_lS7_lPKT0_lS8_lS7_l: ; @_ZN9rocsolver6v33100L17larf_right_kernelILi1024E19rocblas_complex_numIfEiPKPS3_EEvT1_S7_T2_lS7_lPKT0_lS8_lS7_l
; %bb.0:
	s_load_dwordx8 s[12:19], s[4:5], 0x28
	s_load_dword s22, s[4:5], 0x4
	s_load_dword s2, s[4:5], 0x48
	s_ashr_i32 s9, s8, 31
	s_lshl_b64 s[0:1], s[8:9], 3
	s_waitcnt lgkmcnt(0)
	s_add_u32 s10, s16, s0
	s_addc_u32 s11, s17, s1
	s_load_dwordx2 s[10:11], s[10:11], 0x0
	v_mov_b32_e32 v3, 0
	s_mov_b32 s6, s7
	s_ashr_i32 s7, s7, 31
	v_cmp_gt_i32_e32 vcc, s22, v0
	v_lshl_add_u32 v1, v0, 3, 0
	v_mov_b32_e32 v2, v3
	s_and_saveexec_b64 s[16:17], vcc
	s_cbranch_execz .LBB134_6
; %bb.1:
	s_load_dword s20, s[4:5], 0x18
	s_load_dwordx4 s[24:27], s[4:5], 0x8
	s_sub_i32 s3, 1, s22
	v_add_u32_e32 v6, 0x80, v1
	v_mov_b32_e32 v5, v6
	s_waitcnt lgkmcnt(0)
	s_ashr_i32 s21, s20, 31
	v_cmp_lt_i64_e64 s[4:5], s[20:21], 1
	s_mul_i32 s3, s3, s20
	s_and_b64 s[4:5], s[4:5], exec
	s_cselect_b32 s4, s3, 0
	s_ashr_i32 s5, s4, 31
	s_add_u32 s0, s24, s0
	s_addc_u32 s1, s25, s1
	s_load_dwordx2 s[0:1], s[0:1], 0x0
	v_mad_i64_i32 v[2:3], s[24:25], s20, v0, 0
	s_lshl_b64 s[24:25], s[26:27], 3
	s_lshl_b64 s[4:5], s[4:5], 3
	s_waitcnt lgkmcnt(0)
	s_add_u32 s0, s0, s4
	s_addc_u32 s1, s1, s5
	s_add_u32 s0, s0, s24
	v_lshlrev_b64 v[2:3], 3, v[2:3]
	s_addc_u32 s1, s1, s25
	v_mov_b32_e32 v4, s1
	v_add_co_u32_e64 v2, s[0:1], s0, v2
	s_lshl_b64 s[20:21], s[20:21], 13
	v_addc_co_u32_e64 v3, s[0:1], v4, v3, s[0:1]
	s_mov_b64 s[4:5], 0
	v_mov_b32_e32 v4, s21
	v_mov_b32_e32 v7, v0
.LBB134_2:                              ; =>This Inner Loop Header: Depth=1
	global_load_dwordx2 v[8:9], v[2:3], off
	v_add_co_u32_e64 v2, s[0:1], s20, v2
	v_add_u32_e32 v7, 0x400, v7
	v_addc_co_u32_e64 v3, s[0:1], v3, v4, s[0:1]
	v_cmp_le_i32_e64 s[0:1], s22, v7
	s_or_b64 s[4:5], s[0:1], s[4:5]
	s_waitcnt vmcnt(0)
	ds_write_b64 v5, v[8:9]
	v_add_u32_e32 v5, 0x2000, v5
	s_andn2_b64 exec, exec, s[4:5]
	s_cbranch_execnz .LBB134_2
; %bb.3:
	s_or_b64 exec, exec, s[4:5]
	v_mad_i64_i32 v[2:3], s[0:1], s2, v0, 0
	s_ashr_i32 s3, s2, 31
	s_lshl_b64 s[0:1], s[18:19], 3
	s_lshl_b64 s[4:5], s[6:7], 3
	s_add_u32 s4, s10, s4
	s_addc_u32 s5, s11, s5
	s_add_u32 s0, s4, s0
	v_lshlrev_b64 v[2:3], 3, v[2:3]
	s_addc_u32 s1, s5, s1
	v_mov_b32_e32 v5, s1
	v_add_co_u32_e64 v4, s[0:1], s0, v2
	v_addc_co_u32_e64 v5, s[0:1], v5, v3, s[0:1]
	s_lshl_b64 s[20:21], s[2:3], 13
	v_mov_b32_e32 v3, 0
	s_mov_b64 s[4:5], 0
	v_mov_b32_e32 v7, s21
	v_mov_b32_e32 v8, v0
	;; [unrolled: 1-line block ×3, first 2 shown]
.LBB134_4:                              ; =>This Inner Loop Header: Depth=1
	global_load_dwordx2 v[10:11], v[4:5], off
	ds_read_b64 v[12:13], v6
	v_add_co_u32_e64 v4, s[0:1], s20, v4
	v_add_u32_e32 v8, 0x400, v8
	v_addc_co_u32_e64 v5, s[0:1], v5, v7, s[0:1]
	v_cmp_le_i32_e64 s[0:1], s22, v8
	v_add_u32_e32 v6, 0x2000, v6
	s_or_b64 s[4:5], s[0:1], s[4:5]
	s_waitcnt vmcnt(0) lgkmcnt(0)
	v_mul_f32_e32 v9, v13, v11
	v_mul_f32_e32 v11, v12, v11
	v_fma_f32 v9, v12, v10, -v9
	v_fmac_f32_e32 v11, v13, v10
	v_add_f32_e32 v2, v2, v9
	v_add_f32_e32 v3, v3, v11
	s_andn2_b64 exec, exec, s[4:5]
	s_cbranch_execnz .LBB134_4
; %bb.5:
	s_or_b64 exec, exec, s[4:5]
.LBB134_6:
	s_or_b64 exec, exec, s[16:17]
	v_mbcnt_lo_u32_b32 v4, -1, 0
	v_mbcnt_hi_u32_b32 v6, -1, v4
	v_and_b32_e32 v7, 63, v6
	v_cmp_ne_u32_e64 s[0:1], 63, v7
	v_addc_co_u32_e64 v4, s[0:1], 0, v6, s[0:1]
	v_lshlrev_b32_e32 v5, 2, v4
	ds_bpermute_b32 v4, v5, v2
	ds_bpermute_b32 v5, v5, v3
	v_cmp_gt_u32_e64 s[0:1], 62, v7
	v_cndmask_b32_e64 v8, 0, 1, s[0:1]
	v_lshlrev_b32_e32 v8, 1, v8
	v_add_lshl_u32 v8, v8, v6, 2
	s_waitcnt lgkmcnt(0)
	v_pk_add_f32 v[2:3], v[2:3], v[4:5]
	ds_bpermute_b32 v4, v8, v2
	ds_bpermute_b32 v5, v8, v3
	v_cmp_gt_u32_e64 s[0:1], 60, v7
	v_cndmask_b32_e64 v8, 0, 1, s[0:1]
	v_lshlrev_b32_e32 v8, 2, v8
	v_add_lshl_u32 v8, v8, v6, 2
	s_waitcnt lgkmcnt(0)
	v_pk_add_f32 v[2:3], v[2:3], v[4:5]
	;; [unrolled: 8-line block ×5, first 2 shown]
	ds_bpermute_b32 v4, v6, v2
	ds_bpermute_b32 v5, v6, v3
	s_waitcnt lgkmcnt(0)
	v_pk_add_f32 v[2:3], v[2:3], v[4:5]
	v_and_b32_e32 v4, 63, v0
	v_cmp_eq_u32_e64 s[0:1], 0, v4
	s_and_saveexec_b64 s[4:5], s[0:1]
	s_cbranch_execz .LBB134_8
; %bb.7:
	v_lshrrev_b32_e32 v4, 3, v0
	v_add_u32_e32 v4, 0, v4
	ds_write2_b32 v4, v2, v3 offset1:1
.LBB134_8:
	s_or_b64 exec, exec, s[4:5]
	v_cmp_eq_u32_e64 s[0:1], 0, v0
	s_waitcnt lgkmcnt(0)
	s_barrier
	s_and_saveexec_b64 s[4:5], s[0:1]
	s_cbranch_execz .LBB134_10
; %bb.9:
	v_mov_b32_e32 v20, 0
	ds_read2_b64 v[4:7], v20 offset0:1 offset1:2
	ds_read2_b64 v[8:11], v20 offset0:3 offset1:4
	;; [unrolled: 1-line block ×4, first 2 shown]
	s_waitcnt lgkmcnt(3)
	v_pk_add_f32 v[2:3], v[2:3], v[4:5]
	v_pk_add_f32 v[2:3], v[2:3], v[6:7]
	s_waitcnt lgkmcnt(2)
	v_pk_add_f32 v[2:3], v[2:3], v[8:9]
	v_pk_add_f32 v[2:3], v[2:3], v[10:11]
	s_waitcnt lgkmcnt(1)
	v_pk_add_f32 v[6:7], v[2:3], v[12:13]
	ds_read2_b64 v[2:5], v20 offset0:9 offset1:10
	v_pk_add_f32 v[6:7], v[6:7], v[14:15]
	s_waitcnt lgkmcnt(1)
	v_pk_add_f32 v[6:7], v[6:7], v[16:17]
	v_pk_add_f32 v[10:11], v[6:7], v[18:19]
	ds_read2_b64 v[6:9], v20 offset0:11 offset1:12
	s_waitcnt lgkmcnt(1)
	v_pk_add_f32 v[2:3], v[10:11], v[2:3]
	ds_read2_b64 v[10:13], v20 offset0:13 offset1:14
	v_pk_add_f32 v[2:3], v[2:3], v[4:5]
	ds_read_b64 v[4:5], v20 offset:120
	s_waitcnt lgkmcnt(2)
	v_pk_add_f32 v[2:3], v[2:3], v[6:7]
	v_pk_add_f32 v[2:3], v[2:3], v[8:9]
	s_waitcnt lgkmcnt(1)
	v_pk_add_f32 v[2:3], v[2:3], v[10:11]
	v_pk_add_f32 v[2:3], v[2:3], v[12:13]
	s_waitcnt lgkmcnt(0)
	v_pk_add_f32 v[2:3], v[2:3], v[4:5]
	ds_write_b64 v20, v[2:3]
.LBB134_10:
	s_or_b64 exec, exec, s[4:5]
	s_waitcnt lgkmcnt(0)
	s_barrier
	s_and_saveexec_b64 s[0:1], vcc
	s_cbranch_execz .LBB134_13
; %bb.11:
	s_mul_i32 s0, s8, s15
	s_mul_hi_u32 s1, s8, s14
	s_add_i32 s0, s1, s0
	s_mul_i32 s1, s9, s14
	s_add_i32 s1, s0, s1
	s_mul_i32 s0, s8, s14
	s_lshl_b64 s[0:1], s[0:1], 3
	s_add_u32 s0, s12, s0
	s_addc_u32 s1, s13, s1
	v_mov_b32_e32 v2, 0
	ds_read_b64 v[4:5], v2
	s_load_dwordx2 s[0:1], s[0:1], 0x0
	s_ashr_i32 s3, s2, 31
	s_lshl_b64 s[4:5], s[6:7], 3
	v_add_u32_e32 v1, 0x80, v1
	s_waitcnt lgkmcnt(0)
	v_mul_f32_e32 v2, s0, v5
	v_mul_f32_e32 v3, s0, v4
	v_fma_f32 v2, v4, -s1, -v2
	v_fma_f32 v4, s1, v5, -v3
	v_mad_i64_i32 v[6:7], s[0:1], s2, v0, 0
	s_lshl_b64 s[0:1], s[18:19], 3
	s_add_u32 s4, s10, s4
	s_addc_u32 s5, s11, s5
	s_add_u32 s0, s4, s0
	v_lshlrev_b64 v[6:7], 3, v[6:7]
	s_addc_u32 s1, s5, s1
	v_mov_b32_e32 v8, s1
	v_add_co_u32_e32 v6, vcc, s0, v6
	s_lshl_b64 s[0:1], s[2:3], 13
	v_mov_b32_e32 v3, v2
	v_mov_b32_e32 v5, v4
	v_addc_co_u32_e32 v7, vcc, v8, v7, vcc
	s_mov_b64 s[2:3], 0
	v_mov_b32_e32 v8, s1
.LBB134_12:                             ; =>This Inner Loop Header: Depth=1
	global_load_dwordx2 v[10:11], v[6:7], off
	ds_read_b64 v[12:13], v1
	v_add_u32_e32 v0, 0x400, v0
	v_cmp_le_i32_e32 vcc, s22, v0
	s_or_b64 s[2:3], vcc, s[2:3]
	v_add_u32_e32 v1, 0x2000, v1
	s_waitcnt lgkmcnt(0)
	v_pk_mul_f32 v[14:15], v[2:3], v[12:13]
	v_pk_fma_f32 v[16:17], v[4:5], v[12:13], v[14:15] op_sel:[0,0,1] op_sel_hi:[1,1,0]
	v_pk_fma_f32 v[12:13], v[4:5], v[12:13], v[14:15] op_sel:[0,0,1] op_sel_hi:[1,1,0] neg_lo:[1,0,0] neg_hi:[1,0,0]
	v_mov_b32_e32 v17, v13
	s_waitcnt vmcnt(0)
	v_pk_add_f32 v[10:11], v[10:11], v[16:17]
	global_store_dwordx2 v[6:7], v[10:11], off
	v_add_co_u32_e32 v6, vcc, s0, v6
	v_addc_co_u32_e32 v7, vcc, v7, v8, vcc
	s_andn2_b64 exec, exec, s[2:3]
	s_cbranch_execnz .LBB134_12
.LBB134_13:
	s_endpgm
	.section	.rodata,"a",@progbits
	.p2align	6, 0x0
	.amdhsa_kernel _ZN9rocsolver6v33100L17larf_right_kernelILi1024E19rocblas_complex_numIfEiPKPS3_EEvT1_S7_T2_lS7_lPKT0_lS8_lS7_l
		.amdhsa_group_segment_fixed_size 0
		.amdhsa_private_segment_fixed_size 0
		.amdhsa_kernarg_size 88
		.amdhsa_user_sgpr_count 6
		.amdhsa_user_sgpr_private_segment_buffer 1
		.amdhsa_user_sgpr_dispatch_ptr 0
		.amdhsa_user_sgpr_queue_ptr 0
		.amdhsa_user_sgpr_kernarg_segment_ptr 1
		.amdhsa_user_sgpr_dispatch_id 0
		.amdhsa_user_sgpr_flat_scratch_init 0
		.amdhsa_user_sgpr_kernarg_preload_length 0
		.amdhsa_user_sgpr_kernarg_preload_offset 0
		.amdhsa_user_sgpr_private_segment_size 0
		.amdhsa_uses_dynamic_stack 0
		.amdhsa_system_sgpr_private_segment_wavefront_offset 0
		.amdhsa_system_sgpr_workgroup_id_x 1
		.amdhsa_system_sgpr_workgroup_id_y 1
		.amdhsa_system_sgpr_workgroup_id_z 1
		.amdhsa_system_sgpr_workgroup_info 0
		.amdhsa_system_vgpr_workitem_id 0
		.amdhsa_next_free_vgpr 21
		.amdhsa_next_free_sgpr 28
		.amdhsa_accum_offset 24
		.amdhsa_reserve_vcc 1
		.amdhsa_reserve_flat_scratch 0
		.amdhsa_float_round_mode_32 0
		.amdhsa_float_round_mode_16_64 0
		.amdhsa_float_denorm_mode_32 3
		.amdhsa_float_denorm_mode_16_64 3
		.amdhsa_dx10_clamp 1
		.amdhsa_ieee_mode 1
		.amdhsa_fp16_overflow 0
		.amdhsa_tg_split 0
		.amdhsa_exception_fp_ieee_invalid_op 0
		.amdhsa_exception_fp_denorm_src 0
		.amdhsa_exception_fp_ieee_div_zero 0
		.amdhsa_exception_fp_ieee_overflow 0
		.amdhsa_exception_fp_ieee_underflow 0
		.amdhsa_exception_fp_ieee_inexact 0
		.amdhsa_exception_int_div_zero 0
	.end_amdhsa_kernel
	.section	.text._ZN9rocsolver6v33100L17larf_right_kernelILi1024E19rocblas_complex_numIfEiPKPS3_EEvT1_S7_T2_lS7_lPKT0_lS8_lS7_l,"axG",@progbits,_ZN9rocsolver6v33100L17larf_right_kernelILi1024E19rocblas_complex_numIfEiPKPS3_EEvT1_S7_T2_lS7_lPKT0_lS8_lS7_l,comdat
.Lfunc_end134:
	.size	_ZN9rocsolver6v33100L17larf_right_kernelILi1024E19rocblas_complex_numIfEiPKPS3_EEvT1_S7_T2_lS7_lPKT0_lS8_lS7_l, .Lfunc_end134-_ZN9rocsolver6v33100L17larf_right_kernelILi1024E19rocblas_complex_numIfEiPKPS3_EEvT1_S7_T2_lS7_lPKT0_lS8_lS7_l
                                        ; -- End function
	.section	.AMDGPU.csdata,"",@progbits
; Kernel info:
; codeLenInByte = 1460
; NumSgprs: 32
; NumVgprs: 21
; NumAgprs: 0
; TotalNumVgprs: 21
; ScratchSize: 0
; MemoryBound: 0
; FloatMode: 240
; IeeeMode: 1
; LDSByteSize: 0 bytes/workgroup (compile time only)
; SGPRBlocks: 3
; VGPRBlocks: 2
; NumSGPRsForWavesPerEU: 32
; NumVGPRsForWavesPerEU: 21
; AccumOffset: 24
; Occupancy: 8
; WaveLimiterHint : 0
; COMPUTE_PGM_RSRC2:SCRATCH_EN: 0
; COMPUTE_PGM_RSRC2:USER_SGPR: 6
; COMPUTE_PGM_RSRC2:TRAP_HANDLER: 0
; COMPUTE_PGM_RSRC2:TGID_X_EN: 1
; COMPUTE_PGM_RSRC2:TGID_Y_EN: 1
; COMPUTE_PGM_RSRC2:TGID_Z_EN: 1
; COMPUTE_PGM_RSRC2:TIDIG_COMP_CNT: 0
; COMPUTE_PGM_RSRC3_GFX90A:ACCUM_OFFSET: 5
; COMPUTE_PGM_RSRC3_GFX90A:TG_SPLIT: 0
	.section	.text._ZN9rocsolver6v33100L9get_arrayI19rocblas_complex_numIfEiEEvPPT_S5_lT0_,"axG",@progbits,_ZN9rocsolver6v33100L9get_arrayI19rocblas_complex_numIfEiEEvPPT_S5_lT0_,comdat
	.globl	_ZN9rocsolver6v33100L9get_arrayI19rocblas_complex_numIfEiEEvPPT_S5_lT0_ ; -- Begin function _ZN9rocsolver6v33100L9get_arrayI19rocblas_complex_numIfEiEEvPPT_S5_lT0_
	.p2align	8
	.type	_ZN9rocsolver6v33100L9get_arrayI19rocblas_complex_numIfEiEEvPPT_S5_lT0_,@function
_ZN9rocsolver6v33100L9get_arrayI19rocblas_complex_numIfEiEEvPPT_S5_lT0_: ; @_ZN9rocsolver6v33100L9get_arrayI19rocblas_complex_numIfEiEEvPPT_S5_lT0_
; %bb.0:
	s_load_dword s0, s[4:5], 0x2c
	s_load_dword s1, s[4:5], 0x18
	s_waitcnt lgkmcnt(0)
	s_and_b32 s0, s0, 0xffff
	s_mul_i32 s6, s6, s0
	v_add_u32_e32 v0, s6, v0
	v_cmp_gt_i32_e32 vcc, s1, v0
	s_and_saveexec_b64 s[0:1], vcc
	s_cbranch_execz .LBB135_2
; %bb.1:
	s_load_dwordx2 s[6:7], s[4:5], 0x10
	s_load_dwordx4 s[0:3], s[4:5], 0x0
	v_ashrrev_i32_e32 v1, 31, v0
	s_waitcnt lgkmcnt(0)
	v_mul_lo_u32 v4, v0, s7
	v_mul_lo_u32 v5, v1, s6
	v_mad_u64_u32 v[2:3], s[4:5], v0, s6, 0
	v_add3_u32 v3, v3, v4, v5
	v_lshlrev_b64 v[2:3], 3, v[2:3]
	v_mov_b32_e32 v4, s3
	v_add_co_u32_e32 v2, vcc, s2, v2
	v_addc_co_u32_e32 v3, vcc, v4, v3, vcc
	v_lshlrev_b64 v[0:1], 3, v[0:1]
	v_mov_b32_e32 v4, s1
	v_add_co_u32_e32 v0, vcc, s0, v0
	v_addc_co_u32_e32 v1, vcc, v4, v1, vcc
	global_store_dwordx2 v[0:1], v[2:3], off
.LBB135_2:
	s_endpgm
	.section	.rodata,"a",@progbits
	.p2align	6, 0x0
	.amdhsa_kernel _ZN9rocsolver6v33100L9get_arrayI19rocblas_complex_numIfEiEEvPPT_S5_lT0_
		.amdhsa_group_segment_fixed_size 0
		.amdhsa_private_segment_fixed_size 0
		.amdhsa_kernarg_size 288
		.amdhsa_user_sgpr_count 6
		.amdhsa_user_sgpr_private_segment_buffer 1
		.amdhsa_user_sgpr_dispatch_ptr 0
		.amdhsa_user_sgpr_queue_ptr 0
		.amdhsa_user_sgpr_kernarg_segment_ptr 1
		.amdhsa_user_sgpr_dispatch_id 0
		.amdhsa_user_sgpr_flat_scratch_init 0
		.amdhsa_user_sgpr_kernarg_preload_length 0
		.amdhsa_user_sgpr_kernarg_preload_offset 0
		.amdhsa_user_sgpr_private_segment_size 0
		.amdhsa_uses_dynamic_stack 0
		.amdhsa_system_sgpr_private_segment_wavefront_offset 0
		.amdhsa_system_sgpr_workgroup_id_x 1
		.amdhsa_system_sgpr_workgroup_id_y 0
		.amdhsa_system_sgpr_workgroup_id_z 0
		.amdhsa_system_sgpr_workgroup_info 0
		.amdhsa_system_vgpr_workitem_id 0
		.amdhsa_next_free_vgpr 6
		.amdhsa_next_free_sgpr 8
		.amdhsa_accum_offset 8
		.amdhsa_reserve_vcc 1
		.amdhsa_reserve_flat_scratch 0
		.amdhsa_float_round_mode_32 0
		.amdhsa_float_round_mode_16_64 0
		.amdhsa_float_denorm_mode_32 3
		.amdhsa_float_denorm_mode_16_64 3
		.amdhsa_dx10_clamp 1
		.amdhsa_ieee_mode 1
		.amdhsa_fp16_overflow 0
		.amdhsa_tg_split 0
		.amdhsa_exception_fp_ieee_invalid_op 0
		.amdhsa_exception_fp_denorm_src 0
		.amdhsa_exception_fp_ieee_div_zero 0
		.amdhsa_exception_fp_ieee_overflow 0
		.amdhsa_exception_fp_ieee_underflow 0
		.amdhsa_exception_fp_ieee_inexact 0
		.amdhsa_exception_int_div_zero 0
	.end_amdhsa_kernel
	.section	.text._ZN9rocsolver6v33100L9get_arrayI19rocblas_complex_numIfEiEEvPPT_S5_lT0_,"axG",@progbits,_ZN9rocsolver6v33100L9get_arrayI19rocblas_complex_numIfEiEEvPPT_S5_lT0_,comdat
.Lfunc_end135:
	.size	_ZN9rocsolver6v33100L9get_arrayI19rocblas_complex_numIfEiEEvPPT_S5_lT0_, .Lfunc_end135-_ZN9rocsolver6v33100L9get_arrayI19rocblas_complex_numIfEiEEvPPT_S5_lT0_
                                        ; -- End function
	.section	.AMDGPU.csdata,"",@progbits
; Kernel info:
; codeLenInByte = 156
; NumSgprs: 12
; NumVgprs: 6
; NumAgprs: 0
; TotalNumVgprs: 6
; ScratchSize: 0
; MemoryBound: 0
; FloatMode: 240
; IeeeMode: 1
; LDSByteSize: 0 bytes/workgroup (compile time only)
; SGPRBlocks: 1
; VGPRBlocks: 0
; NumSGPRsForWavesPerEU: 12
; NumVGPRsForWavesPerEU: 6
; AccumOffset: 8
; Occupancy: 8
; WaveLimiterHint : 0
; COMPUTE_PGM_RSRC2:SCRATCH_EN: 0
; COMPUTE_PGM_RSRC2:USER_SGPR: 6
; COMPUTE_PGM_RSRC2:TRAP_HANDLER: 0
; COMPUTE_PGM_RSRC2:TGID_X_EN: 1
; COMPUTE_PGM_RSRC2:TGID_Y_EN: 0
; COMPUTE_PGM_RSRC2:TGID_Z_EN: 0
; COMPUTE_PGM_RSRC2:TIDIG_COMP_CNT: 0
; COMPUTE_PGM_RSRC3_GFX90A:ACCUM_OFFSET: 1
; COMPUTE_PGM_RSRC3_GFX90A:TG_SPLIT: 0
	.section	.text._ZN9rocsolver6v33100L12restore_diagI19rocblas_complex_numIfEifPKPS3_EEvPT1_llT2_lT0_lSA_,"axG",@progbits,_ZN9rocsolver6v33100L12restore_diagI19rocblas_complex_numIfEifPKPS3_EEvPT1_llT2_lT0_lSA_,comdat
	.globl	_ZN9rocsolver6v33100L12restore_diagI19rocblas_complex_numIfEifPKPS3_EEvPT1_llT2_lT0_lSA_ ; -- Begin function _ZN9rocsolver6v33100L12restore_diagI19rocblas_complex_numIfEifPKPS3_EEvPT1_llT2_lT0_lSA_
	.p2align	8
	.type	_ZN9rocsolver6v33100L12restore_diagI19rocblas_complex_numIfEifPKPS3_EEvPT1_llT2_lT0_lSA_,@function
_ZN9rocsolver6v33100L12restore_diagI19rocblas_complex_numIfEifPKPS3_EEvPT1_llT2_lT0_lSA_: ; @_ZN9rocsolver6v33100L12restore_diagI19rocblas_complex_numIfEifPKPS3_EEvPT1_llT2_lT0_lSA_
; %bb.0:
	s_load_dword s0, s[4:5], 0x4c
	s_load_dword s1, s[4:5], 0x38
	v_bfe_u32 v0, v0, 10, 10
	s_waitcnt lgkmcnt(0)
	s_lshr_b32 s0, s0, 16
	s_mul_i32 s7, s7, s0
	v_add_u32_e32 v0, s7, v0
	v_cmp_gt_i32_e32 vcc, s1, v0
	s_and_saveexec_b64 s[0:1], vcc
	s_cbranch_execz .LBB136_2
; %bb.1:
	s_load_dwordx8 s[8:15], s[4:5], 0x0
	s_ashr_i32 s7, s6, 31
	s_lshl_b64 s[0:1], s[6:7], 3
	s_waitcnt lgkmcnt(0)
	s_add_u32 s0, s14, s0
	s_addc_u32 s1, s15, s1
	s_load_dwordx2 s[2:3], s[4:5], 0x20
	s_load_dwordx2 s[14:15], s[0:1], 0x0
	s_load_dword s16, s[4:5], 0x28
	s_mul_i32 s4, s6, s13
	s_mul_hi_u32 s5, s6, s12
	s_waitcnt lgkmcnt(0)
	s_lshl_b64 s[0:1], s[2:3], 3
	s_add_u32 s2, s14, s0
	s_addc_u32 s3, s15, s1
	s_add_i32 s0, s5, s4
	s_mul_i32 s1, s7, s12
	s_add_i32 s1, s0, s1
	s_mul_i32 s0, s6, s12
	s_lshl_b64 s[0:1], s[0:1], 2
	s_add_u32 s4, s8, s0
	s_addc_u32 s5, s9, s1
	s_lshl_b64 s[0:1], s[10:11], 2
	s_add_u32 s4, s4, s0
	s_addc_u32 s5, s5, s1
	v_mad_u64_u32 v[2:3], s[0:1], v0, s16, v[0:1]
	v_ashrrev_i32_e32 v1, 31, v0
	v_lshlrev_b64 v[0:1], 2, v[0:1]
	v_mov_b32_e32 v3, s5
	v_add_co_u32_e32 v0, vcc, s4, v0
	v_addc_co_u32_e32 v1, vcc, v3, v1, vcc
	global_load_dword v0, v[0:1], off
	v_ashrrev_i32_e32 v3, 31, v2
	v_lshlrev_b64 v[2:3], 3, v[2:3]
	v_mov_b32_e32 v1, s3
	v_add_co_u32_e32 v2, vcc, s2, v2
	v_addc_co_u32_e32 v3, vcc, v1, v3, vcc
	v_mov_b32_e32 v1, 0
	s_waitcnt vmcnt(0)
	global_store_dwordx2 v[2:3], v[0:1], off
.LBB136_2:
	s_endpgm
	.section	.rodata,"a",@progbits
	.p2align	6, 0x0
	.amdhsa_kernel _ZN9rocsolver6v33100L12restore_diagI19rocblas_complex_numIfEifPKPS3_EEvPT1_llT2_lT0_lSA_
		.amdhsa_group_segment_fixed_size 0
		.amdhsa_private_segment_fixed_size 0
		.amdhsa_kernarg_size 320
		.amdhsa_user_sgpr_count 6
		.amdhsa_user_sgpr_private_segment_buffer 1
		.amdhsa_user_sgpr_dispatch_ptr 0
		.amdhsa_user_sgpr_queue_ptr 0
		.amdhsa_user_sgpr_kernarg_segment_ptr 1
		.amdhsa_user_sgpr_dispatch_id 0
		.amdhsa_user_sgpr_flat_scratch_init 0
		.amdhsa_user_sgpr_kernarg_preload_length 0
		.amdhsa_user_sgpr_kernarg_preload_offset 0
		.amdhsa_user_sgpr_private_segment_size 0
		.amdhsa_uses_dynamic_stack 0
		.amdhsa_system_sgpr_private_segment_wavefront_offset 0
		.amdhsa_system_sgpr_workgroup_id_x 1
		.amdhsa_system_sgpr_workgroup_id_y 1
		.amdhsa_system_sgpr_workgroup_id_z 0
		.amdhsa_system_sgpr_workgroup_info 0
		.amdhsa_system_vgpr_workitem_id 1
		.amdhsa_next_free_vgpr 4
		.amdhsa_next_free_sgpr 17
		.amdhsa_accum_offset 4
		.amdhsa_reserve_vcc 1
		.amdhsa_reserve_flat_scratch 0
		.amdhsa_float_round_mode_32 0
		.amdhsa_float_round_mode_16_64 0
		.amdhsa_float_denorm_mode_32 3
		.amdhsa_float_denorm_mode_16_64 3
		.amdhsa_dx10_clamp 1
		.amdhsa_ieee_mode 1
		.amdhsa_fp16_overflow 0
		.amdhsa_tg_split 0
		.amdhsa_exception_fp_ieee_invalid_op 0
		.amdhsa_exception_fp_denorm_src 0
		.amdhsa_exception_fp_ieee_div_zero 0
		.amdhsa_exception_fp_ieee_overflow 0
		.amdhsa_exception_fp_ieee_underflow 0
		.amdhsa_exception_fp_ieee_inexact 0
		.amdhsa_exception_int_div_zero 0
	.end_amdhsa_kernel
	.section	.text._ZN9rocsolver6v33100L12restore_diagI19rocblas_complex_numIfEifPKPS3_EEvPT1_llT2_lT0_lSA_,"axG",@progbits,_ZN9rocsolver6v33100L12restore_diagI19rocblas_complex_numIfEifPKPS3_EEvPT1_llT2_lT0_lSA_,comdat
.Lfunc_end136:
	.size	_ZN9rocsolver6v33100L12restore_diagI19rocblas_complex_numIfEifPKPS3_EEvPT1_llT2_lT0_lSA_, .Lfunc_end136-_ZN9rocsolver6v33100L12restore_diagI19rocblas_complex_numIfEifPKPS3_EEvPT1_llT2_lT0_lSA_
                                        ; -- End function
	.section	.AMDGPU.csdata,"",@progbits
; Kernel info:
; codeLenInByte = 252
; NumSgprs: 21
; NumVgprs: 4
; NumAgprs: 0
; TotalNumVgprs: 4
; ScratchSize: 0
; MemoryBound: 0
; FloatMode: 240
; IeeeMode: 1
; LDSByteSize: 0 bytes/workgroup (compile time only)
; SGPRBlocks: 2
; VGPRBlocks: 0
; NumSGPRsForWavesPerEU: 21
; NumVGPRsForWavesPerEU: 4
; AccumOffset: 4
; Occupancy: 8
; WaveLimiterHint : 1
; COMPUTE_PGM_RSRC2:SCRATCH_EN: 0
; COMPUTE_PGM_RSRC2:USER_SGPR: 6
; COMPUTE_PGM_RSRC2:TRAP_HANDLER: 0
; COMPUTE_PGM_RSRC2:TGID_X_EN: 1
; COMPUTE_PGM_RSRC2:TGID_Y_EN: 1
; COMPUTE_PGM_RSRC2:TGID_Z_EN: 0
; COMPUTE_PGM_RSRC2:TIDIG_COMP_CNT: 1
; COMPUTE_PGM_RSRC3_GFX90A:ACCUM_OFFSET: 0
; COMPUTE_PGM_RSRC3_GFX90A:TG_SPLIT: 0
	.section	.text._ZN9rocsolver6v33100L14set_triangularI19rocblas_complex_numIfEPKPS3_TnNSt9enable_ifIX18rocblas_is_complexIT_EEiE4typeELi0EEEviiT0_iilPS8_lSC_il15rocblas_direct_15rocblas_storev_b,"axG",@progbits,_ZN9rocsolver6v33100L14set_triangularI19rocblas_complex_numIfEPKPS3_TnNSt9enable_ifIX18rocblas_is_complexIT_EEiE4typeELi0EEEviiT0_iilPS8_lSC_il15rocblas_direct_15rocblas_storev_b,comdat
	.globl	_ZN9rocsolver6v33100L14set_triangularI19rocblas_complex_numIfEPKPS3_TnNSt9enable_ifIX18rocblas_is_complexIT_EEiE4typeELi0EEEviiT0_iilPS8_lSC_il15rocblas_direct_15rocblas_storev_b ; -- Begin function _ZN9rocsolver6v33100L14set_triangularI19rocblas_complex_numIfEPKPS3_TnNSt9enable_ifIX18rocblas_is_complexIT_EEiE4typeELi0EEEviiT0_iilPS8_lSC_il15rocblas_direct_15rocblas_storev_b
	.p2align	8
	.type	_ZN9rocsolver6v33100L14set_triangularI19rocblas_complex_numIfEPKPS3_TnNSt9enable_ifIX18rocblas_is_complexIT_EEiE4typeELi0EEEviiT0_iilPS8_lSC_il15rocblas_direct_15rocblas_storev_b,@function
_ZN9rocsolver6v33100L14set_triangularI19rocblas_complex_numIfEPKPS3_TnNSt9enable_ifIX18rocblas_is_complexIT_EEiE4typeELi0EEEviiT0_iilPS8_lSC_il15rocblas_direct_15rocblas_storev_b: ; @_ZN9rocsolver6v33100L14set_triangularI19rocblas_complex_numIfEPKPS3_TnNSt9enable_ifIX18rocblas_is_complexIT_EEiE4typeELi0EEEviiT0_iilPS8_lSC_il15rocblas_direct_15rocblas_storev_b
; %bb.0:
	s_load_dword s0, s[4:5], 0x64
	s_load_dwordx2 s[12:13], s[4:5], 0x0
	v_and_b32_e32 v1, 0x3ff, v0
	v_bfe_u32 v0, v0, 10, 10
	s_waitcnt lgkmcnt(0)
	s_lshr_b32 s1, s0, 16
	s_and_b32 s0, s0, 0xffff
	s_mul_i32 s6, s6, s0
	s_mul_i32 s7, s7, s1
	v_add_u32_e32 v2, s6, v1
	v_add_u32_e32 v0, s7, v0
	v_max_u32_e32 v1, v2, v0
	v_cmp_gt_u32_e32 vcc, s13, v1
	s_and_saveexec_b64 s[0:1], vcc
	s_cbranch_execz .LBB137_36
; %bb.1:
	s_load_dwordx4 s[0:3], s[4:5], 0x20
	s_load_dwordx2 s[6:7], s[4:5], 0x30
	s_load_dword s14, s[4:5], 0x38
	s_load_dwordx2 s[10:11], s[4:5], 0x40
	v_cmp_ne_u32_e32 vcc, v0, v2
	s_waitcnt lgkmcnt(0)
	s_mul_i32 s3, s8, s3
	s_mul_hi_u32 s9, s8, s2
	s_add_i32 s3, s9, s3
	s_mul_i32 s2, s8, s2
	s_lshl_b64 s[2:3], s[2:3], 3
	s_add_u32 s17, s0, s2
	s_addc_u32 s18, s1, s3
	s_mul_i32 s0, s8, s11
	s_mul_hi_u32 s1, s8, s10
	s_add_i32 s1, s1, s0
	s_mul_i32 s0, s8, s10
	s_lshl_b64 s[0:1], s[0:1], 3
	s_add_u32 s15, s6, s0
	s_addc_u32 s16, s7, s1
	s_and_saveexec_b64 s[0:1], vcc
	s_xor_b64 s[10:11], exec, s[0:1]
	s_cbranch_execz .LBB137_34
; %bb.2:
	s_load_dwordx4 s[0:3], s[4:5], 0x8
	s_mov_b32 s9, 0
	s_lshl_b64 s[8:9], s[8:9], 3
	s_load_dwordx4 s[4:7], s[4:5], 0x48
	v_mov_b32_e32 v3, 0
	s_waitcnt lgkmcnt(0)
	s_ashr_i32 s21, s2, 31
	s_add_u32 s0, s0, s8
	s_addc_u32 s1, s1, s9
	s_load_dwordx2 s[0:1], s[0:1], 0x0
	s_mov_b32 s20, s2
	s_lshl_b64 s[8:9], s[20:21], 3
	s_waitcnt lgkmcnt(0)
	s_add_u32 s2, s0, s8
	s_addc_u32 s19, s1, s9
	s_bitcmp1_b32 s6, 0
	s_cselect_b64 s[0:1], -1, 0
	s_xor_b64 s[0:1], s[0:1], -1
	s_mov_b64 s[6:7], -1
	s_cmpk_lg_i32 s4, 0xab
	s_cbranch_scc0 .LBB137_18
; %bb.3:
	v_cmp_le_u32_e32 vcc, v0, v2
	s_and_saveexec_b64 s[6:7], vcc
	s_xor_b64 s[6:7], exec, s[6:7]
	s_cbranch_execz .LBB137_5
; %bb.4:
	v_mad_u64_u32 v[4:5], s[8:9], v2, s14, 0
	s_ashr_i32 s4, s14, 31
	v_mov_b32_e32 v6, v5
	v_mad_u64_u32 v[6:7], s[8:9], v2, s4, v[6:7]
	v_mov_b32_e32 v5, v6
	v_lshlrev_b64 v[4:5], 3, v[4:5]
	v_mov_b32_e32 v1, 0
	v_mov_b32_e32 v6, s16
	v_add_co_u32_e32 v7, vcc, s15, v4
	v_addc_co_u32_e32 v6, vcc, v6, v5, vcc
	v_lshlrev_b64 v[4:5], 3, v[0:1]
	v_add_co_u32_e32 v4, vcc, v7, v4
	v_addc_co_u32_e32 v5, vcc, v6, v5, vcc
	v_mov_b32_e32 v6, v1
	v_mov_b32_e32 v7, v1
	global_store_dwordx2 v[4:5], v[6:7], off
.LBB137_5:
	s_andn2_saveexec_b64 s[6:7], s[6:7]
	s_cbranch_execz .LBB137_17
; %bb.6:
	v_lshlrev_b64 v[4:5], 3, v[2:3]
	v_mov_b32_e32 v1, s18
	v_add_co_u32_e32 v4, vcc, s17, v4
	v_addc_co_u32_e32 v5, vcc, v1, v5, vcc
	global_load_dwordx2 v[4:5], v[4:5], off
	s_cmpk_lg_i32 s5, 0xb5
	s_mov_b64 s[8:9], -1
	s_cbranch_scc0 .LBB137_12
; %bb.7:
	v_mov_b32_e32 v1, 0
	s_andn2_b64 vcc, exec, s[0:1]
	v_lshlrev_b64 v[6:7], 3, v[0:1]
	s_cbranch_vccnz .LBB137_9
; %bb.8:
	s_sub_i32 s4, s12, s13
	v_add_u32_e32 v1, s4, v2
	v_mad_u64_u32 v[8:9], s[8:9], v1, s3, 0
	s_ashr_i32 s4, s3, 31
	v_mov_b32_e32 v10, v9
	v_mad_u64_u32 v[10:11], s[8:9], v1, s4, v[10:11]
	v_mov_b32_e32 v9, v10
	v_lshlrev_b64 v[8:9], 3, v[8:9]
	v_mov_b32_e32 v1, s19
	v_add_co_u32_e32 v8, vcc, s2, v8
	v_addc_co_u32_e32 v1, vcc, v1, v9, vcc
	v_add_co_u32_e32 v8, vcc, v8, v6
	v_addc_co_u32_e32 v9, vcc, v1, v7, vcc
	global_load_dwordx2 v[8:9], v[8:9], off
	v_mad_u64_u32 v[10:11], s[8:9], v2, s14, 0
	s_ashr_i32 s4, s14, 31
	v_mov_b32_e32 v14, v11
	v_mad_u64_u32 v[14:15], s[8:9], v2, s4, v[14:15]
	v_mov_b32_e32 v11, v14
	v_lshlrev_b64 v[10:11], 3, v[10:11]
	v_mov_b32_e32 v1, s16
	v_add_co_u32_e32 v10, vcc, s15, v10
	s_waitcnt vmcnt(1)
	v_mov_b32_e32 v12, v5
	v_addc_co_u32_e32 v1, vcc, v1, v11, vcc
	v_add_co_u32_e32 v10, vcc, v10, v6
	v_addc_co_u32_e32 v11, vcc, v1, v7, vcc
	s_mov_b64 s[8:9], 0
	s_waitcnt vmcnt(0)
	v_pk_mul_f32 v[12:13], v[12:13], v[8:9] op_sel_hi:[0,1] neg_lo:[1,0]
	v_pk_fma_f32 v[8:9], v[4:5], v[8:9], v[12:13] op_sel:[0,0,1] op_sel_hi:[0,1,0] neg_lo:[1,0,0] neg_hi:[1,0,0]
	global_store_dwordx2 v[10:11], v[8:9], off
.LBB137_9:
	s_andn2_b64 vcc, exec, s[8:9]
	s_cbranch_vccnz .LBB137_11
; %bb.10:
	v_mad_u64_u32 v[8:9], s[8:9], v2, s14, 0
	s_ashr_i32 s4, s14, 31
	v_mov_b32_e32 v10, v9
	v_mad_u64_u32 v[10:11], s[8:9], v2, s4, v[10:11]
	v_mov_b32_e32 v9, v10
	v_lshlrev_b64 v[8:9], 3, v[8:9]
	v_mov_b32_e32 v1, s16
	v_add_co_u32_e32 v8, vcc, s15, v8
	v_addc_co_u32_e32 v1, vcc, v1, v9, vcc
	v_add_co_u32_e32 v8, vcc, v8, v6
	s_sub_i32 s4, s12, s13
	v_addc_co_u32_e32 v9, vcc, v1, v7, vcc
	v_add_u32_e32 v1, s4, v2
	v_mad_u64_u32 v[10:11], s[8:9], v1, s3, 0
	s_ashr_i32 s4, s3, 31
	v_mov_b32_e32 v12, v11
	v_mad_u64_u32 v[12:13], s[8:9], v1, s4, v[12:13]
	v_mov_b32_e32 v11, v12
	v_lshlrev_b64 v[10:11], 3, v[10:11]
	v_mov_b32_e32 v1, s19
	v_add_co_u32_e32 v10, vcc, s2, v10
	v_addc_co_u32_e32 v1, vcc, v1, v11, vcc
	v_add_co_u32_e32 v6, vcc, v10, v6
	v_addc_co_u32_e32 v7, vcc, v1, v7, vcc
	global_load_dwordx2 v[10:11], v[8:9], off
	global_load_dwordx2 v[12:13], v[6:7], off
	s_waitcnt vmcnt(2)
	v_mov_b32_e32 v6, v5
	s_waitcnt vmcnt(0)
	v_pk_add_f32 v[10:11], v[12:13], v[10:11]
	v_pk_mul_f32 v[12:13], v[4:5], v[10:11] op_sel_hi:[0,1]
	v_pk_fma_f32 v[6:7], v[6:7], v[10:11], v[12:13] op_sel:[0,0,1] op_sel_hi:[0,1,0] neg_lo:[1,0,1] neg_hi:[0,0,1]
	v_mov_b32_e32 v10, v7
	v_mov_b32_e32 v11, v6
	global_store_dwordx2 v[8:9], v[10:11], off
.LBB137_11:
	s_mov_b64 s[8:9], 0
.LBB137_12:
	s_andn2_b64 vcc, exec, s[8:9]
	s_cbranch_vccnz .LBB137_17
; %bb.13:
	s_andn2_b64 vcc, exec, s[0:1]
	s_mov_b64 s[8:9], -1
	s_cbranch_vccnz .LBB137_15
; %bb.14:
	s_sub_i32 s4, s12, s13
	v_mad_u64_u32 v[8:9], s[8:9], v0, s3, 0
	v_add_u32_e32 v6, s4, v2
	s_ashr_i32 s4, s3, 31
	v_mov_b32_e32 v10, v9
	v_mad_u64_u32 v[10:11], s[8:9], v0, s4, v[10:11]
	v_mov_b32_e32 v9, v10
	v_lshlrev_b64 v[8:9], 3, v[8:9]
	v_mov_b32_e32 v7, 0
	v_mov_b32_e32 v1, s19
	v_add_co_u32_e32 v10, vcc, s2, v8
	v_addc_co_u32_e32 v1, vcc, v1, v9, vcc
	v_lshlrev_b64 v[8:9], 3, v[6:7]
	v_add_co_u32_e32 v8, vcc, v10, v8
	v_addc_co_u32_e32 v9, vcc, v1, v9, vcc
	global_load_dwordx2 v[8:9], v[8:9], off
	v_mad_u64_u32 v[10:11], s[8:9], v2, s14, 0
	s_ashr_i32 s4, s14, 31
	v_mov_b32_e32 v12, v11
	v_mad_u64_u32 v[12:13], s[8:9], v2, s4, v[12:13]
	v_mov_b32_e32 v11, v12
	v_mov_b32_e32 v1, v7
	v_lshlrev_b64 v[10:11], 3, v[10:11]
	v_mov_b32_e32 v16, s16
	v_lshlrev_b64 v[14:15], 3, v[0:1]
	v_add_co_u32_e32 v1, vcc, s15, v10
	v_addc_co_u32_e32 v7, vcc, v16, v11, vcc
	s_waitcnt vmcnt(1)
	v_mov_b32_e32 v6, v5
	v_add_co_u32_e32 v10, vcc, v1, v14
	v_addc_co_u32_e32 v11, vcc, v7, v15, vcc
	s_mov_b64 s[8:9], 0
	s_waitcnt vmcnt(0)
	v_pk_mul_f32 v[6:7], v[6:7], v[8:9] op_sel_hi:[0,1]
	v_pk_fma_f32 v[6:7], v[8:9], v[4:5], v[6:7] op_sel:[0,0,1] op_sel_hi:[1,0,0] neg_lo:[0,1,1] neg_hi:[0,0,1]
	global_store_dwordx2 v[10:11], v[6:7], off
.LBB137_15:
	s_andn2_b64 vcc, exec, s[8:9]
	s_cbranch_vccnz .LBB137_17
; %bb.16:
	v_mad_u64_u32 v[6:7], s[8:9], v2, s14, 0
	s_ashr_i32 s4, s14, 31
	v_mov_b32_e32 v8, v7
	v_mad_u64_u32 v[8:9], s[8:9], v2, s4, v[8:9]
	v_mov_b32_e32 v7, v8
	v_lshlrev_b64 v[6:7], 3, v[6:7]
	v_mov_b32_e32 v1, 0
	v_mov_b32_e32 v8, s16
	v_add_co_u32_e32 v9, vcc, s15, v6
	v_addc_co_u32_e32 v8, vcc, v8, v7, vcc
	v_lshlrev_b64 v[6:7], 3, v[0:1]
	v_add_co_u32_e32 v6, vcc, v9, v6
	s_sub_i32 s4, s12, s13
	v_mad_u64_u32 v[10:11], s[8:9], v0, s3, 0
	v_addc_co_u32_e32 v7, vcc, v8, v7, vcc
	v_add_u32_e32 v8, s4, v2
	s_ashr_i32 s4, s3, 31
	v_mov_b32_e32 v12, v11
	v_mad_u64_u32 v[12:13], s[8:9], v0, s4, v[12:13]
	v_mov_b32_e32 v11, v12
	v_lshlrev_b64 v[10:11], 3, v[10:11]
	v_mov_b32_e32 v9, v1
	v_mov_b32_e32 v1, s19
	v_add_co_u32_e32 v10, vcc, s2, v10
	v_addc_co_u32_e32 v1, vcc, v1, v11, vcc
	v_lshlrev_b64 v[8:9], 3, v[8:9]
	v_add_co_u32_e32 v8, vcc, v10, v8
	v_addc_co_u32_e32 v9, vcc, v1, v9, vcc
	global_load_dwordx2 v[10:11], v[6:7], off
	global_load_dwordx2 v[12:13], v[8:9], off
	s_waitcnt vmcnt(2)
	v_mov_b32_e32 v8, v5
	s_waitcnt vmcnt(0)
	v_pk_add_f32 v[14:15], v[10:11], v[12:13] op_sel:[1,1] op_sel_hi:[0,0] neg_lo:[0,1] neg_hi:[0,1]
	v_pk_add_f32 v[10:11], v[12:13], v[10:11] op_sel:[1,1] op_sel_hi:[0,0]
	v_mov_b32_e32 v15, v11
	v_mov_b32_e32 v10, v11
	;; [unrolled: 1-line block ×3, first 2 shown]
	v_pk_mul_f32 v[4:5], v[4:5], v[10:11] op_sel_hi:[0,1]
	v_pk_fma_f32 v[4:5], v[8:9], v[14:15], v[4:5] op_sel_hi:[0,1,1] neg_lo:[0,0,1] neg_hi:[1,0,1]
	global_store_dwordx2 v[6:7], v[4:5], off
.LBB137_17:
	s_or_b64 exec, exec, s[6:7]
	s_mov_b64 s[6:7], 0
.LBB137_18:
	s_andn2_b64 vcc, exec, s[6:7]
	s_cbranch_vccnz .LBB137_34
; %bb.19:
	v_cmp_ge_u32_e32 vcc, v0, v2
	s_and_saveexec_b64 s[6:7], vcc
	s_xor_b64 s[6:7], exec, s[6:7]
	s_cbranch_execz .LBB137_21
; %bb.20:
	s_waitcnt vmcnt(0)
	v_mad_u64_u32 v[4:5], s[8:9], v2, s14, 0
	s_ashr_i32 s4, s14, 31
	v_mov_b32_e32 v6, v5
	v_mad_u64_u32 v[2:3], s[8:9], v2, s4, v[6:7]
	v_mov_b32_e32 v5, v2
	v_lshlrev_b64 v[2:3], 3, v[4:5]
	v_mov_b32_e32 v1, 0
	v_mov_b32_e32 v4, s16
	v_add_co_u32_e32 v5, vcc, s15, v2
	v_addc_co_u32_e32 v4, vcc, v4, v3, vcc
	v_lshlrev_b64 v[2:3], 3, v[0:1]
	v_add_co_u32_e32 v2, vcc, v5, v2
	v_addc_co_u32_e32 v3, vcc, v4, v3, vcc
	v_mov_b32_e32 v0, v1
	global_store_dwordx2 v[2:3], v[0:1], off
                                        ; implicit-def: $vgpr2_vgpr3
                                        ; implicit-def: $vgpr0
.LBB137_21:
	s_andn2_saveexec_b64 s[6:7], s[6:7]
	s_cbranch_execz .LBB137_33
; %bb.22:
	v_lshlrev_b64 v[6:7], 3, v[2:3]
	v_mov_b32_e32 v1, s18
	s_waitcnt vmcnt(0)
	v_add_co_u32_e32 v4, vcc, s17, v6
	v_addc_co_u32_e32 v5, vcc, v1, v7, vcc
	global_load_dwordx2 v[4:5], v[4:5], off
	v_cndmask_b32_e64 v1, 0, 1, s[0:1]
	s_cmpk_lg_i32 s5, 0xb5
	s_mov_b64 s[4:5], -1
	v_cmp_ne_u32_e64 s[0:1], 1, v1
	s_cbranch_scc0 .LBB137_28
; %bb.23:
	v_mov_b32_e32 v1, 0
	s_and_b64 vcc, exec, s[0:1]
	v_lshlrev_b64 v[8:9], 3, v[0:1]
	s_cbranch_vccnz .LBB137_25
; %bb.24:
	v_mad_u64_u32 v[10:11], s[4:5], v2, s3, 0
	s_ashr_i32 s8, s3, 31
	v_mov_b32_e32 v12, v11
	v_mad_u64_u32 v[12:13], s[4:5], v2, s8, v[12:13]
	v_mov_b32_e32 v11, v12
	v_lshlrev_b64 v[10:11], 3, v[10:11]
	v_mov_b32_e32 v1, s19
	v_add_co_u32_e32 v3, vcc, s2, v10
	v_addc_co_u32_e32 v1, vcc, v1, v11, vcc
	v_add_co_u32_e32 v10, vcc, v3, v8
	v_addc_co_u32_e32 v11, vcc, v1, v9, vcc
	global_load_dwordx2 v[10:11], v[10:11], off
	v_mad_u64_u32 v[12:13], s[4:5], v2, s14, 0
	s_ashr_i32 s8, s14, 31
	v_mov_b32_e32 v16, v13
	v_mad_u64_u32 v[16:17], s[4:5], v2, s8, v[16:17]
	v_mov_b32_e32 v13, v16
	v_lshlrev_b64 v[12:13], 3, v[12:13]
	v_mov_b32_e32 v1, s16
	v_add_co_u32_e32 v3, vcc, s15, v12
	s_waitcnt vmcnt(1)
	v_mov_b32_e32 v14, v5
	v_addc_co_u32_e32 v1, vcc, v1, v13, vcc
	v_add_co_u32_e32 v12, vcc, v3, v8
	v_addc_co_u32_e32 v13, vcc, v1, v9, vcc
	s_mov_b64 s[4:5], 0
	s_waitcnt vmcnt(0)
	v_pk_mul_f32 v[14:15], v[14:15], v[10:11] op_sel_hi:[0,1] neg_lo:[1,0]
	v_pk_fma_f32 v[10:11], v[4:5], v[10:11], v[14:15] op_sel:[0,0,1] op_sel_hi:[0,1,0] neg_lo:[1,0,0] neg_hi:[1,0,0]
	global_store_dwordx2 v[12:13], v[10:11], off
.LBB137_25:
	s_andn2_b64 vcc, exec, s[4:5]
	s_cbranch_vccnz .LBB137_27
; %bb.26:
	v_mad_u64_u32 v[10:11], s[4:5], v2, s14, 0
	s_ashr_i32 s8, s14, 31
	v_mov_b32_e32 v12, v11
	v_mad_u64_u32 v[12:13], s[4:5], v2, s8, v[12:13]
	v_mov_b32_e32 v11, v12
	v_lshlrev_b64 v[10:11], 3, v[10:11]
	v_mad_u64_u32 v[12:13], s[4:5], v2, s3, 0
	v_mov_b32_e32 v1, s16
	v_add_co_u32_e32 v3, vcc, s15, v10
	s_ashr_i32 s8, s3, 31
	v_mov_b32_e32 v14, v13
	v_addc_co_u32_e32 v1, vcc, v1, v11, vcc
	v_mad_u64_u32 v[14:15], s[4:5], v2, s8, v[14:15]
	v_add_co_u32_e32 v10, vcc, v3, v8
	v_mov_b32_e32 v13, v14
	v_addc_co_u32_e32 v11, vcc, v1, v9, vcc
	v_lshlrev_b64 v[12:13], 3, v[12:13]
	v_mov_b32_e32 v1, s19
	v_add_co_u32_e32 v3, vcc, s2, v12
	v_addc_co_u32_e32 v1, vcc, v1, v13, vcc
	v_add_co_u32_e32 v8, vcc, v3, v8
	v_addc_co_u32_e32 v9, vcc, v1, v9, vcc
	global_load_dwordx2 v[12:13], v[10:11], off
	global_load_dwordx2 v[14:15], v[8:9], off
	s_waitcnt vmcnt(2)
	v_mov_b32_e32 v8, v5
	s_waitcnt vmcnt(0)
	v_pk_add_f32 v[12:13], v[14:15], v[12:13]
	v_pk_mul_f32 v[14:15], v[4:5], v[12:13] op_sel_hi:[0,1]
	v_pk_fma_f32 v[8:9], v[8:9], v[12:13], v[14:15] op_sel:[0,0,1] op_sel_hi:[0,1,0] neg_lo:[1,0,1] neg_hi:[0,0,1]
	v_mov_b32_e32 v12, v9
	v_mov_b32_e32 v13, v8
	global_store_dwordx2 v[10:11], v[12:13], off
.LBB137_27:
	s_mov_b64 s[4:5], 0
.LBB137_28:
	s_andn2_b64 vcc, exec, s[4:5]
	s_cbranch_vccnz .LBB137_33
; %bb.29:
	v_mov_b32_e32 v1, 0
	s_mov_b64 s[4:5], -1
	s_and_b64 vcc, exec, s[0:1]
	v_lshlrev_b64 v[8:9], 3, v[0:1]
	s_cbranch_vccnz .LBB137_31
; %bb.30:
	v_mad_u64_u32 v[10:11], s[0:1], v0, s3, 0
	s_ashr_i32 s4, s3, 31
	v_mov_b32_e32 v12, v11
	v_mad_u64_u32 v[12:13], s[0:1], v0, s4, v[12:13]
	v_mov_b32_e32 v11, v12
	v_lshlrev_b64 v[10:11], 3, v[10:11]
	v_mov_b32_e32 v1, s19
	v_add_co_u32_e32 v3, vcc, s2, v10
	v_addc_co_u32_e32 v1, vcc, v1, v11, vcc
	v_add_co_u32_e32 v10, vcc, v3, v6
	v_addc_co_u32_e32 v11, vcc, v1, v7, vcc
	global_load_dwordx2 v[10:11], v[10:11], off
	v_mad_u64_u32 v[12:13], s[0:1], v2, s14, 0
	s_ashr_i32 s4, s14, 31
	v_mov_b32_e32 v16, v13
	v_mad_u64_u32 v[16:17], s[0:1], v2, s4, v[16:17]
	v_mov_b32_e32 v13, v16
	v_lshlrev_b64 v[12:13], 3, v[12:13]
	v_mov_b32_e32 v1, s16
	v_add_co_u32_e32 v3, vcc, s15, v12
	s_waitcnt vmcnt(1)
	v_mov_b32_e32 v14, v5
	v_addc_co_u32_e32 v1, vcc, v1, v13, vcc
	v_add_co_u32_e32 v12, vcc, v3, v8
	v_addc_co_u32_e32 v13, vcc, v1, v9, vcc
	s_mov_b64 s[4:5], 0
	s_waitcnt vmcnt(0)
	v_pk_mul_f32 v[14:15], v[14:15], v[10:11] op_sel_hi:[0,1]
	v_pk_fma_f32 v[10:11], v[10:11], v[4:5], v[14:15] op_sel:[0,0,1] op_sel_hi:[1,0,0] neg_lo:[0,1,1] neg_hi:[0,0,1]
	global_store_dwordx2 v[12:13], v[10:11], off
.LBB137_31:
	s_andn2_b64 vcc, exec, s[4:5]
	s_cbranch_vccnz .LBB137_33
; %bb.32:
	v_mad_u64_u32 v[10:11], s[0:1], v2, s14, 0
	s_ashr_i32 s4, s14, 31
	v_mov_b32_e32 v12, v11
	v_mad_u64_u32 v[2:3], s[0:1], v2, s4, v[12:13]
	v_mov_b32_e32 v11, v2
	v_lshlrev_b64 v[2:3], 3, v[10:11]
	v_mov_b32_e32 v1, s16
	v_add_co_u32_e32 v2, vcc, s15, v2
	v_addc_co_u32_e32 v1, vcc, v1, v3, vcc
	v_add_co_u32_e32 v2, vcc, v2, v8
	v_addc_co_u32_e32 v3, vcc, v1, v9, vcc
	v_mad_u64_u32 v[8:9], s[0:1], v0, s3, 0
	s_ashr_i32 s4, s3, 31
	v_mov_b32_e32 v10, v9
	v_mad_u64_u32 v[0:1], s[0:1], v0, s4, v[10:11]
	v_mov_b32_e32 v9, v0
	v_lshlrev_b64 v[0:1], 3, v[8:9]
	v_mov_b32_e32 v8, s19
	v_add_co_u32_e32 v0, vcc, s2, v0
	v_addc_co_u32_e32 v1, vcc, v8, v1, vcc
	v_add_co_u32_e32 v0, vcc, v0, v6
	v_addc_co_u32_e32 v1, vcc, v1, v7, vcc
	global_load_dwordx2 v[6:7], v[2:3], off
	global_load_dwordx2 v[8:9], v[0:1], off
	s_waitcnt vmcnt(2)
	v_mov_b32_e32 v0, v5
	s_waitcnt vmcnt(0)
	v_pk_add_f32 v[10:11], v[6:7], v[8:9] op_sel:[1,1] op_sel_hi:[0,0] neg_lo:[0,1] neg_hi:[0,1]
	v_pk_add_f32 v[6:7], v[8:9], v[6:7] op_sel:[1,1] op_sel_hi:[0,0]
	v_mov_b32_e32 v11, v7
	v_mov_b32_e32 v6, v7
	v_mov_b32_e32 v7, v10
	v_pk_mul_f32 v[4:5], v[4:5], v[6:7] op_sel_hi:[0,1]
	v_pk_fma_f32 v[0:1], v[0:1], v[10:11], v[4:5] op_sel_hi:[0,1,1] neg_lo:[0,0,1] neg_hi:[1,0,1]
	global_store_dwordx2 v[2:3], v[0:1], off
.LBB137_33:
	s_or_b64 exec, exec, s[6:7]
                                        ; implicit-def: $vgpr2
.LBB137_34:
	s_andn2_saveexec_b64 s[0:1], s[10:11]
	s_cbranch_execz .LBB137_36
; %bb.35:
	v_mov_b32_e32 v3, 0
	v_lshlrev_b64 v[0:1], 3, v[2:3]
	v_mov_b32_e32 v3, s18
	s_waitcnt vmcnt(0)
	v_add_co_u32_e32 v4, vcc, s17, v0
	v_addc_co_u32_e32 v5, vcc, v3, v1, vcc
	global_load_dwordx2 v[4:5], v[4:5], off
	v_mad_u64_u32 v[6:7], s[0:1], v2, s14, 0
	s_ashr_i32 s2, s14, 31
	v_mov_b32_e32 v8, v7
	v_mad_u64_u32 v[2:3], s[0:1], v2, s2, v[8:9]
	v_mov_b32_e32 v7, v2
	v_lshlrev_b64 v[2:3], 3, v[6:7]
	v_mov_b32_e32 v6, s16
	v_add_co_u32_e32 v2, vcc, s15, v2
	v_addc_co_u32_e32 v3, vcc, v6, v3, vcc
	v_add_co_u32_e32 v0, vcc, v2, v0
	v_addc_co_u32_e32 v1, vcc, v3, v1, vcc
	s_waitcnt vmcnt(0)
	global_store_dwordx2 v[0:1], v[4:5], off
.LBB137_36:
	s_endpgm
	.section	.rodata,"a",@progbits
	.p2align	6, 0x0
	.amdhsa_kernel _ZN9rocsolver6v33100L14set_triangularI19rocblas_complex_numIfEPKPS3_TnNSt9enable_ifIX18rocblas_is_complexIT_EEiE4typeELi0EEEviiT0_iilPS8_lSC_il15rocblas_direct_15rocblas_storev_b
		.amdhsa_group_segment_fixed_size 0
		.amdhsa_private_segment_fixed_size 0
		.amdhsa_kernarg_size 344
		.amdhsa_user_sgpr_count 6
		.amdhsa_user_sgpr_private_segment_buffer 1
		.amdhsa_user_sgpr_dispatch_ptr 0
		.amdhsa_user_sgpr_queue_ptr 0
		.amdhsa_user_sgpr_kernarg_segment_ptr 1
		.amdhsa_user_sgpr_dispatch_id 0
		.amdhsa_user_sgpr_flat_scratch_init 0
		.amdhsa_user_sgpr_kernarg_preload_length 0
		.amdhsa_user_sgpr_kernarg_preload_offset 0
		.amdhsa_user_sgpr_private_segment_size 0
		.amdhsa_uses_dynamic_stack 0
		.amdhsa_system_sgpr_private_segment_wavefront_offset 0
		.amdhsa_system_sgpr_workgroup_id_x 1
		.amdhsa_system_sgpr_workgroup_id_y 1
		.amdhsa_system_sgpr_workgroup_id_z 1
		.amdhsa_system_sgpr_workgroup_info 0
		.amdhsa_system_vgpr_workitem_id 1
		.amdhsa_next_free_vgpr 18
		.amdhsa_next_free_sgpr 22
		.amdhsa_accum_offset 20
		.amdhsa_reserve_vcc 1
		.amdhsa_reserve_flat_scratch 0
		.amdhsa_float_round_mode_32 0
		.amdhsa_float_round_mode_16_64 0
		.amdhsa_float_denorm_mode_32 3
		.amdhsa_float_denorm_mode_16_64 3
		.amdhsa_dx10_clamp 1
		.amdhsa_ieee_mode 1
		.amdhsa_fp16_overflow 0
		.amdhsa_tg_split 0
		.amdhsa_exception_fp_ieee_invalid_op 0
		.amdhsa_exception_fp_denorm_src 0
		.amdhsa_exception_fp_ieee_div_zero 0
		.amdhsa_exception_fp_ieee_overflow 0
		.amdhsa_exception_fp_ieee_underflow 0
		.amdhsa_exception_fp_ieee_inexact 0
		.amdhsa_exception_int_div_zero 0
	.end_amdhsa_kernel
	.section	.text._ZN9rocsolver6v33100L14set_triangularI19rocblas_complex_numIfEPKPS3_TnNSt9enable_ifIX18rocblas_is_complexIT_EEiE4typeELi0EEEviiT0_iilPS8_lSC_il15rocblas_direct_15rocblas_storev_b,"axG",@progbits,_ZN9rocsolver6v33100L14set_triangularI19rocblas_complex_numIfEPKPS3_TnNSt9enable_ifIX18rocblas_is_complexIT_EEiE4typeELi0EEEviiT0_iilPS8_lSC_il15rocblas_direct_15rocblas_storev_b,comdat
.Lfunc_end137:
	.size	_ZN9rocsolver6v33100L14set_triangularI19rocblas_complex_numIfEPKPS3_TnNSt9enable_ifIX18rocblas_is_complexIT_EEiE4typeELi0EEEviiT0_iilPS8_lSC_il15rocblas_direct_15rocblas_storev_b, .Lfunc_end137-_ZN9rocsolver6v33100L14set_triangularI19rocblas_complex_numIfEPKPS3_TnNSt9enable_ifIX18rocblas_is_complexIT_EEiE4typeELi0EEEviiT0_iilPS8_lSC_il15rocblas_direct_15rocblas_storev_b
                                        ; -- End function
	.section	.AMDGPU.csdata,"",@progbits
; Kernel info:
; codeLenInByte = 2332
; NumSgprs: 26
; NumVgprs: 18
; NumAgprs: 0
; TotalNumVgprs: 18
; ScratchSize: 0
; MemoryBound: 0
; FloatMode: 240
; IeeeMode: 1
; LDSByteSize: 0 bytes/workgroup (compile time only)
; SGPRBlocks: 3
; VGPRBlocks: 2
; NumSGPRsForWavesPerEU: 26
; NumVGPRsForWavesPerEU: 18
; AccumOffset: 20
; Occupancy: 8
; WaveLimiterHint : 1
; COMPUTE_PGM_RSRC2:SCRATCH_EN: 0
; COMPUTE_PGM_RSRC2:USER_SGPR: 6
; COMPUTE_PGM_RSRC2:TRAP_HANDLER: 0
; COMPUTE_PGM_RSRC2:TGID_X_EN: 1
; COMPUTE_PGM_RSRC2:TGID_Y_EN: 1
; COMPUTE_PGM_RSRC2:TGID_Z_EN: 1
; COMPUTE_PGM_RSRC2:TIDIG_COMP_CNT: 1
; COMPUTE_PGM_RSRC3_GFX90A:ACCUM_OFFSET: 4
; COMPUTE_PGM_RSRC3_GFX90A:TG_SPLIT: 0
	.section	.text._ZN9rocsolver6v33100L7set_tauI19rocblas_complex_numIfEEEviPT_l,"axG",@progbits,_ZN9rocsolver6v33100L7set_tauI19rocblas_complex_numIfEEEviPT_l,comdat
	.globl	_ZN9rocsolver6v33100L7set_tauI19rocblas_complex_numIfEEEviPT_l ; -- Begin function _ZN9rocsolver6v33100L7set_tauI19rocblas_complex_numIfEEEviPT_l
	.p2align	8
	.type	_ZN9rocsolver6v33100L7set_tauI19rocblas_complex_numIfEEEviPT_l,@function
_ZN9rocsolver6v33100L7set_tauI19rocblas_complex_numIfEEEviPT_l: ; @_ZN9rocsolver6v33100L7set_tauI19rocblas_complex_numIfEEEviPT_l
; %bb.0:
	s_load_dword s0, s[4:5], 0x24
	s_load_dword s1, s[4:5], 0x0
	s_waitcnt lgkmcnt(0)
	s_and_b32 s0, s0, 0xffff
	s_mul_i32 s6, s6, s0
	v_add_u32_e32 v0, s6, v0
	v_cmp_gt_u32_e32 vcc, s1, v0
	s_and_saveexec_b64 s[0:1], vcc
	s_cbranch_execz .LBB138_2
; %bb.1:
	s_load_dwordx4 s[0:3], s[4:5], 0x8
	v_mov_b32_e32 v1, 0
	v_lshlrev_b64 v[0:1], 3, v[0:1]
	s_waitcnt lgkmcnt(0)
	s_mul_i32 s3, s7, s3
	s_mul_hi_u32 s4, s7, s2
	s_mul_i32 s2, s7, s2
	s_add_i32 s3, s4, s3
	s_lshl_b64 s[2:3], s[2:3], 3
	s_add_u32 s0, s0, s2
	s_addc_u32 s1, s1, s3
	v_mov_b32_e32 v2, s1
	v_add_co_u32_e32 v0, vcc, s0, v0
	v_addc_co_u32_e32 v1, vcc, v2, v1, vcc
	global_load_dwordx2 v[2:3], v[0:1], off
	s_waitcnt vmcnt(0)
	v_pk_add_f32 v[2:3], v[2:3], 0 neg_lo:[1,1] neg_hi:[1,1]
	global_store_dwordx2 v[0:1], v[2:3], off
.LBB138_2:
	s_endpgm
	.section	.rodata,"a",@progbits
	.p2align	6, 0x0
	.amdhsa_kernel _ZN9rocsolver6v33100L7set_tauI19rocblas_complex_numIfEEEviPT_l
		.amdhsa_group_segment_fixed_size 0
		.amdhsa_private_segment_fixed_size 0
		.amdhsa_kernarg_size 280
		.amdhsa_user_sgpr_count 6
		.amdhsa_user_sgpr_private_segment_buffer 1
		.amdhsa_user_sgpr_dispatch_ptr 0
		.amdhsa_user_sgpr_queue_ptr 0
		.amdhsa_user_sgpr_kernarg_segment_ptr 1
		.amdhsa_user_sgpr_dispatch_id 0
		.amdhsa_user_sgpr_flat_scratch_init 0
		.amdhsa_user_sgpr_kernarg_preload_length 0
		.amdhsa_user_sgpr_kernarg_preload_offset 0
		.amdhsa_user_sgpr_private_segment_size 0
		.amdhsa_uses_dynamic_stack 0
		.amdhsa_system_sgpr_private_segment_wavefront_offset 0
		.amdhsa_system_sgpr_workgroup_id_x 1
		.amdhsa_system_sgpr_workgroup_id_y 1
		.amdhsa_system_sgpr_workgroup_id_z 0
		.amdhsa_system_sgpr_workgroup_info 0
		.amdhsa_system_vgpr_workitem_id 0
		.amdhsa_next_free_vgpr 4
		.amdhsa_next_free_sgpr 8
		.amdhsa_accum_offset 4
		.amdhsa_reserve_vcc 1
		.amdhsa_reserve_flat_scratch 0
		.amdhsa_float_round_mode_32 0
		.amdhsa_float_round_mode_16_64 0
		.amdhsa_float_denorm_mode_32 3
		.amdhsa_float_denorm_mode_16_64 3
		.amdhsa_dx10_clamp 1
		.amdhsa_ieee_mode 1
		.amdhsa_fp16_overflow 0
		.amdhsa_tg_split 0
		.amdhsa_exception_fp_ieee_invalid_op 0
		.amdhsa_exception_fp_denorm_src 0
		.amdhsa_exception_fp_ieee_div_zero 0
		.amdhsa_exception_fp_ieee_overflow 0
		.amdhsa_exception_fp_ieee_underflow 0
		.amdhsa_exception_fp_ieee_inexact 0
		.amdhsa_exception_int_div_zero 0
	.end_amdhsa_kernel
	.section	.text._ZN9rocsolver6v33100L7set_tauI19rocblas_complex_numIfEEEviPT_l,"axG",@progbits,_ZN9rocsolver6v33100L7set_tauI19rocblas_complex_numIfEEEviPT_l,comdat
.Lfunc_end138:
	.size	_ZN9rocsolver6v33100L7set_tauI19rocblas_complex_numIfEEEviPT_l, .Lfunc_end138-_ZN9rocsolver6v33100L7set_tauI19rocblas_complex_numIfEEEviPT_l
                                        ; -- End function
	.section	.AMDGPU.csdata,"",@progbits
; Kernel info:
; codeLenInByte = 144
; NumSgprs: 12
; NumVgprs: 4
; NumAgprs: 0
; TotalNumVgprs: 4
; ScratchSize: 0
; MemoryBound: 0
; FloatMode: 240
; IeeeMode: 1
; LDSByteSize: 0 bytes/workgroup (compile time only)
; SGPRBlocks: 1
; VGPRBlocks: 0
; NumSGPRsForWavesPerEU: 12
; NumVGPRsForWavesPerEU: 4
; AccumOffset: 4
; Occupancy: 8
; WaveLimiterHint : 0
; COMPUTE_PGM_RSRC2:SCRATCH_EN: 0
; COMPUTE_PGM_RSRC2:USER_SGPR: 6
; COMPUTE_PGM_RSRC2:TRAP_HANDLER: 0
; COMPUTE_PGM_RSRC2:TGID_X_EN: 1
; COMPUTE_PGM_RSRC2:TGID_Y_EN: 1
; COMPUTE_PGM_RSRC2:TGID_Z_EN: 0
; COMPUTE_PGM_RSRC2:TIDIG_COMP_CNT: 0
; COMPUTE_PGM_RSRC3_GFX90A:ACCUM_OFFSET: 0
; COMPUTE_PGM_RSRC3_GFX90A:TG_SPLIT: 0
	.section	.text._ZN9rocsolver6v33100L20larft_kernel_forwardI19rocblas_complex_numIfEPKPS3_EEv15rocblas_storev_iiT0_iilPT_lSA_il,"axG",@progbits,_ZN9rocsolver6v33100L20larft_kernel_forwardI19rocblas_complex_numIfEPKPS3_EEv15rocblas_storev_iiT0_iilPT_lSA_il,comdat
	.globl	_ZN9rocsolver6v33100L20larft_kernel_forwardI19rocblas_complex_numIfEPKPS3_EEv15rocblas_storev_iiT0_iilPT_lSA_il ; -- Begin function _ZN9rocsolver6v33100L20larft_kernel_forwardI19rocblas_complex_numIfEPKPS3_EEv15rocblas_storev_iiT0_iilPT_lSA_il
	.p2align	8
	.type	_ZN9rocsolver6v33100L20larft_kernel_forwardI19rocblas_complex_numIfEPKPS3_EEv15rocblas_storev_iiT0_iilPT_lSA_il,@function
_ZN9rocsolver6v33100L20larft_kernel_forwardI19rocblas_complex_numIfEPKPS3_EEv15rocblas_storev_iiT0_iilPT_lSA_il: ; @_ZN9rocsolver6v33100L20larft_kernel_forwardI19rocblas_complex_numIfEPKPS3_EEv15rocblas_storev_iiT0_iilPT_lSA_il
; %bb.0:
	s_mov_b32 s2, s7
	s_load_dword s33, s[4:5], 0x40
	s_load_dwordx2 s[0:1], s[4:5], 0x48
	s_load_dword s3, s[4:5], 0x5c
	s_load_dwordx4 s[8:11], s[4:5], 0x0
	s_load_dwordx2 s[6:7], s[4:5], 0x10
	s_load_dwordx4 s[12:15], s[4:5], 0x28
	s_load_dwordx2 s[16:17], s[4:5], 0x38
	s_waitcnt lgkmcnt(0)
	s_and_b32 s11, s3, 0xffff
	s_ashr_i32 s3, s2, 31
	s_lshl_b64 s[18:19], s[2:3], 3
	s_add_u32 s6, s6, s18
	s_addc_u32 s7, s7, s19
	s_mul_i32 s1, s2, s1
	s_mul_hi_u32 s18, s2, s0
	s_load_dwordx2 s[6:7], s[6:7], 0x0
	s_add_i32 s1, s18, s1
	s_mul_i32 s18, s3, s0
	s_add_i32 s1, s1, s18
	s_mul_i32 s0, s2, s0
	s_lshl_b64 s[0:1], s[0:1], 3
	s_add_u32 s38, s16, s0
	s_addc_u32 s39, s17, s1
	v_cmp_gt_i32_e64 s[0:1], s10, v0
	v_lshlrev_b32_e32 v1, 3, v0
	s_and_saveexec_b64 s[16:17], s[0:1]
	s_cbranch_execz .LBB139_5
; %bb.1:
	v_add_u32_e32 v2, 8, v1
	v_mul_lo_u32 v2, s10, v2
	s_lshl_b32 s22, s10, 3
	v_add3_u32 v6, v2, v1, 0
	s_add_i32 s23, s22, 8
	s_add_i32 s24, s33, 1
	v_mad_u64_u32 v[2:3], s[18:19], v0, s33, v[0:1]
	s_mul_i32 s23, s23, s11
	s_mul_i32 s24, s24, s11
	s_mov_b64 s[18:19], 0
	v_mov_b32_e32 v3, s39
	v_mov_b32_e32 v7, v0
.LBB139_2:                              ; =>This Loop Header: Depth=1
                                        ;     Child Loop BB139_3 Depth 2
	s_mov_b64 s[20:21], 0
	v_mov_b32_e32 v4, v2
	v_mov_b32_e32 v8, v6
	v_mov_b32_e32 v9, v7
.LBB139_3:                              ;   Parent Loop BB139_2 Depth=1
                                        ; =>  This Inner Loop Header: Depth=2
	v_ashrrev_i32_e32 v5, 31, v4
	v_lshlrev_b64 v[10:11], 3, v[4:5]
	v_add_co_u32_e32 v10, vcc, s38, v10
	v_addc_co_u32_e32 v11, vcc, v3, v11, vcc
	global_load_dwordx2 v[10:11], v[10:11], off
	v_add_u32_e32 v9, 1, v9
	v_cmp_le_i32_e32 vcc, s10, v9
	v_add_u32_e32 v4, s33, v4
	s_or_b64 s[20:21], vcc, s[20:21]
	s_waitcnt vmcnt(0)
	ds_write_b64 v8, v[10:11]
	v_add_u32_e32 v8, s22, v8
	s_andn2_b64 exec, exec, s[20:21]
	s_cbranch_execnz .LBB139_3
; %bb.4:                                ;   in Loop: Header=BB139_2 Depth=1
	s_or_b64 exec, exec, s[20:21]
	v_add_u32_e32 v7, s11, v7
	v_cmp_le_i32_e32 vcc, s10, v7
	v_add_u32_e32 v6, s23, v6
	s_or_b64 s[18:19], vcc, s[18:19]
	v_add_u32_e32 v2, s24, v2
	s_andn2_b64 exec, exec, s[18:19]
	s_cbranch_execnz .LBB139_2
.LBB139_5:
	s_or_b64 exec, exec, s[16:17]
	s_cmp_lt_i32 s10, 2
	s_waitcnt lgkmcnt(0)
	s_barrier
	s_cbranch_scc1 .LBB139_29
; %bb.6:
	s_load_dwordx2 s[4:5], s[4:5], 0x18
	s_mul_i32 s15, s2, s15
	s_mul_hi_u32 s18, s2, s14
	s_mul_i32 s3, s3, s14
	s_mul_i32 s2, s2, s14
	s_waitcnt lgkmcnt(0)
	s_ashr_i32 s17, s4, 31
	s_mov_b32 s16, s4
	s_lshl_b64 s[22:23], s[16:17], 3
	s_add_u32 s16, s6, s22
	s_addc_u32 s17, s7, s23
	s_add_i32 s4, s18, s15
	s_add_i32 s3, s4, s3
	s_lshl_b64 s[2:3], s[2:3], 3
	s_add_u32 s4, s12, s2
	s_addc_u32 s40, s13, s3
	s_lshl_b32 s41, s10, 3
	s_add_i32 s42, s41, 0
	s_cmpk_lg_i32 s8, 0xb5
	s_cselect_b64 s[14:15], -1, 0
	s_add_u32 s8, s22, 8
	v_add_u32_e32 v4, 8, v1
	s_mov_b32 s13, 0
	s_addc_u32 s43, s23, 0
	s_ashr_i32 s3, s5, 31
	s_mov_b32 s2, s5
	v_mov_b32_e32 v3, s23
	v_add_co_u32_e32 v2, vcc, s22, v1
	v_mul_lo_u32 v4, s10, v4
	s_add_i32 s47, s41, 8
	s_mov_b32 s12, 1
	s_lshl_b32 s18, s5, 1
	s_lshl_b64 s[20:21], s[2:3], 3
	v_addc_co_u32_e32 v3, vcc, 0, v3, vcc
	s_lshl_b32 s44, s11, 3
	s_mov_b32 s45, s13
	v_mul_lo_u32 v10, v0, s5
	s_mul_i32 s46, s5, s11
	v_add3_u32 v11, v4, v1, 0
	s_mul_i32 s47, s47, s11
	v_add_u32_e32 v12, 0, v1
	s_mov_b32 s22, s5
	s_branch .LBB139_8
.LBB139_7:                              ;   in Loop: Header=BB139_8 Depth=1
	s_or_b64 exec, exec, s[2:3]
	s_add_i32 s12, s12, 1
	s_add_u32 s8, s8, 8
	s_addc_u32 s43, s43, 0
	s_add_i32 s18, s18, s5
	s_add_u32 s16, s16, 8
	s_addc_u32 s17, s17, 0
	s_add_i32 s22, s22, s5
	s_cmp_eq_u32 s12, s10
	s_waitcnt lgkmcnt(0)
	s_barrier
	s_cbranch_scc1 .LBB139_29
.LBB139_8:                              ; =>This Loop Header: Depth=1
                                        ;     Child Loop BB139_12 Depth 2
                                        ;       Child Loop BB139_14 Depth 3
                                        ;     Child Loop BB139_20 Depth 2
                                        ;       Child Loop BB139_22 Depth 3
	;; [unrolled: 2-line block ×3, first 2 shown]
	s_mul_i32 s2, s12, s10
	s_not_b32 s49, s12
	s_lshl_b32 s2, s2, 3
	s_add_i32 s49, s49, s9
	s_add_i32 s48, s42, s2
	s_mov_b64 s[24:25], -1
	s_and_b64 vcc, exec, s[14:15]
	v_cmp_gt_u32_e64 s[2:3], s12, v0
	s_cbranch_vccz .LBB139_16
; %bb.9:                                ;   in Loop: Header=BB139_8 Depth=1
	s_and_saveexec_b64 s[24:25], s[2:3]
	s_cbranch_execz .LBB139_15
; %bb.10:                               ;   in Loop: Header=BB139_8 Depth=1
	s_ashr_i32 s19, s18, 31
	s_lshl_b64 s[2:3], s[18:19], 3
	s_add_u32 s26, s6, s2
	s_addc_u32 s27, s7, s3
	s_cmp_gt_i32 s49, 0
	s_cselect_b64 s[2:3], -1, 0
	s_lshl_b64 s[28:29], s[12:13], 3
	s_add_u32 s28, s4, s28
	s_addc_u32 s29, s40, s29
	s_load_dwordx2 s[28:29], s[28:29], 0x0
	v_cndmask_b32_e64 v4, 0, 1, s[2:3]
	s_mov_b64 s[30:31], 0
	v_cmp_ne_u32_e64 s[2:3], 1, v4
	v_pk_mov_b32 v[4:5], v[2:3], v[2:3] op_sel:[0,1]
	s_waitcnt lgkmcnt(0)
	s_mov_b32 s34, s28
	s_mov_b32 s35, s28
	;; [unrolled: 1-line block ×3, first 2 shown]
	v_mov_b32_e32 v8, v0
	s_branch .LBB139_12
.LBB139_11:                             ;   in Loop: Header=BB139_12 Depth=2
	v_lshlrev_b32_e32 v9, 3, v8
	v_add_u32_e32 v13, s48, v9
	ds_read_b64 v[16:17], v13
	v_pk_mul_f32 v[14:15], v[6:7], s[28:29]
	v_pk_fma_f32 v[18:19], v[6:7], s[34:35], v[14:15] op_sel:[0,0,1] op_sel_hi:[1,1,0] neg_lo:[0,0,1] neg_hi:[0,0,1]
	v_pk_fma_f32 v[6:7], v[6:7], s[34:35], v[14:15] op_sel:[0,0,1] op_sel_hi:[1,1,0]
	v_mov_b32_e32 v19, v7
	v_add_u32_e32 v8, s11, v8
	v_add_u32_e32 v9, 0, v9
	s_waitcnt lgkmcnt(0)
	v_pk_add_f32 v[6:7], v[16:17], v[18:19]
	v_cmp_le_u32_e32 vcc, s12, v8
	ds_write_b64 v9, v[6:7]
	v_mov_b32_e32 v6, s45
	s_or_b64 s[30:31], vcc, s[30:31]
	v_add_co_u32_e32 v4, vcc, s44, v4
	v_addc_co_u32_e32 v5, vcc, v5, v6, vcc
	s_andn2_b64 exec, exec, s[30:31]
	s_cbranch_execz .LBB139_15
.LBB139_12:                             ;   Parent Loop BB139_8 Depth=1
                                        ; =>  This Loop Header: Depth=2
                                        ;       Child Loop BB139_14 Depth 3
	v_mov_b32_e32 v7, 0
	s_and_b64 vcc, exec, s[2:3]
	v_mov_b32_e32 v6, v7
	s_cbranch_vccnz .LBB139_11
; %bb.13:                               ;   in Loop: Header=BB139_12 Depth=2
	v_mov_b32_e32 v6, 0
	s_mov_b32 s19, 0
	s_mov_b64 s[36:37], s[26:27]
	v_mov_b32_e32 v7, v6
.LBB139_14:                             ;   Parent Loop BB139_8 Depth=1
                                        ;     Parent Loop BB139_12 Depth=2
                                        ; =>    This Inner Loop Header: Depth=3
	v_mov_b32_e32 v9, s37
	v_add_co_u32_e32 v14, vcc, s36, v4
	v_addc_co_u32_e32 v15, vcc, v9, v5, vcc
	global_load_dwordx2 v[14:15], v[14:15], off
	s_add_u32 s50, s36, s8
	s_addc_u32 s51, s37, s43
	s_load_dwordx2 s[50:51], s[50:51], 0x0
	s_add_i32 s19, s19, 1
	s_add_u32 s36, s36, s20
	s_addc_u32 s37, s37, s21
	s_cmp_ge_i32 s19, s49
	s_waitcnt vmcnt(0) lgkmcnt(0)
	v_pk_mul_f32 v[16:17], s[50:51], v[14:15] op_sel:[0,1]
	v_pk_fma_f32 v[18:19], s[50:51], v[14:15], v[16:17] op_sel:[0,0,1] op_sel_hi:[1,1,0]
	v_pk_fma_f32 v[14:15], s[50:51], v[14:15], v[16:17] op_sel:[0,0,1] op_sel_hi:[1,0,0] neg_lo:[1,0,0] neg_hi:[1,0,0]
	v_mov_b32_e32 v19, v15
	v_pk_add_f32 v[6:7], v[6:7], v[18:19]
	s_cbranch_scc0 .LBB139_14
	s_branch .LBB139_11
.LBB139_15:                             ;   in Loop: Header=BB139_8 Depth=1
	s_or_b64 exec, exec, s[24:25]
	s_mov_b64 s[24:25], 0
.LBB139_16:                             ;   in Loop: Header=BB139_8 Depth=1
	s_andn2_b64 vcc, exec, s[24:25]
	s_cbranch_vccnz .LBB139_24
; %bb.17:                               ;   in Loop: Header=BB139_8 Depth=1
	v_cmp_gt_u32_e32 vcc, s12, v0
	s_and_saveexec_b64 s[2:3], vcc
	s_cbranch_execz .LBB139_23
; %bb.18:                               ;   in Loop: Header=BB139_8 Depth=1
	s_ashr_i32 s23, s22, 31
	s_lshl_b64 s[24:25], s[22:23], 3
	s_add_u32 s19, s24, 16
	s_addc_u32 s23, s25, 0
	s_cmp_gt_i32 s49, 0
	s_cselect_b64 s[24:25], -1, 0
	s_lshl_b64 s[26:27], s[12:13], 3
	s_add_u32 s26, s4, s26
	s_addc_u32 s27, s40, s27
	s_load_dwordx2 s[26:27], s[26:27], 0x0
	s_mov_b64 s[28:29], 0
	v_mov_b32_e32 v4, v10
	v_mov_b32_e32 v13, v0
	s_waitcnt lgkmcnt(0)
	s_mov_b32 s30, s26
	s_mov_b32 s31, s26
	;; [unrolled: 1-line block ×3, first 2 shown]
	s_branch .LBB139_20
.LBB139_19:                             ;   in Loop: Header=BB139_20 Depth=2
	v_lshlrev_b32_e32 v5, 3, v13
	v_add_u32_e32 v14, s48, v5
	ds_read_b64 v[14:15], v14
	v_pk_mul_f32 v[8:9], v[6:7], s[26:27]
	v_pk_fma_f32 v[16:17], v[6:7], s[30:31], v[8:9] op_sel:[0,0,1] op_sel_hi:[1,1,0] neg_lo:[0,0,1] neg_hi:[0,0,1]
	v_pk_fma_f32 v[6:7], v[6:7], s[30:31], v[8:9] op_sel:[0,0,1] op_sel_hi:[1,1,0]
	v_add_u32_e32 v13, s11, v13
	v_mov_b32_e32 v17, v7
	v_cmp_le_u32_e32 vcc, s12, v13
	v_add_u32_e32 v5, 0, v5
	s_waitcnt lgkmcnt(0)
	v_pk_add_f32 v[6:7], v[14:15], v[16:17]
	s_or_b64 s[28:29], vcc, s[28:29]
	v_add_u32_e32 v4, s46, v4
	ds_write_b64 v5, v[6:7]
	s_andn2_b64 exec, exec, s[28:29]
	s_cbranch_execz .LBB139_23
.LBB139_20:                             ;   Parent Loop BB139_8 Depth=1
                                        ; =>  This Loop Header: Depth=2
                                        ;       Child Loop BB139_22 Depth 3
	v_mov_b32_e32 v7, 0
	s_andn2_b64 vcc, exec, s[24:25]
	v_mov_b32_e32 v6, v7
	s_cbranch_vccnz .LBB139_19
; %bb.21:                               ;   in Loop: Header=BB139_20 Depth=2
	v_ashrrev_i32_e32 v5, 31, v4
	v_mov_b32_e32 v6, 0
	v_lshlrev_b64 v[8:9], 3, v[4:5]
	s_mov_b32 s36, 0
	s_mov_b64 s[34:35], s[16:17]
	v_mov_b32_e32 v7, v6
.LBB139_22:                             ;   Parent Loop BB139_8 Depth=1
                                        ;     Parent Loop BB139_20 Depth=2
                                        ; =>    This Inner Loop Header: Depth=3
	v_mov_b32_e32 v5, s35
	v_add_co_u32_e32 v14, vcc, s34, v8
	v_addc_co_u32_e32 v15, vcc, v5, v9, vcc
	global_load_dwordx2 v[14:15], v[14:15], off offset:16
	s_add_u32 s50, s34, s19
	s_addc_u32 s51, s35, s23
	s_load_dwordx2 s[50:51], s[50:51], 0x0
	s_add_i32 s36, s36, 1
	s_add_u32 s34, s34, 8
	s_addc_u32 s35, s35, 0
	s_cmp_ge_i32 s36, s49
	s_waitcnt vmcnt(0) lgkmcnt(0)
	v_pk_mul_f32 v[16:17], v[14:15], s[50:51] op_sel:[1,0]
	v_pk_fma_f32 v[18:19], v[14:15], s[50:51], v[16:17] op_sel:[0,0,1] op_sel_hi:[1,1,0]
	v_pk_fma_f32 v[14:15], v[14:15], s[50:51], v[16:17] op_sel:[0,0,1] op_sel_hi:[0,1,0] neg_lo:[0,0,1] neg_hi:[0,0,1]
	v_mov_b32_e32 v19, v15
	v_pk_add_f32 v[6:7], v[6:7], v[18:19]
	s_cbranch_scc0 .LBB139_22
	s_branch .LBB139_19
.LBB139_23:                             ;   in Loop: Header=BB139_8 Depth=1
	s_or_b64 exec, exec, s[2:3]
.LBB139_24:                             ;   in Loop: Header=BB139_8 Depth=1
	v_cmp_gt_u32_e32 vcc, s12, v0
	s_waitcnt lgkmcnt(0)
	s_barrier
	s_and_saveexec_b64 s[2:3], vcc
	s_cbranch_execz .LBB139_7
; %bb.25:                               ;   in Loop: Header=BB139_8 Depth=1
	s_mov_b64 s[24:25], 0
	v_mov_b32_e32 v6, v12
	v_mov_b32_e32 v7, v11
	;; [unrolled: 1-line block ×3, first 2 shown]
.LBB139_26:                             ;   Parent Loop BB139_8 Depth=1
                                        ; =>  This Loop Header: Depth=2
                                        ;       Child Loop BB139_27 Depth 3
	v_mov_b32_e32 v4, 0
	s_mov_b64 s[26:27], 0
	v_mov_b32_e32 v9, v6
	v_mov_b32_e32 v13, v7
	;; [unrolled: 1-line block ×4, first 2 shown]
.LBB139_27:                             ;   Parent Loop BB139_8 Depth=1
                                        ;     Parent Loop BB139_26 Depth=2
                                        ; =>    This Inner Loop Header: Depth=3
	ds_read_b64 v[16:17], v13
	ds_read_b64 v[18:19], v9
	v_add_u32_e32 v14, 1, v14
	v_cmp_le_u32_e32 vcc, s12, v14
	v_add_u32_e32 v13, s41, v13
	v_add_u32_e32 v9, 8, v9
	s_waitcnt lgkmcnt(0)
	v_pk_mul_f32 v[20:21], v[18:19], v[16:17] op_sel:[0,1]
	v_pk_fma_f32 v[22:23], v[18:19], v[16:17], v[20:21] op_sel:[0,0,1] op_sel_hi:[1,1,0] neg_lo:[0,0,1] neg_hi:[0,0,1]
	v_pk_fma_f32 v[16:17], v[18:19], v[16:17], v[20:21] op_sel:[0,0,1] op_sel_hi:[1,0,0]
	v_mov_b32_e32 v23, v17
	s_or_b64 s[26:27], vcc, s[26:27]
	v_pk_add_f32 v[4:5], v[4:5], v[22:23]
	s_andn2_b64 exec, exec, s[26:27]
	s_cbranch_execnz .LBB139_27
; %bb.28:                               ;   in Loop: Header=BB139_26 Depth=2
	s_or_b64 exec, exec, s[26:27]
	v_lshl_add_u32 v9, v8, 3, s48
	v_add_u32_e32 v8, s11, v8
	v_cmp_le_u32_e32 vcc, s12, v8
	v_add_u32_e32 v7, s47, v7
	s_or_b64 s[24:25], vcc, s[24:25]
	v_add_u32_e32 v6, s44, v6
	ds_write_b64 v9, v[4:5]
	s_andn2_b64 exec, exec, s[24:25]
	s_cbranch_execnz .LBB139_26
	s_branch .LBB139_7
.LBB139_29:
	s_and_saveexec_b64 s[2:3], s[0:1]
	s_cbranch_execz .LBB139_34
; %bb.30:
	v_mad_u64_u32 v[2:3], s[0:1], v0, s33, v[0:1]
	v_add_u32_e32 v3, 8, v1
	s_lshl_b32 s7, s10, 3
	s_add_i32 s6, s33, 1
	v_mul_lo_u32 v3, s10, v3
	s_add_i32 s8, s7, 8
	s_mul_i32 s6, s6, s11
	v_add3_u32 v1, v3, v1, 0
	s_mul_i32 s8, s8, s11
	s_mov_b64 s[2:3], 0
	v_mov_b32_e32 v3, s39
.LBB139_31:                             ; =>This Loop Header: Depth=1
                                        ;     Child Loop BB139_32 Depth 2
	s_mov_b64 s[4:5], 0
	v_mov_b32_e32 v6, v1
	v_mov_b32_e32 v4, v2
	;; [unrolled: 1-line block ×3, first 2 shown]
.LBB139_32:                             ;   Parent Loop BB139_31 Depth=1
                                        ; =>  This Inner Loop Header: Depth=2
	ds_read_b64 v[8:9], v6
	v_ashrrev_i32_e32 v5, 31, v4
	v_add_u32_e32 v7, 1, v7
	v_lshlrev_b64 v[10:11], 3, v[4:5]
	v_cmp_le_i32_e32 vcc, s10, v7
	v_add_co_u32_e64 v10, s[0:1], s38, v10
	v_add_u32_e32 v6, s7, v6
	v_add_u32_e32 v4, s33, v4
	v_addc_co_u32_e64 v11, s[0:1], v3, v11, s[0:1]
	s_or_b64 s[4:5], vcc, s[4:5]
	s_waitcnt lgkmcnt(0)
	global_store_dwordx2 v[10:11], v[8:9], off
	s_andn2_b64 exec, exec, s[4:5]
	s_cbranch_execnz .LBB139_32
; %bb.33:                               ;   in Loop: Header=BB139_31 Depth=1
	s_or_b64 exec, exec, s[4:5]
	v_add_u32_e32 v0, s11, v0
	v_cmp_le_i32_e32 vcc, s10, v0
	v_add_u32_e32 v2, s6, v2
	s_or_b64 s[2:3], vcc, s[2:3]
	v_add_u32_e32 v1, s8, v1
	s_andn2_b64 exec, exec, s[2:3]
	s_cbranch_execnz .LBB139_31
.LBB139_34:
	s_endpgm
	.section	.rodata,"a",@progbits
	.p2align	6, 0x0
	.amdhsa_kernel _ZN9rocsolver6v33100L20larft_kernel_forwardI19rocblas_complex_numIfEPKPS3_EEv15rocblas_storev_iiT0_iilPT_lSA_il
		.amdhsa_group_segment_fixed_size 0
		.amdhsa_private_segment_fixed_size 0
		.amdhsa_kernarg_size 336
		.amdhsa_user_sgpr_count 6
		.amdhsa_user_sgpr_private_segment_buffer 1
		.amdhsa_user_sgpr_dispatch_ptr 0
		.amdhsa_user_sgpr_queue_ptr 0
		.amdhsa_user_sgpr_kernarg_segment_ptr 1
		.amdhsa_user_sgpr_dispatch_id 0
		.amdhsa_user_sgpr_flat_scratch_init 0
		.amdhsa_user_sgpr_kernarg_preload_length 0
		.amdhsa_user_sgpr_kernarg_preload_offset 0
		.amdhsa_user_sgpr_private_segment_size 0
		.amdhsa_uses_dynamic_stack 0
		.amdhsa_system_sgpr_private_segment_wavefront_offset 0
		.amdhsa_system_sgpr_workgroup_id_x 1
		.amdhsa_system_sgpr_workgroup_id_y 1
		.amdhsa_system_sgpr_workgroup_id_z 0
		.amdhsa_system_sgpr_workgroup_info 0
		.amdhsa_system_vgpr_workitem_id 0
		.amdhsa_next_free_vgpr 24
		.amdhsa_next_free_sgpr 52
		.amdhsa_accum_offset 24
		.amdhsa_reserve_vcc 1
		.amdhsa_reserve_flat_scratch 0
		.amdhsa_float_round_mode_32 0
		.amdhsa_float_round_mode_16_64 0
		.amdhsa_float_denorm_mode_32 3
		.amdhsa_float_denorm_mode_16_64 3
		.amdhsa_dx10_clamp 1
		.amdhsa_ieee_mode 1
		.amdhsa_fp16_overflow 0
		.amdhsa_tg_split 0
		.amdhsa_exception_fp_ieee_invalid_op 0
		.amdhsa_exception_fp_denorm_src 0
		.amdhsa_exception_fp_ieee_div_zero 0
		.amdhsa_exception_fp_ieee_overflow 0
		.amdhsa_exception_fp_ieee_underflow 0
		.amdhsa_exception_fp_ieee_inexact 0
		.amdhsa_exception_int_div_zero 0
	.end_amdhsa_kernel
	.section	.text._ZN9rocsolver6v33100L20larft_kernel_forwardI19rocblas_complex_numIfEPKPS3_EEv15rocblas_storev_iiT0_iilPT_lSA_il,"axG",@progbits,_ZN9rocsolver6v33100L20larft_kernel_forwardI19rocblas_complex_numIfEPKPS3_EEv15rocblas_storev_iiT0_iilPT_lSA_il,comdat
.Lfunc_end139:
	.size	_ZN9rocsolver6v33100L20larft_kernel_forwardI19rocblas_complex_numIfEPKPS3_EEv15rocblas_storev_iiT0_iilPT_lSA_il, .Lfunc_end139-_ZN9rocsolver6v33100L20larft_kernel_forwardI19rocblas_complex_numIfEPKPS3_EEv15rocblas_storev_iiT0_iilPT_lSA_il
                                        ; -- End function
	.section	.AMDGPU.csdata,"",@progbits
; Kernel info:
; codeLenInByte = 1692
; NumSgprs: 56
; NumVgprs: 24
; NumAgprs: 0
; TotalNumVgprs: 24
; ScratchSize: 0
; MemoryBound: 0
; FloatMode: 240
; IeeeMode: 1
; LDSByteSize: 0 bytes/workgroup (compile time only)
; SGPRBlocks: 6
; VGPRBlocks: 2
; NumSGPRsForWavesPerEU: 56
; NumVGPRsForWavesPerEU: 24
; AccumOffset: 24
; Occupancy: 8
; WaveLimiterHint : 0
; COMPUTE_PGM_RSRC2:SCRATCH_EN: 0
; COMPUTE_PGM_RSRC2:USER_SGPR: 6
; COMPUTE_PGM_RSRC2:TRAP_HANDLER: 0
; COMPUTE_PGM_RSRC2:TGID_X_EN: 1
; COMPUTE_PGM_RSRC2:TGID_Y_EN: 1
; COMPUTE_PGM_RSRC2:TGID_Z_EN: 0
; COMPUTE_PGM_RSRC2:TIDIG_COMP_CNT: 0
; COMPUTE_PGM_RSRC3_GFX90A:ACCUM_OFFSET: 5
; COMPUTE_PGM_RSRC3_GFX90A:TG_SPLIT: 0
	.section	.text._ZN9rocsolver6v33100L13conj_in_placeI19rocblas_complex_numIfEiPKPS3_TnNSt9enable_ifIX18rocblas_is_complexIT_EEiE4typeELi0EEEvT0_SB_T1_lSB_l,"axG",@progbits,_ZN9rocsolver6v33100L13conj_in_placeI19rocblas_complex_numIfEiPKPS3_TnNSt9enable_ifIX18rocblas_is_complexIT_EEiE4typeELi0EEEvT0_SB_T1_lSB_l,comdat
	.globl	_ZN9rocsolver6v33100L13conj_in_placeI19rocblas_complex_numIfEiPKPS3_TnNSt9enable_ifIX18rocblas_is_complexIT_EEiE4typeELi0EEEvT0_SB_T1_lSB_l ; -- Begin function _ZN9rocsolver6v33100L13conj_in_placeI19rocblas_complex_numIfEiPKPS3_TnNSt9enable_ifIX18rocblas_is_complexIT_EEiE4typeELi0EEEvT0_SB_T1_lSB_l
	.p2align	8
	.type	_ZN9rocsolver6v33100L13conj_in_placeI19rocblas_complex_numIfEiPKPS3_TnNSt9enable_ifIX18rocblas_is_complexIT_EEiE4typeELi0EEEvT0_SB_T1_lSB_l,@function
_ZN9rocsolver6v33100L13conj_in_placeI19rocblas_complex_numIfEiPKPS3_TnNSt9enable_ifIX18rocblas_is_complexIT_EEiE4typeELi0EEEvT0_SB_T1_lSB_l: ; @_ZN9rocsolver6v33100L13conj_in_placeI19rocblas_complex_numIfEiPKPS3_TnNSt9enable_ifIX18rocblas_is_complexIT_EEiE4typeELi0EEEvT0_SB_T1_lSB_l
; %bb.0:
	s_load_dword s2, s[4:5], 0x34
	s_load_dwordx2 s[0:1], s[4:5], 0x0
	v_and_b32_e32 v1, 0x3ff, v0
	v_bfe_u32 v0, v0, 10, 10
	s_waitcnt lgkmcnt(0)
	s_lshr_b32 s3, s2, 16
	s_and_b32 s2, s2, 0xffff
	s_mul_i32 s6, s6, s2
	s_mul_i32 s7, s7, s3
	v_add_u32_e32 v2, s6, v1
	v_add_u32_e32 v0, s7, v0
	v_cmp_gt_i32_e32 vcc, s0, v2
	v_cmp_gt_i32_e64 s[0:1], s1, v0
	s_and_b64 s[0:1], vcc, s[0:1]
	s_and_saveexec_b64 s[2:3], s[0:1]
	s_cbranch_execz .LBB140_2
; %bb.1:
	s_load_dwordx4 s[0:3], s[4:5], 0x8
	s_load_dword s6, s[4:5], 0x18
	s_ashr_i32 s9, s8, 31
	s_lshl_b64 s[4:5], s[8:9], 3
	v_ashrrev_i32_e32 v3, 31, v2
	s_waitcnt lgkmcnt(0)
	s_add_u32 s0, s0, s4
	s_addc_u32 s1, s1, s5
	s_load_dwordx2 s[0:1], s[0:1], 0x0
	s_lshl_b64 s[2:3], s[2:3], 3
	v_mad_i64_i32 v[0:1], s[4:5], v0, s6, 0
	v_lshlrev_b64 v[4:5], 3, v[0:1]
	s_waitcnt lgkmcnt(0)
	s_add_u32 s0, s0, s2
	s_addc_u32 s1, s1, s3
	v_mov_b32_e32 v1, s1
	v_add_co_u32_e32 v6, vcc, s0, v4
	v_addc_co_u32_e32 v1, vcc, v1, v5, vcc
	v_lshlrev_b64 v[4:5], 3, v[2:3]
	v_add_co_u32_e32 v4, vcc, v6, v4
	v_addc_co_u32_e32 v5, vcc, v1, v5, vcc
	global_load_dwordx2 v[4:5], v[4:5], off
	v_add_u32_e32 v0, v0, v2
	v_ashrrev_i32_e32 v1, 31, v0
	v_lshlrev_b64 v[0:1], 3, v[0:1]
	v_mov_b32_e32 v2, s1
	v_add_co_u32_e32 v0, vcc, s0, v0
	v_addc_co_u32_e32 v1, vcc, v2, v1, vcc
	s_waitcnt vmcnt(0)
	v_xor_b32_e32 v5, 0x80000000, v5
	global_store_dwordx2 v[0:1], v[4:5], off
.LBB140_2:
	s_endpgm
	.section	.rodata,"a",@progbits
	.p2align	6, 0x0
	.amdhsa_kernel _ZN9rocsolver6v33100L13conj_in_placeI19rocblas_complex_numIfEiPKPS3_TnNSt9enable_ifIX18rocblas_is_complexIT_EEiE4typeELi0EEEvT0_SB_T1_lSB_l
		.amdhsa_group_segment_fixed_size 0
		.amdhsa_private_segment_fixed_size 0
		.amdhsa_kernarg_size 296
		.amdhsa_user_sgpr_count 6
		.amdhsa_user_sgpr_private_segment_buffer 1
		.amdhsa_user_sgpr_dispatch_ptr 0
		.amdhsa_user_sgpr_queue_ptr 0
		.amdhsa_user_sgpr_kernarg_segment_ptr 1
		.amdhsa_user_sgpr_dispatch_id 0
		.amdhsa_user_sgpr_flat_scratch_init 0
		.amdhsa_user_sgpr_kernarg_preload_length 0
		.amdhsa_user_sgpr_kernarg_preload_offset 0
		.amdhsa_user_sgpr_private_segment_size 0
		.amdhsa_uses_dynamic_stack 0
		.amdhsa_system_sgpr_private_segment_wavefront_offset 0
		.amdhsa_system_sgpr_workgroup_id_x 1
		.amdhsa_system_sgpr_workgroup_id_y 1
		.amdhsa_system_sgpr_workgroup_id_z 1
		.amdhsa_system_sgpr_workgroup_info 0
		.amdhsa_system_vgpr_workitem_id 1
		.amdhsa_next_free_vgpr 7
		.amdhsa_next_free_sgpr 10
		.amdhsa_accum_offset 8
		.amdhsa_reserve_vcc 1
		.amdhsa_reserve_flat_scratch 0
		.amdhsa_float_round_mode_32 0
		.amdhsa_float_round_mode_16_64 0
		.amdhsa_float_denorm_mode_32 3
		.amdhsa_float_denorm_mode_16_64 3
		.amdhsa_dx10_clamp 1
		.amdhsa_ieee_mode 1
		.amdhsa_fp16_overflow 0
		.amdhsa_tg_split 0
		.amdhsa_exception_fp_ieee_invalid_op 0
		.amdhsa_exception_fp_denorm_src 0
		.amdhsa_exception_fp_ieee_div_zero 0
		.amdhsa_exception_fp_ieee_overflow 0
		.amdhsa_exception_fp_ieee_underflow 0
		.amdhsa_exception_fp_ieee_inexact 0
		.amdhsa_exception_int_div_zero 0
	.end_amdhsa_kernel
	.section	.text._ZN9rocsolver6v33100L13conj_in_placeI19rocblas_complex_numIfEiPKPS3_TnNSt9enable_ifIX18rocblas_is_complexIT_EEiE4typeELi0EEEvT0_SB_T1_lSB_l,"axG",@progbits,_ZN9rocsolver6v33100L13conj_in_placeI19rocblas_complex_numIfEiPKPS3_TnNSt9enable_ifIX18rocblas_is_complexIT_EEiE4typeELi0EEEvT0_SB_T1_lSB_l,comdat
.Lfunc_end140:
	.size	_ZN9rocsolver6v33100L13conj_in_placeI19rocblas_complex_numIfEiPKPS3_TnNSt9enable_ifIX18rocblas_is_complexIT_EEiE4typeELi0EEEvT0_SB_T1_lSB_l, .Lfunc_end140-_ZN9rocsolver6v33100L13conj_in_placeI19rocblas_complex_numIfEiPKPS3_TnNSt9enable_ifIX18rocblas_is_complexIT_EEiE4typeELi0EEEvT0_SB_T1_lSB_l
                                        ; -- End function
	.section	.AMDGPU.csdata,"",@progbits
; Kernel info:
; codeLenInByte = 256
; NumSgprs: 14
; NumVgprs: 7
; NumAgprs: 0
; TotalNumVgprs: 7
; ScratchSize: 0
; MemoryBound: 0
; FloatMode: 240
; IeeeMode: 1
; LDSByteSize: 0 bytes/workgroup (compile time only)
; SGPRBlocks: 1
; VGPRBlocks: 0
; NumSGPRsForWavesPerEU: 14
; NumVGPRsForWavesPerEU: 7
; AccumOffset: 8
; Occupancy: 8
; WaveLimiterHint : 1
; COMPUTE_PGM_RSRC2:SCRATCH_EN: 0
; COMPUTE_PGM_RSRC2:USER_SGPR: 6
; COMPUTE_PGM_RSRC2:TRAP_HANDLER: 0
; COMPUTE_PGM_RSRC2:TGID_X_EN: 1
; COMPUTE_PGM_RSRC2:TGID_Y_EN: 1
; COMPUTE_PGM_RSRC2:TGID_Z_EN: 1
; COMPUTE_PGM_RSRC2:TIDIG_COMP_CNT: 1
; COMPUTE_PGM_RSRC3_GFX90A:ACCUM_OFFSET: 1
; COMPUTE_PGM_RSRC3_GFX90A:TG_SPLIT: 0
	.section	.text._ZN9rocsolver6v33100L21larft_kernel_backwardI19rocblas_complex_numIfEPKPS3_EEv15rocblas_storev_iiT0_iilPT_lSA_il,"axG",@progbits,_ZN9rocsolver6v33100L21larft_kernel_backwardI19rocblas_complex_numIfEPKPS3_EEv15rocblas_storev_iiT0_iilPT_lSA_il,comdat
	.globl	_ZN9rocsolver6v33100L21larft_kernel_backwardI19rocblas_complex_numIfEPKPS3_EEv15rocblas_storev_iiT0_iilPT_lSA_il ; -- Begin function _ZN9rocsolver6v33100L21larft_kernel_backwardI19rocblas_complex_numIfEPKPS3_EEv15rocblas_storev_iiT0_iilPT_lSA_il
	.p2align	8
	.type	_ZN9rocsolver6v33100L21larft_kernel_backwardI19rocblas_complex_numIfEPKPS3_EEv15rocblas_storev_iiT0_iilPT_lSA_il,@function
_ZN9rocsolver6v33100L21larft_kernel_backwardI19rocblas_complex_numIfEPKPS3_EEv15rocblas_storev_iiT0_iilPT_lSA_il: ; @_ZN9rocsolver6v33100L21larft_kernel_backwardI19rocblas_complex_numIfEPKPS3_EEv15rocblas_storev_iiT0_iilPT_lSA_il
; %bb.0:
	s_mov_b32 s6, s7
	s_load_dword s30, s[4:5], 0x40
	s_load_dwordx2 s[0:1], s[4:5], 0x48
	s_load_dword s7, s[4:5], 0x5c
	s_load_dwordx4 s[8:11], s[4:5], 0x0
	s_load_dwordx2 s[2:3], s[4:5], 0x10
	s_load_dwordx4 s[12:15], s[4:5], 0x28
	s_load_dwordx2 s[16:17], s[4:5], 0x38
	s_waitcnt lgkmcnt(0)
	s_and_b32 s11, s7, 0xffff
	s_ashr_i32 s7, s6, 31
	s_lshl_b64 s[18:19], s[6:7], 3
	s_add_u32 s2, s2, s18
	s_addc_u32 s3, s3, s19
	s_mul_i32 s1, s6, s1
	s_mul_hi_u32 s18, s6, s0
	s_load_dwordx2 s[2:3], s[2:3], 0x0
	s_add_i32 s1, s18, s1
	s_mul_i32 s18, s7, s0
	s_add_i32 s1, s1, s18
	s_mul_i32 s0, s6, s0
	s_lshl_b64 s[0:1], s[0:1], 3
	s_add_u32 s31, s16, s0
	s_addc_u32 s33, s17, s1
	v_cmp_gt_i32_e64 s[0:1], s10, v0
	v_add_u32_e32 v1, 1, v0
	s_and_saveexec_b64 s[16:17], s[0:1]
	s_cbranch_execz .LBB141_5
; %bb.1:
	s_lshl_b32 s22, s10, 3
	s_add_i32 s18, s22, 0
	v_add_u32_e32 v4, 1, v0
	v_lshl_add_u32 v5, v0, 3, s18
	s_lshl_b32 s23, s11, 3
	s_mov_b64 s[18:19], 0
	v_mov_b32_e32 v6, s33
	v_mov_b32_e32 v7, v0
.LBB141_2:                              ; =>This Loop Header: Depth=1
                                        ;     Child Loop BB141_3 Depth 2
	s_mov_b64 s[20:21], 0
	v_mov_b32_e32 v2, v7
	v_mov_b32_e32 v8, v5
	s_mov_b32 s24, 0
.LBB141_3:                              ;   Parent Loop BB141_2 Depth=1
                                        ; =>  This Inner Loop Header: Depth=2
	v_ashrrev_i32_e32 v3, 31, v2
	v_lshlrev_b64 v[10:11], 3, v[2:3]
	v_add_co_u32_e32 v10, vcc, s31, v10
	v_addc_co_u32_e32 v11, vcc, v6, v11, vcc
	global_load_dwordx2 v[10:11], v[10:11], off
	s_add_i32 s24, s24, 1
	v_cmp_eq_u32_e32 vcc, s24, v4
	v_add_u32_e32 v2, s30, v2
	s_or_b64 s[20:21], vcc, s[20:21]
	s_waitcnt vmcnt(0)
	ds_write_b64 v8, v[10:11]
	v_add_u32_e32 v8, s22, v8
	s_andn2_b64 exec, exec, s[20:21]
	s_cbranch_execnz .LBB141_3
; %bb.4:                                ;   in Loop: Header=BB141_2 Depth=1
	s_or_b64 exec, exec, s[20:21]
	v_add_u32_e32 v7, s11, v7
	v_cmp_le_i32_e32 vcc, s10, v7
	v_add_u32_e32 v4, s11, v4
	s_or_b64 s[18:19], vcc, s[18:19]
	v_add_u32_e32 v5, s23, v5
	s_andn2_b64 exec, exec, s[18:19]
	s_cbranch_execnz .LBB141_2
.LBB141_5:
	s_or_b64 exec, exec, s[16:17]
	s_cmp_lt_i32 s10, 2
	s_waitcnt lgkmcnt(0)
	s_barrier
	s_cbranch_scc1 .LBB141_29
; %bb.6:
	s_load_dwordx2 s[4:5], s[4:5], 0x18
	s_mul_i32 s15, s6, s15
	s_mul_hi_u32 s16, s6, s14
	s_add_i32 s15, s16, s15
	s_mul_i32 s6, s6, s14
	s_waitcnt lgkmcnt(0)
	s_ashr_i32 s17, s4, 31
	s_mov_b32 s16, s4
	s_mul_i32 s4, s7, s14
	s_add_i32 s7, s15, s4
	s_lshl_b64 s[6:7], s[6:7], 3
	s_add_u32 s4, s12, s6
	s_addc_u32 s34, s13, s7
	s_lshl_b32 s35, s10, 3
	s_add_i32 s36, s35, 0
	s_add_i32 s6, s10, -2
	s_sub_i32 s37, s9, s10
	s_mov_b32 s7, 0
	s_cmpk_lg_i32 s8, 0xb5
	s_cselect_b64 s[8:9], -1, 0
	s_lshl_b64 s[14:15], s[16:17], 3
	s_lshl_b64 s[16:17], s[6:7], 3
	s_add_u32 s12, s14, s16
	s_addc_u32 s13, s15, s17
	s_add_u32 s38, s2, s12
	s_addc_u32 s39, s3, s13
	s_ashr_i32 s13, s5, 31
	s_mov_b32 s12, s5
	s_lshl_b64 s[12:13], s[12:13], 3
	s_add_u32 s40, s2, s14
	s_addc_u32 s41, s3, s15
	s_add_u32 s2, s40, s16
	s_addc_u32 s3, s41, s17
	s_lshl_b32 s42, s11, 3
	v_lshlrev_b32_e32 v4, 3, v0
	s_add_u32 s44, s40, 4
	v_add_co_u32_e32 v3, vcc, s2, v4
	s_addc_u32 s45, s41, 0
	s_add_i32 s2, s10, -1
	v_mov_b32_e32 v2, s3
	s_mul_i32 s14, s5, s2
	s_add_i32 s2, s35, 8
	v_addc_co_u32_e32 v5, vcc, 0, v2, vcc
	s_mul_i32 s2, s10, s2
	v_add_co_u32_e32 v2, vcc, 8, v3
	s_add_i32 s2, s2, 0
	v_addc_co_u32_e32 v3, vcc, 0, v5, vcc
	s_mov_b32 s43, s7
	v_mul_lo_u32 v10, v0, s5
	s_mul_i32 s46, s5, s11
	s_mul_i32 s16, s5, s6
	v_add3_u32 v11, s2, v4, -8
	s_xor_b32 s47, s35, -8
	s_branch .LBB141_8
.LBB141_7:                              ;   in Loop: Header=BB141_8 Depth=1
	s_or_b64 exec, exec, s[2:3]
	s_add_i32 s2, s6, -1
	s_add_u32 s38, s38, -8
	s_addc_u32 s39, s39, -1
	v_add_co_u32_e32 v2, vcc, -8, v2
	s_sub_i32 s14, s14, s5
	s_sub_i32 s16, s16, s5
	v_addc_co_u32_e32 v3, vcc, -1, v3, vcc
	v_add_u32_e32 v11, s47, v11
	s_cmp_lt_i32 s6, 1
	s_mov_b32 s6, s2
	s_waitcnt lgkmcnt(0)
	s_barrier
	s_cbranch_scc1 .LBB141_29
.LBB141_8:                              ; =>This Loop Header: Depth=1
                                        ;     Child Loop BB141_12 Depth 2
                                        ;       Child Loop BB141_14 Depth 3
                                        ;     Child Loop BB141_20 Depth 2
                                        ;       Child Loop BB141_22 Depth 3
	;; [unrolled: 2-line block ×3, first 2 shown]
	s_lshl_b32 s2, s6, 3
	s_not_b32 s48, s6
	s_add_i32 s49, s36, s2
	s_mul_i32 s2, s6, s10
	s_add_i32 s48, s48, s10
	s_lshl_b32 s2, s2, 3
	s_add_i32 s50, s6, s37
	s_add_i32 s49, s49, s2
	s_mov_b64 s[18:19], -1
	s_and_b64 vcc, exec, s[8:9]
	v_cmp_gt_i32_e64 s[2:3], s48, v0
	s_cbranch_vccz .LBB141_16
; %bb.9:                                ;   in Loop: Header=BB141_8 Depth=1
	s_and_saveexec_b64 s[18:19], s[2:3]
	s_cbranch_execz .LBB141_15
; %bb.10:                               ;   in Loop: Header=BB141_8 Depth=1
	s_cmp_gt_i32 s50, 0
	s_cselect_b64 s[2:3], -1, 0
	s_lshl_b64 s[20:21], s[6:7], 3
	s_add_u32 s20, s4, s20
	s_addc_u32 s21, s34, s21
	s_load_dwordx2 s[20:21], s[20:21], 0x0
	v_cndmask_b32_e64 v4, 0, 1, s[2:3]
	s_add_i32 s15, s49, 8
	s_mov_b64 s[24:25], 0
	v_cmp_ne_u32_e64 s[2:3], 1, v4
	s_waitcnt lgkmcnt(0)
	s_mov_b32 s22, s20
	s_mov_b32 s23, s20
	;; [unrolled: 1-line block ×3, first 2 shown]
	v_pk_mov_b32 v[4:5], v[2:3], v[2:3] op_sel:[0,1]
	v_mov_b32_e32 v8, v0
	s_branch .LBB141_12
.LBB141_11:                             ;   in Loop: Header=BB141_12 Depth=2
	v_lshlrev_b32_e32 v9, 3, v8
	v_add_u32_e32 v14, s15, v9
	ds_read_b64 v[14:15], v14
	v_pk_mul_f32 v[12:13], v[6:7], s[20:21]
	v_pk_fma_f32 v[16:17], v[6:7], s[22:23], v[12:13] op_sel:[0,0,1] op_sel_hi:[1,1,0] neg_lo:[0,0,1] neg_hi:[0,0,1]
	v_pk_fma_f32 v[6:7], v[6:7], s[22:23], v[12:13] op_sel:[0,0,1] op_sel_hi:[1,1,0]
	v_mov_b32_e32 v17, v7
	v_add_u32_e32 v8, s11, v8
	v_add_u32_e32 v9, 0, v9
	s_waitcnt lgkmcnt(0)
	v_pk_add_f32 v[6:7], v[14:15], v[16:17]
	v_cmp_le_i32_e32 vcc, s48, v8
	ds_write_b64 v9, v[6:7]
	v_mov_b32_e32 v6, s43
	s_or_b64 s[24:25], vcc, s[24:25]
	v_add_co_u32_e32 v4, vcc, s42, v4
	v_addc_co_u32_e32 v5, vcc, v5, v6, vcc
	s_andn2_b64 exec, exec, s[24:25]
	s_cbranch_execz .LBB141_15
.LBB141_12:                             ;   Parent Loop BB141_8 Depth=1
                                        ; =>  This Loop Header: Depth=2
                                        ;       Child Loop BB141_14 Depth 3
	v_mov_b32_e32 v7, 0
	s_and_b64 vcc, exec, s[2:3]
	v_mov_b32_e32 v6, v7
	s_cbranch_vccnz .LBB141_11
; %bb.13:                               ;   in Loop: Header=BB141_12 Depth=2
	v_mov_b32_e32 v6, 0
	s_mov_b32 s17, 0
	s_mov_b64 s[26:27], 0
	v_mov_b32_e32 v7, v6
.LBB141_14:                             ;   Parent Loop BB141_8 Depth=1
                                        ;     Parent Loop BB141_12 Depth=2
                                        ; =>    This Inner Loop Header: Depth=3
	v_mov_b32_e32 v9, s27
	v_add_co_u32_e32 v12, vcc, s26, v4
	v_addc_co_u32_e32 v13, vcc, v5, v9, vcc
	global_load_dwordx2 v[12:13], v[12:13], off
	s_add_u32 s28, s38, s26
	s_addc_u32 s29, s39, s27
	s_load_dwordx2 s[28:29], s[28:29], 0x0
	s_add_i32 s17, s17, 1
	s_add_u32 s26, s26, s12
	s_addc_u32 s27, s27, s13
	s_cmp_ge_i32 s17, s50
	s_waitcnt vmcnt(0) lgkmcnt(0)
	v_pk_mul_f32 v[14:15], s[28:29], v[12:13] op_sel:[0,1]
	v_pk_fma_f32 v[16:17], s[28:29], v[12:13], v[14:15] op_sel:[0,0,1] op_sel_hi:[1,1,0]
	v_pk_fma_f32 v[12:13], s[28:29], v[12:13], v[14:15] op_sel:[0,0,1] op_sel_hi:[1,0,0] neg_lo:[1,0,0] neg_hi:[1,0,0]
	v_mov_b32_e32 v17, v13
	v_pk_add_f32 v[6:7], v[6:7], v[16:17]
	s_cbranch_scc0 .LBB141_14
	s_branch .LBB141_11
.LBB141_15:                             ;   in Loop: Header=BB141_8 Depth=1
	s_or_b64 exec, exec, s[18:19]
	s_mov_b64 s[18:19], 0
.LBB141_16:                             ;   in Loop: Header=BB141_8 Depth=1
	s_andn2_b64 vcc, exec, s[18:19]
	s_cbranch_vccnz .LBB141_24
; %bb.17:                               ;   in Loop: Header=BB141_8 Depth=1
	v_cmp_gt_i32_e32 vcc, s48, v0
	s_and_saveexec_b64 s[2:3], vcc
	s_cbranch_execz .LBB141_23
; %bb.18:                               ;   in Loop: Header=BB141_8 Depth=1
	s_ashr_i32 s15, s14, 31
	s_ashr_i32 s17, s16, 31
	s_lshl_b64 s[26:27], s[14:15], 3
	s_lshl_b64 s[18:19], s[16:17], 3
	s_add_u32 s18, s40, s18
	s_addc_u32 s19, s41, s19
	s_cmp_gt_i32 s50, 0
	s_cselect_b64 s[20:21], -1, 0
	s_lshl_b64 s[22:23], s[6:7], 3
	s_add_u32 s22, s4, s22
	s_addc_u32 s23, s34, s23
	s_load_dwordx2 s[22:23], s[22:23], 0x0
	s_add_i32 s15, s49, 8
	s_add_u32 s17, s44, s26
	s_addc_u32 s51, s45, s27
	s_mov_b64 s[26:27], 0
	s_waitcnt lgkmcnt(0)
	s_mov_b32 s24, s22
	s_mov_b32 s25, s22
	;; [unrolled: 1-line block ×3, first 2 shown]
	v_mov_b32_e32 v4, v10
	v_mov_b32_e32 v12, v0
	s_branch .LBB141_20
.LBB141_19:                             ;   in Loop: Header=BB141_20 Depth=2
	v_lshlrev_b32_e32 v5, 3, v12
	v_add_u32_e32 v13, s15, v5
	ds_read_b64 v[14:15], v13
	v_pk_mul_f32 v[8:9], v[6:7], s[22:23]
	v_pk_fma_f32 v[16:17], v[6:7], s[24:25], v[8:9] op_sel:[0,0,1] op_sel_hi:[1,1,0] neg_lo:[0,0,1] neg_hi:[0,0,1]
	v_pk_fma_f32 v[6:7], v[6:7], s[24:25], v[8:9] op_sel:[0,0,1] op_sel_hi:[1,1,0]
	v_add_u32_e32 v12, s11, v12
	v_mov_b32_e32 v17, v7
	v_cmp_le_i32_e32 vcc, s48, v12
	v_add_u32_e32 v5, 0, v5
	s_waitcnt lgkmcnt(0)
	v_pk_add_f32 v[6:7], v[14:15], v[16:17]
	s_or_b64 s[26:27], vcc, s[26:27]
	v_add_u32_e32 v4, s46, v4
	ds_write_b64 v5, v[6:7]
	s_andn2_b64 exec, exec, s[26:27]
	s_cbranch_execz .LBB141_23
.LBB141_20:                             ;   Parent Loop BB141_8 Depth=1
                                        ; =>  This Loop Header: Depth=2
                                        ;       Child Loop BB141_22 Depth 3
	v_mov_b32_e32 v7, 0
	s_andn2_b64 vcc, exec, s[20:21]
	v_mov_b32_e32 v6, v7
	s_cbranch_vccnz .LBB141_19
; %bb.21:                               ;   in Loop: Header=BB141_20 Depth=2
	v_ashrrev_i32_e32 v5, 31, v4
	v_lshlrev_b64 v[6:7], 3, v[4:5]
	v_mov_b32_e32 v5, s51
	v_add_co_u32_e32 v8, vcc, s17, v6
	v_mov_b32_e32 v6, 0
	v_addc_co_u32_e32 v9, vcc, v5, v7, vcc
	s_mov_b32 s52, 0
	s_mov_b64 s[28:29], s[18:19]
	v_mov_b32_e32 v7, v6
.LBB141_22:                             ;   Parent Loop BB141_8 Depth=1
                                        ;     Parent Loop BB141_20 Depth=2
                                        ; =>    This Inner Loop Header: Depth=3
	global_load_dwordx2 v[14:15], v[8:9], off offset:-4
	s_load_dwordx2 s[54:55], s[28:29], 0x0
	s_add_i32 s52, s52, 1
	s_add_u32 s28, s28, 8
	v_add_co_u32_e32 v8, vcc, 8, v8
	s_addc_u32 s29, s29, 0
	v_addc_co_u32_e32 v9, vcc, 0, v9, vcc
	s_cmp_ge_i32 s52, s50
	s_waitcnt vmcnt(0) lgkmcnt(0)
	v_pk_mul_f32 v[16:17], v[14:15], s[54:55] op_sel:[1,0]
	v_pk_fma_f32 v[18:19], v[14:15], s[54:55], v[16:17] op_sel:[0,0,1] op_sel_hi:[1,1,0]
	v_pk_fma_f32 v[14:15], v[14:15], s[54:55], v[16:17] op_sel:[0,0,1] op_sel_hi:[0,1,0] neg_lo:[0,0,1] neg_hi:[0,0,1]
	v_mov_b32_e32 v19, v15
	v_pk_add_f32 v[6:7], v[6:7], v[18:19]
	s_cbranch_scc0 .LBB141_22
	s_branch .LBB141_19
.LBB141_23:                             ;   in Loop: Header=BB141_8 Depth=1
	s_or_b64 exec, exec, s[2:3]
.LBB141_24:                             ;   in Loop: Header=BB141_8 Depth=1
	v_cmp_gt_i32_e32 vcc, s48, v0
	s_waitcnt lgkmcnt(0)
	s_barrier
	s_and_saveexec_b64 s[2:3], vcc
	s_cbranch_execz .LBB141_7
; %bb.25:                               ;   in Loop: Header=BB141_8 Depth=1
	s_add_i32 s49, s49, 8
	s_mov_b64 s[18:19], 0
	v_mov_b32_e32 v6, v11
	v_mov_b32_e32 v7, v0
.LBB141_26:                             ;   Parent Loop BB141_8 Depth=1
                                        ; =>  This Loop Header: Depth=2
                                        ;       Child Loop BB141_27 Depth 3
	v_mov_b32_e32 v4, 0
	s_mov_b32 s15, 0
	s_mov_b32 s17, -1
	s_mov_b64 s[20:21], 0
	v_mov_b32_e32 v8, v6
	v_mov_b32_e32 v5, v4
.LBB141_27:                             ;   Parent Loop BB141_8 Depth=1
                                        ;     Parent Loop BB141_26 Depth=2
                                        ; =>    This Inner Loop Header: Depth=3
	v_mov_b32_e32 v9, s15
	ds_read_b64 v[12:13], v8
	ds_read_b64 v[14:15], v9
	s_add_i32 s17, s17, 1
	s_add_i32 s15, s15, 8
	v_cmp_eq_u32_e32 vcc, s17, v7
	v_add_u32_e32 v8, s35, v8
	s_waitcnt lgkmcnt(0)
	v_pk_mul_f32 v[16:17], v[14:15], v[12:13] op_sel:[0,1]
	v_pk_fma_f32 v[18:19], v[14:15], v[12:13], v[16:17] op_sel:[0,0,1] op_sel_hi:[1,1,0] neg_lo:[0,0,1] neg_hi:[0,0,1]
	v_pk_fma_f32 v[12:13], v[14:15], v[12:13], v[16:17] op_sel:[0,0,1] op_sel_hi:[1,0,0]
	v_mov_b32_e32 v19, v13
	s_or_b64 s[20:21], vcc, s[20:21]
	v_pk_add_f32 v[4:5], v[4:5], v[18:19]
	s_andn2_b64 exec, exec, s[20:21]
	s_cbranch_execnz .LBB141_27
; %bb.28:                               ;   in Loop: Header=BB141_26 Depth=2
	s_or_b64 exec, exec, s[20:21]
	v_lshl_add_u32 v8, v7, 3, s49
	v_add_u32_e32 v7, s11, v7
	v_cmp_le_i32_e32 vcc, s48, v7
	s_or_b64 s[18:19], vcc, s[18:19]
	v_add_u32_e32 v6, s42, v6
	ds_write_b64 v8, v[4:5]
	s_andn2_b64 exec, exec, s[18:19]
	s_cbranch_execnz .LBB141_26
	s_branch .LBB141_7
.LBB141_29:
	s_and_saveexec_b64 s[2:3], s[0:1]
	s_cbranch_execz .LBB141_34
; %bb.30:
	s_lshl_b32 s6, s10, 3
	s_add_i32 s0, s6, 0
	v_lshl_add_u32 v4, v0, 3, s0
	s_lshl_b32 s7, s11, 3
	s_mov_b64 s[2:3], 0
	v_mov_b32_e32 v5, s33
.LBB141_31:                             ; =>This Loop Header: Depth=1
                                        ;     Child Loop BB141_32 Depth 2
	s_mov_b64 s[4:5], 0
	v_mov_b32_e32 v6, v4
	v_mov_b32_e32 v2, v0
	s_mov_b32 s8, 0
.LBB141_32:                             ;   Parent Loop BB141_31 Depth=1
                                        ; =>  This Inner Loop Header: Depth=2
	ds_read_b64 v[8:9], v6
	v_ashrrev_i32_e32 v3, 31, v2
	s_add_i32 s8, s8, 1
	v_lshlrev_b64 v[10:11], 3, v[2:3]
	v_cmp_eq_u32_e32 vcc, s8, v1
	v_add_co_u32_e64 v10, s[0:1], s31, v10
	v_add_u32_e32 v6, s6, v6
	v_add_u32_e32 v2, s30, v2
	v_addc_co_u32_e64 v11, s[0:1], v5, v11, s[0:1]
	s_or_b64 s[4:5], vcc, s[4:5]
	s_waitcnt lgkmcnt(0)
	global_store_dwordx2 v[10:11], v[8:9], off
	s_andn2_b64 exec, exec, s[4:5]
	s_cbranch_execnz .LBB141_32
; %bb.33:                               ;   in Loop: Header=BB141_31 Depth=1
	s_or_b64 exec, exec, s[4:5]
	v_add_u32_e32 v0, s11, v0
	v_cmp_le_i32_e32 vcc, s10, v0
	v_add_u32_e32 v1, s11, v1
	s_or_b64 s[2:3], vcc, s[2:3]
	v_add_u32_e32 v4, s7, v4
	s_andn2_b64 exec, exec, s[2:3]
	s_cbranch_execnz .LBB141_31
.LBB141_34:
	s_endpgm
	.section	.rodata,"a",@progbits
	.p2align	6, 0x0
	.amdhsa_kernel _ZN9rocsolver6v33100L21larft_kernel_backwardI19rocblas_complex_numIfEPKPS3_EEv15rocblas_storev_iiT0_iilPT_lSA_il
		.amdhsa_group_segment_fixed_size 0
		.amdhsa_private_segment_fixed_size 0
		.amdhsa_kernarg_size 336
		.amdhsa_user_sgpr_count 6
		.amdhsa_user_sgpr_private_segment_buffer 1
		.amdhsa_user_sgpr_dispatch_ptr 0
		.amdhsa_user_sgpr_queue_ptr 0
		.amdhsa_user_sgpr_kernarg_segment_ptr 1
		.amdhsa_user_sgpr_dispatch_id 0
		.amdhsa_user_sgpr_flat_scratch_init 0
		.amdhsa_user_sgpr_kernarg_preload_length 0
		.amdhsa_user_sgpr_kernarg_preload_offset 0
		.amdhsa_user_sgpr_private_segment_size 0
		.amdhsa_uses_dynamic_stack 0
		.amdhsa_system_sgpr_private_segment_wavefront_offset 0
		.amdhsa_system_sgpr_workgroup_id_x 1
		.amdhsa_system_sgpr_workgroup_id_y 1
		.amdhsa_system_sgpr_workgroup_id_z 0
		.amdhsa_system_sgpr_workgroup_info 0
		.amdhsa_system_vgpr_workitem_id 0
		.amdhsa_next_free_vgpr 20
		.amdhsa_next_free_sgpr 56
		.amdhsa_accum_offset 20
		.amdhsa_reserve_vcc 1
		.amdhsa_reserve_flat_scratch 0
		.amdhsa_float_round_mode_32 0
		.amdhsa_float_round_mode_16_64 0
		.amdhsa_float_denorm_mode_32 3
		.amdhsa_float_denorm_mode_16_64 3
		.amdhsa_dx10_clamp 1
		.amdhsa_ieee_mode 1
		.amdhsa_fp16_overflow 0
		.amdhsa_tg_split 0
		.amdhsa_exception_fp_ieee_invalid_op 0
		.amdhsa_exception_fp_denorm_src 0
		.amdhsa_exception_fp_ieee_div_zero 0
		.amdhsa_exception_fp_ieee_overflow 0
		.amdhsa_exception_fp_ieee_underflow 0
		.amdhsa_exception_fp_ieee_inexact 0
		.amdhsa_exception_int_div_zero 0
	.end_amdhsa_kernel
	.section	.text._ZN9rocsolver6v33100L21larft_kernel_backwardI19rocblas_complex_numIfEPKPS3_EEv15rocblas_storev_iiT0_iilPT_lSA_il,"axG",@progbits,_ZN9rocsolver6v33100L21larft_kernel_backwardI19rocblas_complex_numIfEPKPS3_EEv15rocblas_storev_iiT0_iilPT_lSA_il,comdat
.Lfunc_end141:
	.size	_ZN9rocsolver6v33100L21larft_kernel_backwardI19rocblas_complex_numIfEPKPS3_EEv15rocblas_storev_iiT0_iilPT_lSA_il, .Lfunc_end141-_ZN9rocsolver6v33100L21larft_kernel_backwardI19rocblas_complex_numIfEPKPS3_EEv15rocblas_storev_iiT0_iilPT_lSA_il
                                        ; -- End function
	.section	.AMDGPU.csdata,"",@progbits
; Kernel info:
; codeLenInByte = 1708
; NumSgprs: 60
; NumVgprs: 20
; NumAgprs: 0
; TotalNumVgprs: 20
; ScratchSize: 0
; MemoryBound: 0
; FloatMode: 240
; IeeeMode: 1
; LDSByteSize: 0 bytes/workgroup (compile time only)
; SGPRBlocks: 7
; VGPRBlocks: 2
; NumSGPRsForWavesPerEU: 60
; NumVGPRsForWavesPerEU: 20
; AccumOffset: 20
; Occupancy: 8
; WaveLimiterHint : 0
; COMPUTE_PGM_RSRC2:SCRATCH_EN: 0
; COMPUTE_PGM_RSRC2:USER_SGPR: 6
; COMPUTE_PGM_RSRC2:TRAP_HANDLER: 0
; COMPUTE_PGM_RSRC2:TGID_X_EN: 1
; COMPUTE_PGM_RSRC2:TGID_Y_EN: 1
; COMPUTE_PGM_RSRC2:TGID_Z_EN: 0
; COMPUTE_PGM_RSRC2:TIDIG_COMP_CNT: 0
; COMPUTE_PGM_RSRC3_GFX90A:ACCUM_OFFSET: 4
; COMPUTE_PGM_RSRC3_GFX90A:TG_SPLIT: 0
	.section	.text._ZN9rocsolver6v33100L9copymatA1I19rocblas_complex_numIfEPKPS3_EEviiT0_iilPT_,"axG",@progbits,_ZN9rocsolver6v33100L9copymatA1I19rocblas_complex_numIfEPKPS3_EEviiT0_iilPT_,comdat
	.globl	_ZN9rocsolver6v33100L9copymatA1I19rocblas_complex_numIfEPKPS3_EEviiT0_iilPT_ ; -- Begin function _ZN9rocsolver6v33100L9copymatA1I19rocblas_complex_numIfEPKPS3_EEviiT0_iilPT_
	.p2align	8
	.type	_ZN9rocsolver6v33100L9copymatA1I19rocblas_complex_numIfEPKPS3_EEviiT0_iilPT_,@function
_ZN9rocsolver6v33100L9copymatA1I19rocblas_complex_numIfEPKPS3_EEviiT0_iilPT_: ; @_ZN9rocsolver6v33100L9copymatA1I19rocblas_complex_numIfEPKPS3_EEviiT0_iilPT_
; %bb.0:
	s_load_dword s0, s[4:5], 0x34
	s_load_dwordx2 s[2:3], s[4:5], 0x0
	v_and_b32_e32 v1, 0x3ff, v0
	v_bfe_u32 v0, v0, 10, 10
	s_waitcnt lgkmcnt(0)
	s_lshr_b32 s1, s0, 16
	s_and_b32 s0, s0, 0xffff
	s_mul_i32 s6, s6, s0
	s_mul_i32 s7, s7, s1
	v_add_u32_e32 v1, s6, v1
	v_add_u32_e32 v0, s7, v0
	v_cmp_gt_u32_e32 vcc, s2, v0
	v_cmp_gt_u32_e64 s[0:1], s3, v1
	s_and_b64 s[0:1], s[0:1], vcc
	s_and_saveexec_b64 s[6:7], s[0:1]
	s_cbranch_execz .LBB142_2
; %bb.1:
	s_load_dwordx4 s[12:15], s[4:5], 0x8
	s_load_dwordx2 s[0:1], s[4:5], 0x20
	s_ashr_i32 s4, s2, 31
	s_mul_hi_u32 s6, s2, s8
	s_mul_i32 s4, s4, s8
	s_ashr_i32 s5, s3, 31
	s_add_i32 s4, s6, s4
	s_mul_i32 s6, s2, s8
	s_mul_i32 s5, s6, s5
	s_mul_hi_u32 s7, s6, s3
	s_add_i32 s5, s7, s5
	s_mul_i32 s4, s4, s3
	s_add_i32 s5, s5, s4
	s_mul_i32 s4, s6, s3
	s_lshl_b64 s[4:5], s[4:5], 3
	s_mov_b32 s9, 0
	s_waitcnt lgkmcnt(0)
	s_add_u32 s3, s0, s4
	s_addc_u32 s6, s1, s5
	s_ashr_i32 s1, s14, 31
	s_lshl_b64 s[4:5], s[8:9], 3
	s_add_u32 s4, s12, s4
	s_addc_u32 s5, s13, s5
	s_load_dwordx2 s[4:5], s[4:5], 0x0
	s_mov_b32 s0, s14
	s_lshl_b64 s[0:1], s[0:1], 3
	s_waitcnt lgkmcnt(0)
	s_add_u32 s4, s4, s0
	s_addc_u32 s5, s5, s1
	v_mad_u64_u32 v[2:3], s[0:1], v1, s15, v[0:1]
	v_mov_b32_e32 v3, 0
	v_lshlrev_b64 v[4:5], 3, v[2:3]
	v_mov_b32_e32 v2, s5
	v_add_co_u32_e32 v4, vcc, s4, v4
	v_addc_co_u32_e32 v5, vcc, v2, v5, vcc
	global_load_dwordx2 v[4:5], v[4:5], off
	v_mad_u64_u32 v[0:1], s[0:1], v1, s2, v[0:1]
	v_mov_b32_e32 v1, v3
	v_lshlrev_b64 v[0:1], 3, v[0:1]
	v_mov_b32_e32 v2, s6
	v_add_co_u32_e32 v0, vcc, s3, v0
	v_addc_co_u32_e32 v1, vcc, v2, v1, vcc
	s_waitcnt vmcnt(0)
	global_store_dwordx2 v[0:1], v[4:5], off
.LBB142_2:
	s_endpgm
	.section	.rodata,"a",@progbits
	.p2align	6, 0x0
	.amdhsa_kernel _ZN9rocsolver6v33100L9copymatA1I19rocblas_complex_numIfEPKPS3_EEviiT0_iilPT_
		.amdhsa_group_segment_fixed_size 0
		.amdhsa_private_segment_fixed_size 0
		.amdhsa_kernarg_size 296
		.amdhsa_user_sgpr_count 6
		.amdhsa_user_sgpr_private_segment_buffer 1
		.amdhsa_user_sgpr_dispatch_ptr 0
		.amdhsa_user_sgpr_queue_ptr 0
		.amdhsa_user_sgpr_kernarg_segment_ptr 1
		.amdhsa_user_sgpr_dispatch_id 0
		.amdhsa_user_sgpr_flat_scratch_init 0
		.amdhsa_user_sgpr_kernarg_preload_length 0
		.amdhsa_user_sgpr_kernarg_preload_offset 0
		.amdhsa_user_sgpr_private_segment_size 0
		.amdhsa_uses_dynamic_stack 0
		.amdhsa_system_sgpr_private_segment_wavefront_offset 0
		.amdhsa_system_sgpr_workgroup_id_x 1
		.amdhsa_system_sgpr_workgroup_id_y 1
		.amdhsa_system_sgpr_workgroup_id_z 1
		.amdhsa_system_sgpr_workgroup_info 0
		.amdhsa_system_vgpr_workitem_id 1
		.amdhsa_next_free_vgpr 6
		.amdhsa_next_free_sgpr 16
		.amdhsa_accum_offset 8
		.amdhsa_reserve_vcc 1
		.amdhsa_reserve_flat_scratch 0
		.amdhsa_float_round_mode_32 0
		.amdhsa_float_round_mode_16_64 0
		.amdhsa_float_denorm_mode_32 3
		.amdhsa_float_denorm_mode_16_64 3
		.amdhsa_dx10_clamp 1
		.amdhsa_ieee_mode 1
		.amdhsa_fp16_overflow 0
		.amdhsa_tg_split 0
		.amdhsa_exception_fp_ieee_invalid_op 0
		.amdhsa_exception_fp_denorm_src 0
		.amdhsa_exception_fp_ieee_div_zero 0
		.amdhsa_exception_fp_ieee_overflow 0
		.amdhsa_exception_fp_ieee_underflow 0
		.amdhsa_exception_fp_ieee_inexact 0
		.amdhsa_exception_int_div_zero 0
	.end_amdhsa_kernel
	.section	.text._ZN9rocsolver6v33100L9copymatA1I19rocblas_complex_numIfEPKPS3_EEviiT0_iilPT_,"axG",@progbits,_ZN9rocsolver6v33100L9copymatA1I19rocblas_complex_numIfEPKPS3_EEviiT0_iilPT_,comdat
.Lfunc_end142:
	.size	_ZN9rocsolver6v33100L9copymatA1I19rocblas_complex_numIfEPKPS3_EEviiT0_iilPT_, .Lfunc_end142-_ZN9rocsolver6v33100L9copymatA1I19rocblas_complex_numIfEPKPS3_EEviiT0_iilPT_
                                        ; -- End function
	.section	.AMDGPU.csdata,"",@progbits
; Kernel info:
; codeLenInByte = 304
; NumSgprs: 20
; NumVgprs: 6
; NumAgprs: 0
; TotalNumVgprs: 6
; ScratchSize: 0
; MemoryBound: 0
; FloatMode: 240
; IeeeMode: 1
; LDSByteSize: 0 bytes/workgroup (compile time only)
; SGPRBlocks: 2
; VGPRBlocks: 0
; NumSGPRsForWavesPerEU: 20
; NumVGPRsForWavesPerEU: 6
; AccumOffset: 8
; Occupancy: 8
; WaveLimiterHint : 1
; COMPUTE_PGM_RSRC2:SCRATCH_EN: 0
; COMPUTE_PGM_RSRC2:USER_SGPR: 6
; COMPUTE_PGM_RSRC2:TRAP_HANDLER: 0
; COMPUTE_PGM_RSRC2:TGID_X_EN: 1
; COMPUTE_PGM_RSRC2:TGID_Y_EN: 1
; COMPUTE_PGM_RSRC2:TGID_Z_EN: 1
; COMPUTE_PGM_RSRC2:TIDIG_COMP_CNT: 1
; COMPUTE_PGM_RSRC3_GFX90A:ACCUM_OFFSET: 1
; COMPUTE_PGM_RSRC3_GFX90A:TG_SPLIT: 0
	.section	.text._ZN9rocsolver6v33100L8addmatA1I19rocblas_complex_numIfEPKPS3_EEviiT0_iilPT_,"axG",@progbits,_ZN9rocsolver6v33100L8addmatA1I19rocblas_complex_numIfEPKPS3_EEviiT0_iilPT_,comdat
	.globl	_ZN9rocsolver6v33100L8addmatA1I19rocblas_complex_numIfEPKPS3_EEviiT0_iilPT_ ; -- Begin function _ZN9rocsolver6v33100L8addmatA1I19rocblas_complex_numIfEPKPS3_EEviiT0_iilPT_
	.p2align	8
	.type	_ZN9rocsolver6v33100L8addmatA1I19rocblas_complex_numIfEPKPS3_EEviiT0_iilPT_,@function
_ZN9rocsolver6v33100L8addmatA1I19rocblas_complex_numIfEPKPS3_EEviiT0_iilPT_: ; @_ZN9rocsolver6v33100L8addmatA1I19rocblas_complex_numIfEPKPS3_EEviiT0_iilPT_
; %bb.0:
	s_load_dword s0, s[4:5], 0x34
	s_load_dwordx2 s[10:11], s[4:5], 0x0
	v_and_b32_e32 v1, 0x3ff, v0
	v_bfe_u32 v0, v0, 10, 10
	s_waitcnt lgkmcnt(0)
	s_lshr_b32 s1, s0, 16
	s_and_b32 s0, s0, 0xffff
	s_mul_i32 s6, s6, s0
	s_mul_i32 s7, s7, s1
	v_add_u32_e32 v1, s6, v1
	v_add_u32_e32 v0, s7, v0
	v_cmp_gt_u32_e32 vcc, s10, v0
	v_cmp_gt_u32_e64 s[0:1], s11, v1
	s_and_b64 s[0:1], s[0:1], vcc
	s_and_saveexec_b64 s[2:3], s[0:1]
	s_cbranch_execz .LBB143_2
; %bb.1:
	s_load_dwordx4 s[0:3], s[4:5], 0x8
	s_load_dwordx2 s[6:7], s[4:5], 0x20
	s_ashr_i32 s4, s10, 31
	s_mul_hi_u32 s12, s10, s8
	s_mul_i32 s4, s4, s8
	s_ashr_i32 s5, s11, 31
	s_add_i32 s4, s12, s4
	s_mul_i32 s12, s10, s8
	s_mul_i32 s5, s12, s5
	s_mul_hi_u32 s13, s12, s11
	s_add_i32 s5, s13, s5
	s_mul_i32 s4, s4, s11
	s_add_i32 s5, s5, s4
	s_mul_i32 s4, s12, s11
	s_lshl_b64 s[4:5], s[4:5], 3
	s_mov_b32 s9, 0
	s_waitcnt lgkmcnt(0)
	s_add_u32 s11, s6, s4
	s_addc_u32 s12, s7, s5
	s_ashr_i32 s5, s2, 31
	s_lshl_b64 s[6:7], s[8:9], 3
	s_add_u32 s0, s0, s6
	s_addc_u32 s1, s1, s7
	s_load_dwordx2 s[0:1], s[0:1], 0x0
	s_mov_b32 s4, s2
	s_lshl_b64 s[4:5], s[4:5], 3
	s_waitcnt lgkmcnt(0)
	s_add_u32 s2, s0, s4
	s_addc_u32 s4, s1, s5
	v_mad_u64_u32 v[2:3], s[0:1], v1, s10, v[0:1]
	v_mov_b32_e32 v3, 0
	v_lshlrev_b64 v[4:5], 3, v[2:3]
	v_mad_u64_u32 v[0:1], s[0:1], v1, s3, v[0:1]
	v_mov_b32_e32 v2, s12
	v_add_co_u32_e32 v4, vcc, s11, v4
	v_mov_b32_e32 v1, v3
	v_addc_co_u32_e32 v5, vcc, v2, v5, vcc
	v_lshlrev_b64 v[0:1], 3, v[0:1]
	v_mov_b32_e32 v2, s4
	v_add_co_u32_e32 v0, vcc, s2, v0
	v_addc_co_u32_e32 v1, vcc, v2, v1, vcc
	global_load_dwordx2 v[2:3], v[4:5], off
	global_load_dwordx2 v[6:7], v[0:1], off
	s_waitcnt vmcnt(0)
	v_pk_add_f32 v[2:3], v[6:7], v[2:3] neg_lo:[0,1] neg_hi:[0,1]
	global_store_dwordx2 v[0:1], v[2:3], off
.LBB143_2:
	s_endpgm
	.section	.rodata,"a",@progbits
	.p2align	6, 0x0
	.amdhsa_kernel _ZN9rocsolver6v33100L8addmatA1I19rocblas_complex_numIfEPKPS3_EEviiT0_iilPT_
		.amdhsa_group_segment_fixed_size 0
		.amdhsa_private_segment_fixed_size 0
		.amdhsa_kernarg_size 296
		.amdhsa_user_sgpr_count 6
		.amdhsa_user_sgpr_private_segment_buffer 1
		.amdhsa_user_sgpr_dispatch_ptr 0
		.amdhsa_user_sgpr_queue_ptr 0
		.amdhsa_user_sgpr_kernarg_segment_ptr 1
		.amdhsa_user_sgpr_dispatch_id 0
		.amdhsa_user_sgpr_flat_scratch_init 0
		.amdhsa_user_sgpr_kernarg_preload_length 0
		.amdhsa_user_sgpr_kernarg_preload_offset 0
		.amdhsa_user_sgpr_private_segment_size 0
		.amdhsa_uses_dynamic_stack 0
		.amdhsa_system_sgpr_private_segment_wavefront_offset 0
		.amdhsa_system_sgpr_workgroup_id_x 1
		.amdhsa_system_sgpr_workgroup_id_y 1
		.amdhsa_system_sgpr_workgroup_id_z 1
		.amdhsa_system_sgpr_workgroup_info 0
		.amdhsa_system_vgpr_workitem_id 1
		.amdhsa_next_free_vgpr 8
		.amdhsa_next_free_sgpr 14
		.amdhsa_accum_offset 8
		.amdhsa_reserve_vcc 1
		.amdhsa_reserve_flat_scratch 0
		.amdhsa_float_round_mode_32 0
		.amdhsa_float_round_mode_16_64 0
		.amdhsa_float_denorm_mode_32 3
		.amdhsa_float_denorm_mode_16_64 3
		.amdhsa_dx10_clamp 1
		.amdhsa_ieee_mode 1
		.amdhsa_fp16_overflow 0
		.amdhsa_tg_split 0
		.amdhsa_exception_fp_ieee_invalid_op 0
		.amdhsa_exception_fp_denorm_src 0
		.amdhsa_exception_fp_ieee_div_zero 0
		.amdhsa_exception_fp_ieee_overflow 0
		.amdhsa_exception_fp_ieee_underflow 0
		.amdhsa_exception_fp_ieee_inexact 0
		.amdhsa_exception_int_div_zero 0
	.end_amdhsa_kernel
	.section	.text._ZN9rocsolver6v33100L8addmatA1I19rocblas_complex_numIfEPKPS3_EEviiT0_iilPT_,"axG",@progbits,_ZN9rocsolver6v33100L8addmatA1I19rocblas_complex_numIfEPKPS3_EEviiT0_iilPT_,comdat
.Lfunc_end143:
	.size	_ZN9rocsolver6v33100L8addmatA1I19rocblas_complex_numIfEPKPS3_EEviiT0_iilPT_, .Lfunc_end143-_ZN9rocsolver6v33100L8addmatA1I19rocblas_complex_numIfEPKPS3_EEviiT0_iilPT_
                                        ; -- End function
	.section	.AMDGPU.csdata,"",@progbits
; Kernel info:
; codeLenInByte = 320
; NumSgprs: 18
; NumVgprs: 8
; NumAgprs: 0
; TotalNumVgprs: 8
; ScratchSize: 0
; MemoryBound: 0
; FloatMode: 240
; IeeeMode: 1
; LDSByteSize: 0 bytes/workgroup (compile time only)
; SGPRBlocks: 2
; VGPRBlocks: 0
; NumSGPRsForWavesPerEU: 18
; NumVGPRsForWavesPerEU: 8
; AccumOffset: 8
; Occupancy: 8
; WaveLimiterHint : 1
; COMPUTE_PGM_RSRC2:SCRATCH_EN: 0
; COMPUTE_PGM_RSRC2:USER_SGPR: 6
; COMPUTE_PGM_RSRC2:TRAP_HANDLER: 0
; COMPUTE_PGM_RSRC2:TGID_X_EN: 1
; COMPUTE_PGM_RSRC2:TGID_Y_EN: 1
; COMPUTE_PGM_RSRC2:TGID_Z_EN: 1
; COMPUTE_PGM_RSRC2:TIDIG_COMP_CNT: 1
; COMPUTE_PGM_RSRC3_GFX90A:ACCUM_OFFSET: 1
; COMPUTE_PGM_RSRC3_GFX90A:TG_SPLIT: 0
	.section	.text._ZN9rocsolver6v33100L8set_diagI19rocblas_complex_numIfEiS3_PKPS3_TnNSt9enable_ifIXoont18rocblas_is_complexIT_E18rocblas_is_complexIT1_EEiE4typeELi0EEEvPS9_llT2_lT0_lSE_b,"axG",@progbits,_ZN9rocsolver6v33100L8set_diagI19rocblas_complex_numIfEiS3_PKPS3_TnNSt9enable_ifIXoont18rocblas_is_complexIT_E18rocblas_is_complexIT1_EEiE4typeELi0EEEvPS9_llT2_lT0_lSE_b,comdat
	.globl	_ZN9rocsolver6v33100L8set_diagI19rocblas_complex_numIfEiS3_PKPS3_TnNSt9enable_ifIXoont18rocblas_is_complexIT_E18rocblas_is_complexIT1_EEiE4typeELi0EEEvPS9_llT2_lT0_lSE_b ; -- Begin function _ZN9rocsolver6v33100L8set_diagI19rocblas_complex_numIfEiS3_PKPS3_TnNSt9enable_ifIXoont18rocblas_is_complexIT_E18rocblas_is_complexIT1_EEiE4typeELi0EEEvPS9_llT2_lT0_lSE_b
	.p2align	8
	.type	_ZN9rocsolver6v33100L8set_diagI19rocblas_complex_numIfEiS3_PKPS3_TnNSt9enable_ifIXoont18rocblas_is_complexIT_E18rocblas_is_complexIT1_EEiE4typeELi0EEEvPS9_llT2_lT0_lSE_b,@function
_ZN9rocsolver6v33100L8set_diagI19rocblas_complex_numIfEiS3_PKPS3_TnNSt9enable_ifIXoont18rocblas_is_complexIT_E18rocblas_is_complexIT1_EEiE4typeELi0EEEvPS9_llT2_lT0_lSE_b: ; @_ZN9rocsolver6v33100L8set_diagI19rocblas_complex_numIfEiS3_PKPS3_TnNSt9enable_ifIXoont18rocblas_is_complexIT_E18rocblas_is_complexIT1_EEiE4typeELi0EEEvPS9_llT2_lT0_lSE_b
; %bb.0:
	s_load_dword s2, s[4:5], 0x4c
	s_load_dwordx2 s[0:1], s[4:5], 0x38
	v_bfe_u32 v0, v0, 10, 10
	s_waitcnt lgkmcnt(0)
	s_lshr_b32 s2, s2, 16
	s_mul_i32 s7, s7, s2
	v_add_u32_e32 v0, s7, v0
	v_cmp_gt_i32_e32 vcc, s0, v0
	s_and_saveexec_b64 s[2:3], vcc
	s_cbranch_execz .LBB144_5
; %bb.1:
	s_load_dwordx8 s[8:15], s[4:5], 0x0
	s_bitcmp1_b32 s1, 0
	s_cselect_b64 s[0:1], -1, 0
	s_ashr_i32 s7, s6, 31
	s_lshl_b64 s[2:3], s[6:7], 3
	s_waitcnt lgkmcnt(0)
	s_add_u32 s2, s14, s2
	s_addc_u32 s3, s15, s3
	s_load_dwordx2 s[14:15], s[4:5], 0x20
	s_load_dwordx2 s[16:17], s[2:3], 0x0
	s_load_dword s18, s[4:5], 0x28
	s_waitcnt lgkmcnt(0)
	s_lshl_b64 s[2:3], s[14:15], 3
	s_add_u32 s4, s16, s2
	s_addc_u32 s5, s17, s3
	v_mad_u64_u32 v[2:3], s[2:3], v0, s18, v[0:1]
	v_ashrrev_i32_e32 v3, 31, v2
	v_lshlrev_b64 v[2:3], 3, v[2:3]
	v_mov_b32_e32 v1, s5
	v_add_co_u32_e32 v2, vcc, s4, v2
	v_addc_co_u32_e32 v3, vcc, v1, v3, vcc
	global_load_dwordx2 v[4:5], v[2:3], off
	s_mul_i32 s3, s6, s13
	s_mul_hi_u32 s4, s6, s12
	s_mul_i32 s5, s7, s12
	s_add_i32 s3, s4, s3
	s_mul_i32 s2, s6, s12
	s_add_i32 s3, s3, s5
	s_lshl_b64 s[2:3], s[2:3], 3
	s_add_u32 s4, s8, s2
	s_addc_u32 s5, s9, s3
	s_lshl_b64 s[2:3], s[10:11], 3
	v_ashrrev_i32_e32 v1, 31, v0
	s_add_u32 s2, s4, s2
	v_lshlrev_b64 v[0:1], 3, v[0:1]
	s_addc_u32 s3, s5, s3
	s_and_b64 vcc, exec, s[0:1]
	v_mov_b32_e32 v6, s3
	v_add_co_u32_e64 v0, s[0:1], s2, v0
	v_addc_co_u32_e64 v1, s[0:1], v6, v1, s[0:1]
	s_waitcnt vmcnt(0)
	global_store_dwordx2 v[0:1], v[4:5], off
	s_cbranch_vccnz .LBB144_3
; %bb.2:
	global_load_dwordx2 v[0:1], v[2:3], off
	s_branch .LBB144_4
.LBB144_3:
	v_mov_b32_e32 v0, 1.0
	v_mov_b32_e32 v1, 0
.LBB144_4:
	s_waitcnt vmcnt(0)
	global_store_dwordx2 v[2:3], v[0:1], off
.LBB144_5:
	s_endpgm
	.section	.rodata,"a",@progbits
	.p2align	6, 0x0
	.amdhsa_kernel _ZN9rocsolver6v33100L8set_diagI19rocblas_complex_numIfEiS3_PKPS3_TnNSt9enable_ifIXoont18rocblas_is_complexIT_E18rocblas_is_complexIT1_EEiE4typeELi0EEEvPS9_llT2_lT0_lSE_b
		.amdhsa_group_segment_fixed_size 0
		.amdhsa_private_segment_fixed_size 0
		.amdhsa_kernarg_size 320
		.amdhsa_user_sgpr_count 6
		.amdhsa_user_sgpr_private_segment_buffer 1
		.amdhsa_user_sgpr_dispatch_ptr 0
		.amdhsa_user_sgpr_queue_ptr 0
		.amdhsa_user_sgpr_kernarg_segment_ptr 1
		.amdhsa_user_sgpr_dispatch_id 0
		.amdhsa_user_sgpr_flat_scratch_init 0
		.amdhsa_user_sgpr_kernarg_preload_length 0
		.amdhsa_user_sgpr_kernarg_preload_offset 0
		.amdhsa_user_sgpr_private_segment_size 0
		.amdhsa_uses_dynamic_stack 0
		.amdhsa_system_sgpr_private_segment_wavefront_offset 0
		.amdhsa_system_sgpr_workgroup_id_x 1
		.amdhsa_system_sgpr_workgroup_id_y 1
		.amdhsa_system_sgpr_workgroup_id_z 0
		.amdhsa_system_sgpr_workgroup_info 0
		.amdhsa_system_vgpr_workitem_id 1
		.amdhsa_next_free_vgpr 7
		.amdhsa_next_free_sgpr 19
		.amdhsa_accum_offset 8
		.amdhsa_reserve_vcc 1
		.amdhsa_reserve_flat_scratch 0
		.amdhsa_float_round_mode_32 0
		.amdhsa_float_round_mode_16_64 0
		.amdhsa_float_denorm_mode_32 3
		.amdhsa_float_denorm_mode_16_64 3
		.amdhsa_dx10_clamp 1
		.amdhsa_ieee_mode 1
		.amdhsa_fp16_overflow 0
		.amdhsa_tg_split 0
		.amdhsa_exception_fp_ieee_invalid_op 0
		.amdhsa_exception_fp_denorm_src 0
		.amdhsa_exception_fp_ieee_div_zero 0
		.amdhsa_exception_fp_ieee_overflow 0
		.amdhsa_exception_fp_ieee_underflow 0
		.amdhsa_exception_fp_ieee_inexact 0
		.amdhsa_exception_int_div_zero 0
	.end_amdhsa_kernel
	.section	.text._ZN9rocsolver6v33100L8set_diagI19rocblas_complex_numIfEiS3_PKPS3_TnNSt9enable_ifIXoont18rocblas_is_complexIT_E18rocblas_is_complexIT1_EEiE4typeELi0EEEvPS9_llT2_lT0_lSE_b,"axG",@progbits,_ZN9rocsolver6v33100L8set_diagI19rocblas_complex_numIfEiS3_PKPS3_TnNSt9enable_ifIXoont18rocblas_is_complexIT_E18rocblas_is_complexIT1_EEiE4typeELi0EEEvPS9_llT2_lT0_lSE_b,comdat
.Lfunc_end144:
	.size	_ZN9rocsolver6v33100L8set_diagI19rocblas_complex_numIfEiS3_PKPS3_TnNSt9enable_ifIXoont18rocblas_is_complexIT_E18rocblas_is_complexIT1_EEiE4typeELi0EEEvPS9_llT2_lT0_lSE_b, .Lfunc_end144-_ZN9rocsolver6v33100L8set_diagI19rocblas_complex_numIfEiS3_PKPS3_TnNSt9enable_ifIXoont18rocblas_is_complexIT_E18rocblas_is_complexIT1_EEiE4typeELi0EEEvPS9_llT2_lT0_lSE_b
                                        ; -- End function
	.section	.AMDGPU.csdata,"",@progbits
; Kernel info:
; codeLenInByte = 304
; NumSgprs: 23
; NumVgprs: 7
; NumAgprs: 0
; TotalNumVgprs: 7
; ScratchSize: 0
; MemoryBound: 0
; FloatMode: 240
; IeeeMode: 1
; LDSByteSize: 0 bytes/workgroup (compile time only)
; SGPRBlocks: 2
; VGPRBlocks: 0
; NumSGPRsForWavesPerEU: 23
; NumVGPRsForWavesPerEU: 7
; AccumOffset: 8
; Occupancy: 8
; WaveLimiterHint : 1
; COMPUTE_PGM_RSRC2:SCRATCH_EN: 0
; COMPUTE_PGM_RSRC2:USER_SGPR: 6
; COMPUTE_PGM_RSRC2:TRAP_HANDLER: 0
; COMPUTE_PGM_RSRC2:TGID_X_EN: 1
; COMPUTE_PGM_RSRC2:TGID_Y_EN: 1
; COMPUTE_PGM_RSRC2:TGID_Z_EN: 0
; COMPUTE_PGM_RSRC2:TIDIG_COMP_CNT: 1
; COMPUTE_PGM_RSRC3_GFX90A:ACCUM_OFFSET: 1
; COMPUTE_PGM_RSRC3_GFX90A:TG_SPLIT: 0
	.section	.text._ZN9rocsolver6v33100L12restore_diagI19rocblas_complex_numIfEiS3_PKPS3_EEvPT1_llT2_lT0_lSA_,"axG",@progbits,_ZN9rocsolver6v33100L12restore_diagI19rocblas_complex_numIfEiS3_PKPS3_EEvPT1_llT2_lT0_lSA_,comdat
	.globl	_ZN9rocsolver6v33100L12restore_diagI19rocblas_complex_numIfEiS3_PKPS3_EEvPT1_llT2_lT0_lSA_ ; -- Begin function _ZN9rocsolver6v33100L12restore_diagI19rocblas_complex_numIfEiS3_PKPS3_EEvPT1_llT2_lT0_lSA_
	.p2align	8
	.type	_ZN9rocsolver6v33100L12restore_diagI19rocblas_complex_numIfEiS3_PKPS3_EEvPT1_llT2_lT0_lSA_,@function
_ZN9rocsolver6v33100L12restore_diagI19rocblas_complex_numIfEiS3_PKPS3_EEvPT1_llT2_lT0_lSA_: ; @_ZN9rocsolver6v33100L12restore_diagI19rocblas_complex_numIfEiS3_PKPS3_EEvPT1_llT2_lT0_lSA_
; %bb.0:
	s_load_dword s0, s[4:5], 0x4c
	s_load_dword s1, s[4:5], 0x38
	v_bfe_u32 v0, v0, 10, 10
	s_waitcnt lgkmcnt(0)
	s_lshr_b32 s0, s0, 16
	s_mul_i32 s7, s7, s0
	v_add_u32_e32 v0, s7, v0
	v_cmp_gt_i32_e32 vcc, s1, v0
	s_and_saveexec_b64 s[0:1], vcc
	s_cbranch_execz .LBB145_2
; %bb.1:
	s_load_dwordx8 s[8:15], s[4:5], 0x0
	s_ashr_i32 s7, s6, 31
	s_lshl_b64 s[0:1], s[6:7], 3
	s_waitcnt lgkmcnt(0)
	s_add_u32 s0, s14, s0
	s_addc_u32 s1, s15, s1
	s_load_dwordx2 s[2:3], s[4:5], 0x20
	s_load_dwordx2 s[14:15], s[0:1], 0x0
	s_load_dword s16, s[4:5], 0x28
	s_mul_i32 s4, s6, s13
	s_mul_hi_u32 s5, s6, s12
	s_waitcnt lgkmcnt(0)
	s_lshl_b64 s[0:1], s[2:3], 3
	s_add_u32 s2, s14, s0
	s_addc_u32 s3, s15, s1
	s_add_i32 s0, s5, s4
	s_mul_i32 s1, s7, s12
	s_add_i32 s1, s0, s1
	s_mul_i32 s0, s6, s12
	s_lshl_b64 s[0:1], s[0:1], 3
	s_add_u32 s4, s8, s0
	s_addc_u32 s5, s9, s1
	s_lshl_b64 s[0:1], s[10:11], 3
	s_add_u32 s4, s4, s0
	s_addc_u32 s5, s5, s1
	v_mad_u64_u32 v[2:3], s[0:1], v0, s16, v[0:1]
	v_ashrrev_i32_e32 v1, 31, v0
	v_lshlrev_b64 v[0:1], 3, v[0:1]
	v_mov_b32_e32 v3, s5
	v_add_co_u32_e32 v0, vcc, s4, v0
	v_addc_co_u32_e32 v1, vcc, v3, v1, vcc
	global_load_dwordx2 v[0:1], v[0:1], off
	v_ashrrev_i32_e32 v3, 31, v2
	v_lshlrev_b64 v[2:3], 3, v[2:3]
	v_mov_b32_e32 v4, s3
	v_add_co_u32_e32 v2, vcc, s2, v2
	v_addc_co_u32_e32 v3, vcc, v4, v3, vcc
	s_waitcnt vmcnt(0)
	global_store_dwordx2 v[2:3], v[0:1], off
.LBB145_2:
	s_endpgm
	.section	.rodata,"a",@progbits
	.p2align	6, 0x0
	.amdhsa_kernel _ZN9rocsolver6v33100L12restore_diagI19rocblas_complex_numIfEiS3_PKPS3_EEvPT1_llT2_lT0_lSA_
		.amdhsa_group_segment_fixed_size 0
		.amdhsa_private_segment_fixed_size 0
		.amdhsa_kernarg_size 320
		.amdhsa_user_sgpr_count 6
		.amdhsa_user_sgpr_private_segment_buffer 1
		.amdhsa_user_sgpr_dispatch_ptr 0
		.amdhsa_user_sgpr_queue_ptr 0
		.amdhsa_user_sgpr_kernarg_segment_ptr 1
		.amdhsa_user_sgpr_dispatch_id 0
		.amdhsa_user_sgpr_flat_scratch_init 0
		.amdhsa_user_sgpr_kernarg_preload_length 0
		.amdhsa_user_sgpr_kernarg_preload_offset 0
		.amdhsa_user_sgpr_private_segment_size 0
		.amdhsa_uses_dynamic_stack 0
		.amdhsa_system_sgpr_private_segment_wavefront_offset 0
		.amdhsa_system_sgpr_workgroup_id_x 1
		.amdhsa_system_sgpr_workgroup_id_y 1
		.amdhsa_system_sgpr_workgroup_id_z 0
		.amdhsa_system_sgpr_workgroup_info 0
		.amdhsa_system_vgpr_workitem_id 1
		.amdhsa_next_free_vgpr 5
		.amdhsa_next_free_sgpr 17
		.amdhsa_accum_offset 8
		.amdhsa_reserve_vcc 1
		.amdhsa_reserve_flat_scratch 0
		.amdhsa_float_round_mode_32 0
		.amdhsa_float_round_mode_16_64 0
		.amdhsa_float_denorm_mode_32 3
		.amdhsa_float_denorm_mode_16_64 3
		.amdhsa_dx10_clamp 1
		.amdhsa_ieee_mode 1
		.amdhsa_fp16_overflow 0
		.amdhsa_tg_split 0
		.amdhsa_exception_fp_ieee_invalid_op 0
		.amdhsa_exception_fp_denorm_src 0
		.amdhsa_exception_fp_ieee_div_zero 0
		.amdhsa_exception_fp_ieee_overflow 0
		.amdhsa_exception_fp_ieee_underflow 0
		.amdhsa_exception_fp_ieee_inexact 0
		.amdhsa_exception_int_div_zero 0
	.end_amdhsa_kernel
	.section	.text._ZN9rocsolver6v33100L12restore_diagI19rocblas_complex_numIfEiS3_PKPS3_EEvPT1_llT2_lT0_lSA_,"axG",@progbits,_ZN9rocsolver6v33100L12restore_diagI19rocblas_complex_numIfEiS3_PKPS3_EEvPT1_llT2_lT0_lSA_,comdat
.Lfunc_end145:
	.size	_ZN9rocsolver6v33100L12restore_diagI19rocblas_complex_numIfEiS3_PKPS3_EEvPT1_llT2_lT0_lSA_, .Lfunc_end145-_ZN9rocsolver6v33100L12restore_diagI19rocblas_complex_numIfEiS3_PKPS3_EEvPT1_llT2_lT0_lSA_
                                        ; -- End function
	.section	.AMDGPU.csdata,"",@progbits
; Kernel info:
; codeLenInByte = 248
; NumSgprs: 21
; NumVgprs: 5
; NumAgprs: 0
; TotalNumVgprs: 5
; ScratchSize: 0
; MemoryBound: 0
; FloatMode: 240
; IeeeMode: 1
; LDSByteSize: 0 bytes/workgroup (compile time only)
; SGPRBlocks: 2
; VGPRBlocks: 0
; NumSGPRsForWavesPerEU: 21
; NumVGPRsForWavesPerEU: 5
; AccumOffset: 8
; Occupancy: 8
; WaveLimiterHint : 1
; COMPUTE_PGM_RSRC2:SCRATCH_EN: 0
; COMPUTE_PGM_RSRC2:USER_SGPR: 6
; COMPUTE_PGM_RSRC2:TRAP_HANDLER: 0
; COMPUTE_PGM_RSRC2:TGID_X_EN: 1
; COMPUTE_PGM_RSRC2:TGID_Y_EN: 1
; COMPUTE_PGM_RSRC2:TGID_Z_EN: 0
; COMPUTE_PGM_RSRC2:TIDIG_COMP_CNT: 1
; COMPUTE_PGM_RSRC3_GFX90A:ACCUM_OFFSET: 1
; COMPUTE_PGM_RSRC3_GFX90A:TG_SPLIT: 0
	.section	.text._ZN9rocsolver6v33100L8set_zeroI19rocblas_complex_numIfEPKPS3_EEviiT0_iil13rocblas_fill_,"axG",@progbits,_ZN9rocsolver6v33100L8set_zeroI19rocblas_complex_numIfEPKPS3_EEviiT0_iil13rocblas_fill_,comdat
	.globl	_ZN9rocsolver6v33100L8set_zeroI19rocblas_complex_numIfEPKPS3_EEviiT0_iil13rocblas_fill_ ; -- Begin function _ZN9rocsolver6v33100L8set_zeroI19rocblas_complex_numIfEPKPS3_EEviiT0_iil13rocblas_fill_
	.p2align	8
	.type	_ZN9rocsolver6v33100L8set_zeroI19rocblas_complex_numIfEPKPS3_EEviiT0_iil13rocblas_fill_,@function
_ZN9rocsolver6v33100L8set_zeroI19rocblas_complex_numIfEPKPS3_EEviiT0_iil13rocblas_fill_: ; @_ZN9rocsolver6v33100L8set_zeroI19rocblas_complex_numIfEPKPS3_EEviiT0_iil13rocblas_fill_
; %bb.0:
	s_load_dword s2, s[4:5], 0x34
	s_load_dwordx2 s[0:1], s[4:5], 0x0
	v_and_b32_e32 v1, 0x3ff, v0
	v_bfe_u32 v0, v0, 10, 10
	s_waitcnt lgkmcnt(0)
	s_lshr_b32 s3, s2, 16
	s_and_b32 s2, s2, 0xffff
	s_mul_i32 s6, s6, s2
	s_mul_i32 s7, s7, s3
	v_add_u32_e32 v2, s6, v1
	v_add_u32_e32 v0, s7, v0
	v_cmp_gt_u32_e32 vcc, s0, v2
	v_cmp_gt_u32_e64 s[0:1], s1, v0
	s_and_b64 s[0:1], vcc, s[0:1]
	s_and_saveexec_b64 s[2:3], s[0:1]
	s_cbranch_execz .LBB146_12
; %bb.1:
	s_load_dword s6, s[4:5], 0x20
	s_waitcnt lgkmcnt(0)
	s_cmpk_lt_i32 s6, 0x7a
	s_cbranch_scc1 .LBB146_4
; %bb.2:
	s_cmpk_gt_i32 s6, 0x7a
	s_cbranch_scc0 .LBB146_5
; %bb.3:
	s_cmpk_eq_i32 s6, 0x7b
	s_cselect_b64 s[0:1], -1, 0
	s_cbranch_execz .LBB146_6
	s_branch .LBB146_7
.LBB146_4:
	s_mov_b64 s[0:1], 0
	s_cbranch_execnz .LBB146_8
	s_branch .LBB146_10
.LBB146_5:
	s_mov_b64 s[0:1], 0
.LBB146_6:
	v_cmp_gt_u32_e32 vcc, v0, v2
	s_andn2_b64 s[0:1], s[0:1], exec
	s_and_b64 s[2:3], vcc, exec
	s_or_b64 s[0:1], s[0:1], s[2:3]
.LBB146_7:
	s_branch .LBB146_10
.LBB146_8:
	s_cmpk_eq_i32 s6, 0x79
	s_cbranch_scc0 .LBB146_10
; %bb.9:
	v_cmp_gt_u32_e32 vcc, v2, v0
	s_andn2_b64 s[0:1], s[0:1], exec
	s_and_b64 s[2:3], vcc, exec
	s_or_b64 s[0:1], s[0:1], s[2:3]
.LBB146_10:
	s_and_b64 exec, exec, s[0:1]
	s_cbranch_execz .LBB146_12
; %bb.11:
	s_load_dwordx4 s[0:3], s[4:5], 0x8
	s_mov_b32 s9, 0
	s_lshl_b64 s[4:5], s[8:9], 3
	s_waitcnt lgkmcnt(0)
	s_ashr_i32 s7, s2, 31
	s_add_u32 s0, s0, s4
	s_addc_u32 s1, s1, s5
	s_load_dwordx2 s[0:1], s[0:1], 0x0
	s_mov_b32 s6, s2
	v_mad_u64_u32 v[0:1], s[2:3], v0, s3, v[2:3]
	s_lshl_b64 s[2:3], s[6:7], 3
	v_mov_b32_e32 v1, 0
	s_waitcnt lgkmcnt(0)
	s_add_u32 s0, s0, s2
	v_lshlrev_b64 v[2:3], 3, v[0:1]
	s_addc_u32 s1, s1, s3
	v_mov_b32_e32 v0, s1
	v_add_co_u32_e32 v2, vcc, s0, v2
	v_addc_co_u32_e32 v3, vcc, v0, v3, vcc
	v_mov_b32_e32 v0, v1
	global_store_dwordx2 v[2:3], v[0:1], off
.LBB146_12:
	s_endpgm
	.section	.rodata,"a",@progbits
	.p2align	6, 0x0
	.amdhsa_kernel _ZN9rocsolver6v33100L8set_zeroI19rocblas_complex_numIfEPKPS3_EEviiT0_iil13rocblas_fill_
		.amdhsa_group_segment_fixed_size 0
		.amdhsa_private_segment_fixed_size 0
		.amdhsa_kernarg_size 296
		.amdhsa_user_sgpr_count 6
		.amdhsa_user_sgpr_private_segment_buffer 1
		.amdhsa_user_sgpr_dispatch_ptr 0
		.amdhsa_user_sgpr_queue_ptr 0
		.amdhsa_user_sgpr_kernarg_segment_ptr 1
		.amdhsa_user_sgpr_dispatch_id 0
		.amdhsa_user_sgpr_flat_scratch_init 0
		.amdhsa_user_sgpr_kernarg_preload_length 0
		.amdhsa_user_sgpr_kernarg_preload_offset 0
		.amdhsa_user_sgpr_private_segment_size 0
		.amdhsa_uses_dynamic_stack 0
		.amdhsa_system_sgpr_private_segment_wavefront_offset 0
		.amdhsa_system_sgpr_workgroup_id_x 1
		.amdhsa_system_sgpr_workgroup_id_y 1
		.amdhsa_system_sgpr_workgroup_id_z 1
		.amdhsa_system_sgpr_workgroup_info 0
		.amdhsa_system_vgpr_workitem_id 1
		.amdhsa_next_free_vgpr 4
		.amdhsa_next_free_sgpr 10
		.amdhsa_accum_offset 4
		.amdhsa_reserve_vcc 1
		.amdhsa_reserve_flat_scratch 0
		.amdhsa_float_round_mode_32 0
		.amdhsa_float_round_mode_16_64 0
		.amdhsa_float_denorm_mode_32 3
		.amdhsa_float_denorm_mode_16_64 3
		.amdhsa_dx10_clamp 1
		.amdhsa_ieee_mode 1
		.amdhsa_fp16_overflow 0
		.amdhsa_tg_split 0
		.amdhsa_exception_fp_ieee_invalid_op 0
		.amdhsa_exception_fp_denorm_src 0
		.amdhsa_exception_fp_ieee_div_zero 0
		.amdhsa_exception_fp_ieee_overflow 0
		.amdhsa_exception_fp_ieee_underflow 0
		.amdhsa_exception_fp_ieee_inexact 0
		.amdhsa_exception_int_div_zero 0
	.end_amdhsa_kernel
	.section	.text._ZN9rocsolver6v33100L8set_zeroI19rocblas_complex_numIfEPKPS3_EEviiT0_iil13rocblas_fill_,"axG",@progbits,_ZN9rocsolver6v33100L8set_zeroI19rocblas_complex_numIfEPKPS3_EEviiT0_iil13rocblas_fill_,comdat
.Lfunc_end146:
	.size	_ZN9rocsolver6v33100L8set_zeroI19rocblas_complex_numIfEPKPS3_EEviiT0_iil13rocblas_fill_, .Lfunc_end146-_ZN9rocsolver6v33100L8set_zeroI19rocblas_complex_numIfEPKPS3_EEviiT0_iil13rocblas_fill_
                                        ; -- End function
	.section	.AMDGPU.csdata,"",@progbits
; Kernel info:
; codeLenInByte = 308
; NumSgprs: 14
; NumVgprs: 4
; NumAgprs: 0
; TotalNumVgprs: 4
; ScratchSize: 0
; MemoryBound: 0
; FloatMode: 240
; IeeeMode: 1
; LDSByteSize: 0 bytes/workgroup (compile time only)
; SGPRBlocks: 1
; VGPRBlocks: 0
; NumSGPRsForWavesPerEU: 14
; NumVGPRsForWavesPerEU: 4
; AccumOffset: 4
; Occupancy: 8
; WaveLimiterHint : 1
; COMPUTE_PGM_RSRC2:SCRATCH_EN: 0
; COMPUTE_PGM_RSRC2:USER_SGPR: 6
; COMPUTE_PGM_RSRC2:TRAP_HANDLER: 0
; COMPUTE_PGM_RSRC2:TGID_X_EN: 1
; COMPUTE_PGM_RSRC2:TGID_Y_EN: 1
; COMPUTE_PGM_RSRC2:TGID_Z_EN: 1
; COMPUTE_PGM_RSRC2:TIDIG_COMP_CNT: 1
; COMPUTE_PGM_RSRC3_GFX90A:ACCUM_OFFSET: 0
; COMPUTE_PGM_RSRC3_GFX90A:TG_SPLIT: 0
	.section	.text._ZN9rocsolver6v33100L16org2r_init_identI19rocblas_complex_numIfEPKPS3_EEviiiT0_iil,"axG",@progbits,_ZN9rocsolver6v33100L16org2r_init_identI19rocblas_complex_numIfEPKPS3_EEviiiT0_iil,comdat
	.globl	_ZN9rocsolver6v33100L16org2r_init_identI19rocblas_complex_numIfEPKPS3_EEviiiT0_iil ; -- Begin function _ZN9rocsolver6v33100L16org2r_init_identI19rocblas_complex_numIfEPKPS3_EEviiiT0_iil
	.p2align	8
	.type	_ZN9rocsolver6v33100L16org2r_init_identI19rocblas_complex_numIfEPKPS3_EEviiiT0_iil,@function
_ZN9rocsolver6v33100L16org2r_init_identI19rocblas_complex_numIfEPKPS3_EEviiiT0_iil: ; @_ZN9rocsolver6v33100L16org2r_init_identI19rocblas_complex_numIfEPKPS3_EEviiiT0_iil
; %bb.0:
	s_load_dword s0, s[4:5], 0x34
	s_load_dwordx4 s[12:15], s[4:5], 0x0
	v_bfe_u32 v1, v0, 10, 10
	v_and_b32_e32 v0, 0x3ff, v0
	s_waitcnt lgkmcnt(0)
	s_lshr_b32 s1, s0, 16
	s_and_b32 s0, s0, 0xffff
	s_mul_i32 s7, s7, s1
	s_mul_i32 s6, s6, s0
	v_add_u32_e32 v2, s7, v1
	v_add_u32_e32 v4, s6, v0
	v_cmp_gt_u32_e32 vcc, s12, v4
	v_cmp_gt_u32_e64 s[0:1], s13, v2
	s_and_b64 s[0:1], vcc, s[0:1]
	s_and_saveexec_b64 s[2:3], s[0:1]
	s_cbranch_execz .LBB147_5
; %bb.1:
	s_load_dwordx4 s[0:3], s[4:5], 0x10
	s_mov_b32 s9, 0
	s_lshl_b64 s[4:5], s[8:9], 3
	v_cmp_ne_u32_e32 vcc, v4, v2
                                        ; implicit-def: $vgpr0_vgpr1
	s_waitcnt lgkmcnt(0)
	s_ashr_i32 s7, s2, 31
	s_add_u32 s0, s0, s4
	s_addc_u32 s1, s1, s5
	s_load_dwordx2 s[0:1], s[0:1], 0x0
	s_mov_b32 s6, s2
	s_lshl_b64 s[4:5], s[6:7], 3
	s_waitcnt lgkmcnt(0)
	s_add_u32 s2, s0, s4
	s_addc_u32 s10, s1, s5
	s_mov_b64 s[4:5], 0
	s_and_saveexec_b64 s[0:1], vcc
	s_xor_b64 s[0:1], exec, s[0:1]
	s_cbranch_execnz .LBB147_6
; %bb.2:
	s_andn2_saveexec_b64 s[0:1], s[0:1]
	s_cbranch_execnz .LBB147_13
.LBB147_3:
	s_or_b64 exec, exec, s[0:1]
	s_and_b64 exec, exec, s[4:5]
	s_cbranch_execz .LBB147_5
.LBB147_4:
	v_mov_b32_e32 v2, 0
	global_store_dword v[0:1], v2, off
.LBB147_5:
	s_endpgm
.LBB147_6:
	v_cmp_le_u32_e32 vcc, v2, v4
                                        ; implicit-def: $vgpr0_vgpr1
	s_and_saveexec_b64 s[6:7], vcc
	s_xor_b64 s[6:7], exec, s[6:7]
	s_cbranch_execz .LBB147_10
; %bb.7:
	v_cmp_le_u32_e32 vcc, s14, v2
                                        ; implicit-def: $vgpr0_vgpr1
	s_and_saveexec_b64 s[8:9], vcc
	s_xor_b64 s[8:9], exec, s[8:9]
	s_cbranch_execz .LBB147_9
; %bb.8:
	v_mad_u64_u32 v[2:3], s[12:13], v2, s3, v[4:5]
	v_mov_b32_e32 v3, 0
	v_lshlrev_b64 v[0:1], 3, v[2:3]
	v_mov_b32_e32 v2, s10
	v_add_co_u32_e32 v4, vcc, s2, v0
	v_addc_co_u32_e32 v5, vcc, v2, v1, vcc
	v_add_co_u32_e32 v0, vcc, 4, v4
	s_mov_b64 s[4:5], exec
	v_addc_co_u32_e32 v1, vcc, 0, v5, vcc
	global_store_dword v[4:5], v3, off
.LBB147_9:
	s_or_b64 exec, exec, s[8:9]
	s_and_b64 s[4:5], s[4:5], exec
                                        ; implicit-def: $vgpr4
                                        ; implicit-def: $vgpr2
.LBB147_10:
	s_andn2_saveexec_b64 s[6:7], s[6:7]
	s_cbranch_execz .LBB147_12
; %bb.11:
	v_mad_u64_u32 v[0:1], s[8:9], v2, s3, v[4:5]
	v_mov_b32_e32 v1, 0
	v_lshlrev_b64 v[2:3], 3, v[0:1]
	v_mov_b32_e32 v0, s10
	v_add_co_u32_e32 v2, vcc, s2, v2
	v_addc_co_u32_e32 v3, vcc, v0, v3, vcc
	v_add_co_u32_e32 v0, vcc, 4, v2
	global_store_dword v[2:3], v1, off
	v_addc_co_u32_e32 v1, vcc, 0, v3, vcc
	s_or_b64 s[4:5], s[4:5], exec
.LBB147_12:
	s_or_b64 exec, exec, s[6:7]
	s_and_b64 s[4:5], s[4:5], exec
                                        ; implicit-def: $vgpr2
	s_andn2_saveexec_b64 s[0:1], s[0:1]
	s_cbranch_execz .LBB147_3
.LBB147_13:
	v_mad_u64_u32 v[0:1], s[6:7], v2, s3, v[2:3]
	v_mov_b32_e32 v1, 0
	v_lshlrev_b64 v[0:1], 3, v[0:1]
	v_mov_b32_e32 v2, s10
	v_add_co_u32_e32 v0, vcc, s2, v0
	v_addc_co_u32_e32 v1, vcc, v2, v1, vcc
	v_mov_b32_e32 v2, 1.0
	global_store_dword v[0:1], v2, off
	v_add_co_u32_e32 v0, vcc, 4, v0
	v_addc_co_u32_e32 v1, vcc, 0, v1, vcc
	s_or_b64 s[4:5], s[4:5], exec
	s_or_b64 exec, exec, s[0:1]
	s_and_b64 exec, exec, s[4:5]
	s_cbranch_execnz .LBB147_4
	s_branch .LBB147_5
	.section	.rodata,"a",@progbits
	.p2align	6, 0x0
	.amdhsa_kernel _ZN9rocsolver6v33100L16org2r_init_identI19rocblas_complex_numIfEPKPS3_EEviiiT0_iil
		.amdhsa_group_segment_fixed_size 0
		.amdhsa_private_segment_fixed_size 0
		.amdhsa_kernarg_size 296
		.amdhsa_user_sgpr_count 6
		.amdhsa_user_sgpr_private_segment_buffer 1
		.amdhsa_user_sgpr_dispatch_ptr 0
		.amdhsa_user_sgpr_queue_ptr 0
		.amdhsa_user_sgpr_kernarg_segment_ptr 1
		.amdhsa_user_sgpr_dispatch_id 0
		.amdhsa_user_sgpr_flat_scratch_init 0
		.amdhsa_user_sgpr_kernarg_preload_length 0
		.amdhsa_user_sgpr_kernarg_preload_offset 0
		.amdhsa_user_sgpr_private_segment_size 0
		.amdhsa_uses_dynamic_stack 0
		.amdhsa_system_sgpr_private_segment_wavefront_offset 0
		.amdhsa_system_sgpr_workgroup_id_x 1
		.amdhsa_system_sgpr_workgroup_id_y 1
		.amdhsa_system_sgpr_workgroup_id_z 1
		.amdhsa_system_sgpr_workgroup_info 0
		.amdhsa_system_vgpr_workitem_id 1
		.amdhsa_next_free_vgpr 6
		.amdhsa_next_free_sgpr 16
		.amdhsa_accum_offset 8
		.amdhsa_reserve_vcc 1
		.amdhsa_reserve_flat_scratch 0
		.amdhsa_float_round_mode_32 0
		.amdhsa_float_round_mode_16_64 0
		.amdhsa_float_denorm_mode_32 3
		.amdhsa_float_denorm_mode_16_64 3
		.amdhsa_dx10_clamp 1
		.amdhsa_ieee_mode 1
		.amdhsa_fp16_overflow 0
		.amdhsa_tg_split 0
		.amdhsa_exception_fp_ieee_invalid_op 0
		.amdhsa_exception_fp_denorm_src 0
		.amdhsa_exception_fp_ieee_div_zero 0
		.amdhsa_exception_fp_ieee_overflow 0
		.amdhsa_exception_fp_ieee_underflow 0
		.amdhsa_exception_fp_ieee_inexact 0
		.amdhsa_exception_int_div_zero 0
	.end_amdhsa_kernel
	.section	.text._ZN9rocsolver6v33100L16org2r_init_identI19rocblas_complex_numIfEPKPS3_EEviiiT0_iil,"axG",@progbits,_ZN9rocsolver6v33100L16org2r_init_identI19rocblas_complex_numIfEPKPS3_EEviiiT0_iil,comdat
.Lfunc_end147:
	.size	_ZN9rocsolver6v33100L16org2r_init_identI19rocblas_complex_numIfEPKPS3_EEviiiT0_iil, .Lfunc_end147-_ZN9rocsolver6v33100L16org2r_init_identI19rocblas_complex_numIfEPKPS3_EEviiiT0_iil
                                        ; -- End function
	.section	.AMDGPU.csdata,"",@progbits
; Kernel info:
; codeLenInByte = 444
; NumSgprs: 20
; NumVgprs: 6
; NumAgprs: 0
; TotalNumVgprs: 6
; ScratchSize: 0
; MemoryBound: 0
; FloatMode: 240
; IeeeMode: 1
; LDSByteSize: 0 bytes/workgroup (compile time only)
; SGPRBlocks: 2
; VGPRBlocks: 0
; NumSGPRsForWavesPerEU: 20
; NumVGPRsForWavesPerEU: 6
; AccumOffset: 8
; Occupancy: 8
; WaveLimiterHint : 1
; COMPUTE_PGM_RSRC2:SCRATCH_EN: 0
; COMPUTE_PGM_RSRC2:USER_SGPR: 6
; COMPUTE_PGM_RSRC2:TRAP_HANDLER: 0
; COMPUTE_PGM_RSRC2:TGID_X_EN: 1
; COMPUTE_PGM_RSRC2:TGID_Y_EN: 1
; COMPUTE_PGM_RSRC2:TGID_Z_EN: 1
; COMPUTE_PGM_RSRC2:TIDIG_COMP_CNT: 1
; COMPUTE_PGM_RSRC3_GFX90A:ACCUM_OFFSET: 1
; COMPUTE_PGM_RSRC3_GFX90A:TG_SPLIT: 0
	.section	.text._ZN9rocsolver6v33100L12subtract_tauI19rocblas_complex_numIfEPKPS3_EEviiT0_iilPT_l,"axG",@progbits,_ZN9rocsolver6v33100L12subtract_tauI19rocblas_complex_numIfEPKPS3_EEviiT0_iilPT_l,comdat
	.globl	_ZN9rocsolver6v33100L12subtract_tauI19rocblas_complex_numIfEPKPS3_EEviiT0_iilPT_l ; -- Begin function _ZN9rocsolver6v33100L12subtract_tauI19rocblas_complex_numIfEPKPS3_EEviiT0_iilPT_l
	.p2align	8
	.type	_ZN9rocsolver6v33100L12subtract_tauI19rocblas_complex_numIfEPKPS3_EEviiT0_iilPT_l,@function
_ZN9rocsolver6v33100L12subtract_tauI19rocblas_complex_numIfEPKPS3_EEviiT0_iilPT_l: ; @_ZN9rocsolver6v33100L12subtract_tauI19rocblas_complex_numIfEPKPS3_EEviiT0_iilPT_l
; %bb.0:
	s_load_dwordx2 s[12:13], s[4:5], 0x10
	s_load_dwordx4 s[0:3], s[4:5], 0x0
	s_mov_b32 s7, 0
	s_load_dwordx4 s[8:11], s[4:5], 0x20
	s_lshl_b64 s[14:15], s[6:7], 3
	s_waitcnt lgkmcnt(0)
	s_ashr_i32 s5, s12, 31
	s_add_u32 s2, s2, s14
	s_addc_u32 s3, s3, s15
	s_load_dwordx2 s[2:3], s[2:3], 0x0
	s_mov_b32 s4, s12
	s_lshl_b64 s[4:5], s[4:5], 3
	s_mul_i32 s7, s6, s11
	s_mul_i32 s1, s13, s1
	s_waitcnt lgkmcnt(0)
	s_add_u32 s11, s2, s4
	s_mul_hi_u32 s2, s6, s10
	s_addc_u32 s12, s3, s5
	s_add_i32 s3, s2, s7
	s_mul_i32 s2, s6, s10
	s_lshl_b64 s[2:3], s[2:3], 3
	s_add_u32 s2, s8, s2
	s_addc_u32 s3, s9, s3
	s_load_dwordx2 s[4:5], s[2:3], 0x0
	s_add_i32 s0, s1, s0
	s_ashr_i32 s1, s0, 31
	s_lshl_b64 s[0:1], s[0:1], 3
	v_mov_b32_e32 v2, 0
	s_waitcnt lgkmcnt(0)
	s_xor_b32 s5, s5, 0x80000000
	s_xor_b32 s6, s4, 0x80000000
	v_mov_b32_e32 v0, s6
	v_mov_b32_e32 v1, s5
	s_add_u32 s0, s11, s0
	global_store_dwordx2 v2, v[0:1], s[2:3]
	v_sub_f32_e64 v0, 1.0, s4
	s_addc_u32 s1, s12, s1
	global_store_dwordx2 v2, v[0:1], s[0:1]
	s_endpgm
	.section	.rodata,"a",@progbits
	.p2align	6, 0x0
	.amdhsa_kernel _ZN9rocsolver6v33100L12subtract_tauI19rocblas_complex_numIfEPKPS3_EEviiT0_iilPT_l
		.amdhsa_group_segment_fixed_size 0
		.amdhsa_private_segment_fixed_size 0
		.amdhsa_kernarg_size 48
		.amdhsa_user_sgpr_count 6
		.amdhsa_user_sgpr_private_segment_buffer 1
		.amdhsa_user_sgpr_dispatch_ptr 0
		.amdhsa_user_sgpr_queue_ptr 0
		.amdhsa_user_sgpr_kernarg_segment_ptr 1
		.amdhsa_user_sgpr_dispatch_id 0
		.amdhsa_user_sgpr_flat_scratch_init 0
		.amdhsa_user_sgpr_kernarg_preload_length 0
		.amdhsa_user_sgpr_kernarg_preload_offset 0
		.amdhsa_user_sgpr_private_segment_size 0
		.amdhsa_uses_dynamic_stack 0
		.amdhsa_system_sgpr_private_segment_wavefront_offset 0
		.amdhsa_system_sgpr_workgroup_id_x 1
		.amdhsa_system_sgpr_workgroup_id_y 0
		.amdhsa_system_sgpr_workgroup_id_z 0
		.amdhsa_system_sgpr_workgroup_info 0
		.amdhsa_system_vgpr_workitem_id 0
		.amdhsa_next_free_vgpr 3
		.amdhsa_next_free_sgpr 16
		.amdhsa_accum_offset 4
		.amdhsa_reserve_vcc 0
		.amdhsa_reserve_flat_scratch 0
		.amdhsa_float_round_mode_32 0
		.amdhsa_float_round_mode_16_64 0
		.amdhsa_float_denorm_mode_32 3
		.amdhsa_float_denorm_mode_16_64 3
		.amdhsa_dx10_clamp 1
		.amdhsa_ieee_mode 1
		.amdhsa_fp16_overflow 0
		.amdhsa_tg_split 0
		.amdhsa_exception_fp_ieee_invalid_op 0
		.amdhsa_exception_fp_denorm_src 0
		.amdhsa_exception_fp_ieee_div_zero 0
		.amdhsa_exception_fp_ieee_overflow 0
		.amdhsa_exception_fp_ieee_underflow 0
		.amdhsa_exception_fp_ieee_inexact 0
		.amdhsa_exception_int_div_zero 0
	.end_amdhsa_kernel
	.section	.text._ZN9rocsolver6v33100L12subtract_tauI19rocblas_complex_numIfEPKPS3_EEviiT0_iilPT_l,"axG",@progbits,_ZN9rocsolver6v33100L12subtract_tauI19rocblas_complex_numIfEPKPS3_EEviiT0_iilPT_l,comdat
.Lfunc_end148:
	.size	_ZN9rocsolver6v33100L12subtract_tauI19rocblas_complex_numIfEPKPS3_EEviiT0_iilPT_l, .Lfunc_end148-_ZN9rocsolver6v33100L12subtract_tauI19rocblas_complex_numIfEPKPS3_EEviiT0_iilPT_l
                                        ; -- End function
	.section	.AMDGPU.csdata,"",@progbits
; Kernel info:
; codeLenInByte = 196
; NumSgprs: 20
; NumVgprs: 3
; NumAgprs: 0
; TotalNumVgprs: 3
; ScratchSize: 0
; MemoryBound: 0
; FloatMode: 240
; IeeeMode: 1
; LDSByteSize: 0 bytes/workgroup (compile time only)
; SGPRBlocks: 2
; VGPRBlocks: 0
; NumSGPRsForWavesPerEU: 20
; NumVGPRsForWavesPerEU: 3
; AccumOffset: 4
; Occupancy: 8
; WaveLimiterHint : 1
; COMPUTE_PGM_RSRC2:SCRATCH_EN: 0
; COMPUTE_PGM_RSRC2:USER_SGPR: 6
; COMPUTE_PGM_RSRC2:TRAP_HANDLER: 0
; COMPUTE_PGM_RSRC2:TGID_X_EN: 1
; COMPUTE_PGM_RSRC2:TGID_Y_EN: 0
; COMPUTE_PGM_RSRC2:TGID_Z_EN: 0
; COMPUTE_PGM_RSRC2:TIDIG_COMP_CNT: 0
; COMPUTE_PGM_RSRC3_GFX90A:ACCUM_OFFSET: 0
; COMPUTE_PGM_RSRC3_GFX90A:TG_SPLIT: 0
	.section	.text._ZN9rocsolver6v33100L6restauI19rocblas_complex_numIfEEEviPT_l,"axG",@progbits,_ZN9rocsolver6v33100L6restauI19rocblas_complex_numIfEEEviPT_l,comdat
	.globl	_ZN9rocsolver6v33100L6restauI19rocblas_complex_numIfEEEviPT_l ; -- Begin function _ZN9rocsolver6v33100L6restauI19rocblas_complex_numIfEEEviPT_l
	.p2align	8
	.type	_ZN9rocsolver6v33100L6restauI19rocblas_complex_numIfEEEviPT_l,@function
_ZN9rocsolver6v33100L6restauI19rocblas_complex_numIfEEEviPT_l: ; @_ZN9rocsolver6v33100L6restauI19rocblas_complex_numIfEEEviPT_l
; %bb.0:
	s_load_dword s0, s[4:5], 0x24
	s_load_dword s1, s[4:5], 0x0
	s_waitcnt lgkmcnt(0)
	s_and_b32 s0, s0, 0xffff
	s_mul_i32 s6, s6, s0
	v_add_u32_e32 v0, s6, v0
	v_cmp_gt_u32_e32 vcc, s1, v0
	s_and_saveexec_b64 s[0:1], vcc
	s_cbranch_execz .LBB149_2
; %bb.1:
	s_load_dwordx4 s[0:3], s[4:5], 0x8
	v_mov_b32_e32 v1, 0
	v_lshlrev_b64 v[0:1], 3, v[0:1]
	s_waitcnt lgkmcnt(0)
	s_mul_i32 s3, s7, s3
	s_mul_hi_u32 s4, s7, s2
	s_mul_i32 s2, s7, s2
	s_add_i32 s3, s4, s3
	s_lshl_b64 s[2:3], s[2:3], 3
	s_add_u32 s0, s0, s2
	s_addc_u32 s1, s1, s3
	v_mov_b32_e32 v2, s1
	v_add_co_u32_e32 v0, vcc, s0, v0
	v_addc_co_u32_e32 v1, vcc, v2, v1, vcc
	global_load_dwordx2 v[2:3], v[0:1], off
	s_waitcnt vmcnt(0)
	v_pk_add_f32 v[2:3], v[2:3], 0 neg_lo:[1,1] neg_hi:[1,1]
	global_store_dwordx2 v[0:1], v[2:3], off
.LBB149_2:
	s_endpgm
	.section	.rodata,"a",@progbits
	.p2align	6, 0x0
	.amdhsa_kernel _ZN9rocsolver6v33100L6restauI19rocblas_complex_numIfEEEviPT_l
		.amdhsa_group_segment_fixed_size 0
		.amdhsa_private_segment_fixed_size 0
		.amdhsa_kernarg_size 280
		.amdhsa_user_sgpr_count 6
		.amdhsa_user_sgpr_private_segment_buffer 1
		.amdhsa_user_sgpr_dispatch_ptr 0
		.amdhsa_user_sgpr_queue_ptr 0
		.amdhsa_user_sgpr_kernarg_segment_ptr 1
		.amdhsa_user_sgpr_dispatch_id 0
		.amdhsa_user_sgpr_flat_scratch_init 0
		.amdhsa_user_sgpr_kernarg_preload_length 0
		.amdhsa_user_sgpr_kernarg_preload_offset 0
		.amdhsa_user_sgpr_private_segment_size 0
		.amdhsa_uses_dynamic_stack 0
		.amdhsa_system_sgpr_private_segment_wavefront_offset 0
		.amdhsa_system_sgpr_workgroup_id_x 1
		.amdhsa_system_sgpr_workgroup_id_y 1
		.amdhsa_system_sgpr_workgroup_id_z 0
		.amdhsa_system_sgpr_workgroup_info 0
		.amdhsa_system_vgpr_workitem_id 0
		.amdhsa_next_free_vgpr 4
		.amdhsa_next_free_sgpr 8
		.amdhsa_accum_offset 4
		.amdhsa_reserve_vcc 1
		.amdhsa_reserve_flat_scratch 0
		.amdhsa_float_round_mode_32 0
		.amdhsa_float_round_mode_16_64 0
		.amdhsa_float_denorm_mode_32 3
		.amdhsa_float_denorm_mode_16_64 3
		.amdhsa_dx10_clamp 1
		.amdhsa_ieee_mode 1
		.amdhsa_fp16_overflow 0
		.amdhsa_tg_split 0
		.amdhsa_exception_fp_ieee_invalid_op 0
		.amdhsa_exception_fp_denorm_src 0
		.amdhsa_exception_fp_ieee_div_zero 0
		.amdhsa_exception_fp_ieee_overflow 0
		.amdhsa_exception_fp_ieee_underflow 0
		.amdhsa_exception_fp_ieee_inexact 0
		.amdhsa_exception_int_div_zero 0
	.end_amdhsa_kernel
	.section	.text._ZN9rocsolver6v33100L6restauI19rocblas_complex_numIfEEEviPT_l,"axG",@progbits,_ZN9rocsolver6v33100L6restauI19rocblas_complex_numIfEEEviPT_l,comdat
.Lfunc_end149:
	.size	_ZN9rocsolver6v33100L6restauI19rocblas_complex_numIfEEEviPT_l, .Lfunc_end149-_ZN9rocsolver6v33100L6restauI19rocblas_complex_numIfEEEviPT_l
                                        ; -- End function
	.section	.AMDGPU.csdata,"",@progbits
; Kernel info:
; codeLenInByte = 144
; NumSgprs: 12
; NumVgprs: 4
; NumAgprs: 0
; TotalNumVgprs: 4
; ScratchSize: 0
; MemoryBound: 0
; FloatMode: 240
; IeeeMode: 1
; LDSByteSize: 0 bytes/workgroup (compile time only)
; SGPRBlocks: 1
; VGPRBlocks: 0
; NumSGPRsForWavesPerEU: 12
; NumVGPRsForWavesPerEU: 4
; AccumOffset: 4
; Occupancy: 8
; WaveLimiterHint : 0
; COMPUTE_PGM_RSRC2:SCRATCH_EN: 0
; COMPUTE_PGM_RSRC2:USER_SGPR: 6
; COMPUTE_PGM_RSRC2:TRAP_HANDLER: 0
; COMPUTE_PGM_RSRC2:TGID_X_EN: 1
; COMPUTE_PGM_RSRC2:TGID_Y_EN: 1
; COMPUTE_PGM_RSRC2:TGID_Z_EN: 0
; COMPUTE_PGM_RSRC2:TIDIG_COMP_CNT: 0
; COMPUTE_PGM_RSRC3_GFX90A:ACCUM_OFFSET: 0
; COMPUTE_PGM_RSRC3_GFX90A:TG_SPLIT: 0
	.section	.text._ZN9rocsolver6v33100L15copyshift_rightI19rocblas_complex_numIfEPKPS3_EEvbiT0_iilPT_iil,"axG",@progbits,_ZN9rocsolver6v33100L15copyshift_rightI19rocblas_complex_numIfEPKPS3_EEvbiT0_iilPT_iil,comdat
	.globl	_ZN9rocsolver6v33100L15copyshift_rightI19rocblas_complex_numIfEPKPS3_EEvbiT0_iilPT_iil ; -- Begin function _ZN9rocsolver6v33100L15copyshift_rightI19rocblas_complex_numIfEPKPS3_EEvbiT0_iilPT_iil
	.p2align	8
	.type	_ZN9rocsolver6v33100L15copyshift_rightI19rocblas_complex_numIfEPKPS3_EEvbiT0_iilPT_iil,@function
_ZN9rocsolver6v33100L15copyshift_rightI19rocblas_complex_numIfEPKPS3_EEvbiT0_iilPT_iil: ; @_ZN9rocsolver6v33100L15copyshift_rightI19rocblas_complex_numIfEPKPS3_EEvbiT0_iilPT_iil
; %bb.0:
	s_load_dwordx4 s[0:3], s[4:5], 0x0
	s_load_dword s9, s[4:5], 0x44
	s_load_dwordx2 s[10:11], s[4:5], 0x10
	v_and_b32_e32 v1, 0x3ff, v0
	v_bfe_u32 v0, v0, 10, 10
	s_waitcnt lgkmcnt(0)
	s_bitcmp1_b32 s0, 0
	s_cselect_b64 s[12:13], -1, 0
	s_and_b32 s0, s9, 0xffff
	s_lshr_b32 s9, s9, 16
	s_mul_i32 s16, s7, s9
	s_mov_b32 s9, 0
	s_xor_b64 s[12:13], s[12:13], -1
	s_ashr_i32 s7, s10, 31
	s_lshl_b64 s[14:15], s[8:9], 3
	s_add_u32 s2, s2, s14
	s_addc_u32 s3, s3, s15
	s_load_dwordx2 s[2:3], s[2:3], 0x0
	s_mul_i32 s6, s6, s0
	v_add_u32_e32 v2, s6, v1
	v_add_u32_e32 v0, s16, v0
	s_mov_b32 s6, s10
	s_lshl_b64 s[6:7], s[6:7], 3
	v_or_b32_e32 v1, v2, v0
	s_waitcnt lgkmcnt(0)
	s_add_u32 s6, s2, s6
	v_cmp_eq_u32_e32 vcc, 0, v1
	s_addc_u32 s7, s3, s7
	s_and_b64 s[14:15], vcc, s[12:13]
	s_and_saveexec_b64 s[2:3], s[14:15]
	s_cbranch_execz .LBB150_2
; %bb.1:
	v_mov_b32_e32 v4, 1.0
	v_mov_b32_e32 v5, 0
	global_store_dwordx2 v5, v[4:5], s[6:7]
.LBB150_2:
	s_or_b64 exec, exec, s[2:3]
	v_max_u32_e32 v1, v0, v2
	v_cmp_gt_u32_e32 vcc, s1, v1
	v_cmp_le_u32_e64 s[0:1], v0, v2
	s_and_b64 s[0:1], s[0:1], vcc
	s_and_saveexec_b64 s[2:3], s[0:1]
	s_cbranch_execz .LBB150_11
; %bb.3:
	s_load_dwordx4 s[0:3], s[4:5], 0x20
	s_load_dwordx2 s[14:15], s[4:5], 0x30
	s_waitcnt lgkmcnt(0)
	s_ashr_i32 s5, s2, 31
	s_mov_b32 s4, s2
	s_mul_i32 s2, s8, s15
	s_mul_hi_u32 s9, s8, s14
	s_add_i32 s9, s9, s2
	s_mul_i32 s8, s8, s14
	s_lshl_b64 s[8:9], s[8:9], 3
	s_add_u32 s2, s0, s8
	s_addc_u32 s8, s1, s9
	s_lshl_b64 s[0:1], s[4:5], 3
	s_add_u32 s2, s2, s0
	s_addc_u32 s4, s8, s1
	v_mad_u64_u32 v[4:5], s[0:1], v0, v0, v[0:1]
	v_lshrrev_b32_e32 v3, 1, v4
	s_mov_b64 s[0:1], -1
	s_and_b64 vcc, exec, s[12:13]
	s_cbranch_vccz .LBB150_7
; %bb.4:
	v_mad_u64_u32 v[4:5], s[0:1], v0, s3, v[2:3]
	v_sub_u32_e32 v4, v4, v3
	v_mov_b32_e32 v5, 0
	v_lshlrev_b64 v[6:7], 3, v[4:5]
	v_mov_b32_e32 v1, s4
	v_add_co_u32_e32 v6, vcc, s2, v6
	v_addc_co_u32_e32 v7, vcc, v1, v7, vcc
	global_load_dwordx2 v[6:7], v[6:7], off
	v_mul_lo_u32 v1, v0, s11
	v_add3_u32 v4, v2, v1, 1
	v_lshlrev_b64 v[8:9], 3, v[4:5]
	v_mov_b32_e32 v10, s7
	v_add_co_u32_e32 v8, vcc, s6, v8
	v_addc_co_u32_e32 v9, vcc, v10, v9, vcc
	v_cmp_eq_u32_e32 vcc, v2, v0
	s_waitcnt vmcnt(0)
	global_store_dwordx2 v[8:9], v[6:7], off
	s_and_saveexec_b64 s[0:1], vcc
	s_cbranch_execz .LBB150_6
; %bb.5:
	v_add_u32_e32 v4, s11, v1
	v_lshlrev_b64 v[6:7], 3, v[4:5]
	v_mov_b32_e32 v1, s7
	v_add_co_u32_e32 v6, vcc, s6, v6
	v_addc_co_u32_e32 v7, vcc, v1, v7, vcc
	v_mov_b32_e32 v4, v5
	global_store_dwordx2 v[6:7], v[4:5], off
.LBB150_6:
	s_or_b64 exec, exec, s[0:1]
	s_mov_b64 s[0:1], 0
.LBB150_7:
	s_andn2_b64 vcc, exec, s[0:1]
	s_cbranch_vccnz .LBB150_11
; %bb.8:
	v_cmp_ne_u32_e32 vcc, 0, v0
	v_mov_b32_e32 v1, 0
	v_mov_b32_e32 v4, 0
	;; [unrolled: 1-line block ×3, first 2 shown]
	s_and_saveexec_b64 s[0:1], vcc
	s_cbranch_execz .LBB150_10
; %bb.9:
	v_add_u32_e32 v4, -1, v0
	v_mul_lo_u32 v4, v4, s11
	v_add3_u32 v4, v2, v4, 1
	v_mov_b32_e32 v5, 0
	v_lshlrev_b64 v[4:5], 3, v[4:5]
	v_mov_b32_e32 v6, s7
	v_add_co_u32_e32 v4, vcc, s6, v4
	v_addc_co_u32_e32 v5, vcc, v6, v5, vcc
	global_load_dwordx2 v[4:5], v[4:5], off
.LBB150_10:
	s_or_b64 exec, exec, s[0:1]
	v_mad_u64_u32 v[6:7], s[0:1], v0, s3, v[2:3]
	v_sub_u32_e32 v0, v6, v3
	v_lshlrev_b64 v[0:1], 3, v[0:1]
	v_mov_b32_e32 v2, s4
	v_add_co_u32_e32 v0, vcc, s2, v0
	v_addc_co_u32_e32 v1, vcc, v2, v1, vcc
	s_waitcnt vmcnt(0)
	global_store_dwordx2 v[0:1], v[4:5], off
.LBB150_11:
	s_endpgm
	.section	.rodata,"a",@progbits
	.p2align	6, 0x0
	.amdhsa_kernel _ZN9rocsolver6v33100L15copyshift_rightI19rocblas_complex_numIfEPKPS3_EEvbiT0_iilPT_iil
		.amdhsa_group_segment_fixed_size 0
		.amdhsa_private_segment_fixed_size 0
		.amdhsa_kernarg_size 312
		.amdhsa_user_sgpr_count 6
		.amdhsa_user_sgpr_private_segment_buffer 1
		.amdhsa_user_sgpr_dispatch_ptr 0
		.amdhsa_user_sgpr_queue_ptr 0
		.amdhsa_user_sgpr_kernarg_segment_ptr 1
		.amdhsa_user_sgpr_dispatch_id 0
		.amdhsa_user_sgpr_flat_scratch_init 0
		.amdhsa_user_sgpr_kernarg_preload_length 0
		.amdhsa_user_sgpr_kernarg_preload_offset 0
		.amdhsa_user_sgpr_private_segment_size 0
		.amdhsa_uses_dynamic_stack 0
		.amdhsa_system_sgpr_private_segment_wavefront_offset 0
		.amdhsa_system_sgpr_workgroup_id_x 1
		.amdhsa_system_sgpr_workgroup_id_y 1
		.amdhsa_system_sgpr_workgroup_id_z 1
		.amdhsa_system_sgpr_workgroup_info 0
		.amdhsa_system_vgpr_workitem_id 1
		.amdhsa_next_free_vgpr 11
		.amdhsa_next_free_sgpr 17
		.amdhsa_accum_offset 12
		.amdhsa_reserve_vcc 1
		.amdhsa_reserve_flat_scratch 0
		.amdhsa_float_round_mode_32 0
		.amdhsa_float_round_mode_16_64 0
		.amdhsa_float_denorm_mode_32 3
		.amdhsa_float_denorm_mode_16_64 3
		.amdhsa_dx10_clamp 1
		.amdhsa_ieee_mode 1
		.amdhsa_fp16_overflow 0
		.amdhsa_tg_split 0
		.amdhsa_exception_fp_ieee_invalid_op 0
		.amdhsa_exception_fp_denorm_src 0
		.amdhsa_exception_fp_ieee_div_zero 0
		.amdhsa_exception_fp_ieee_overflow 0
		.amdhsa_exception_fp_ieee_underflow 0
		.amdhsa_exception_fp_ieee_inexact 0
		.amdhsa_exception_int_div_zero 0
	.end_amdhsa_kernel
	.section	.text._ZN9rocsolver6v33100L15copyshift_rightI19rocblas_complex_numIfEPKPS3_EEvbiT0_iilPT_iil,"axG",@progbits,_ZN9rocsolver6v33100L15copyshift_rightI19rocblas_complex_numIfEPKPS3_EEvbiT0_iilPT_iil,comdat
.Lfunc_end150:
	.size	_ZN9rocsolver6v33100L15copyshift_rightI19rocblas_complex_numIfEPKPS3_EEvbiT0_iilPT_iil, .Lfunc_end150-_ZN9rocsolver6v33100L15copyshift_rightI19rocblas_complex_numIfEPKPS3_EEvbiT0_iilPT_iil
                                        ; -- End function
	.section	.AMDGPU.csdata,"",@progbits
; Kernel info:
; codeLenInByte = 576
; NumSgprs: 21
; NumVgprs: 11
; NumAgprs: 0
; TotalNumVgprs: 11
; ScratchSize: 0
; MemoryBound: 0
; FloatMode: 240
; IeeeMode: 1
; LDSByteSize: 0 bytes/workgroup (compile time only)
; SGPRBlocks: 2
; VGPRBlocks: 1
; NumSGPRsForWavesPerEU: 21
; NumVGPRsForWavesPerEU: 11
; AccumOffset: 12
; Occupancy: 8
; WaveLimiterHint : 1
; COMPUTE_PGM_RSRC2:SCRATCH_EN: 0
; COMPUTE_PGM_RSRC2:USER_SGPR: 6
; COMPUTE_PGM_RSRC2:TRAP_HANDLER: 0
; COMPUTE_PGM_RSRC2:TGID_X_EN: 1
; COMPUTE_PGM_RSRC2:TGID_Y_EN: 1
; COMPUTE_PGM_RSRC2:TGID_Z_EN: 1
; COMPUTE_PGM_RSRC2:TIDIG_COMP_CNT: 1
; COMPUTE_PGM_RSRC3_GFX90A:ACCUM_OFFSET: 2
; COMPUTE_PGM_RSRC3_GFX90A:TG_SPLIT: 0
	.section	.text._ZN9rocsolver6v33100L16orgl2_init_identI19rocblas_complex_numIfEPKPS3_EEviiiT0_iil,"axG",@progbits,_ZN9rocsolver6v33100L16orgl2_init_identI19rocblas_complex_numIfEPKPS3_EEviiiT0_iil,comdat
	.globl	_ZN9rocsolver6v33100L16orgl2_init_identI19rocblas_complex_numIfEPKPS3_EEviiiT0_iil ; -- Begin function _ZN9rocsolver6v33100L16orgl2_init_identI19rocblas_complex_numIfEPKPS3_EEviiiT0_iil
	.p2align	8
	.type	_ZN9rocsolver6v33100L16orgl2_init_identI19rocblas_complex_numIfEPKPS3_EEviiiT0_iil,@function
_ZN9rocsolver6v33100L16orgl2_init_identI19rocblas_complex_numIfEPKPS3_EEviiiT0_iil: ; @_ZN9rocsolver6v33100L16orgl2_init_identI19rocblas_complex_numIfEPKPS3_EEviiiT0_iil
; %bb.0:
	s_load_dword s0, s[4:5], 0x34
	s_load_dwordx4 s[12:15], s[4:5], 0x0
	v_bfe_u32 v1, v0, 10, 10
	v_and_b32_e32 v0, 0x3ff, v0
	s_waitcnt lgkmcnt(0)
	s_lshr_b32 s1, s0, 16
	s_and_b32 s0, s0, 0xffff
	s_mul_i32 s7, s7, s1
	s_mul_i32 s6, s6, s0
	v_add_u32_e32 v2, s7, v1
	v_add_u32_e32 v4, s6, v0
	v_cmp_gt_u32_e32 vcc, s12, v4
	v_cmp_gt_u32_e64 s[0:1], s13, v2
	s_and_b64 s[0:1], vcc, s[0:1]
	s_and_saveexec_b64 s[2:3], s[0:1]
	s_cbranch_execz .LBB151_5
; %bb.1:
	s_load_dwordx4 s[0:3], s[4:5], 0x10
	s_mov_b32 s9, 0
	s_lshl_b64 s[4:5], s[8:9], 3
	v_cmp_ne_u32_e32 vcc, v4, v2
                                        ; implicit-def: $vgpr0_vgpr1
	s_waitcnt lgkmcnt(0)
	s_ashr_i32 s7, s2, 31
	s_add_u32 s0, s0, s4
	s_addc_u32 s1, s1, s5
	s_load_dwordx2 s[0:1], s[0:1], 0x0
	s_mov_b32 s6, s2
	s_lshl_b64 s[4:5], s[6:7], 3
	s_waitcnt lgkmcnt(0)
	s_add_u32 s2, s0, s4
	s_addc_u32 s10, s1, s5
	s_mov_b64 s[4:5], 0
	s_and_saveexec_b64 s[0:1], vcc
	s_xor_b64 s[0:1], exec, s[0:1]
	s_cbranch_execnz .LBB151_6
; %bb.2:
	s_andn2_saveexec_b64 s[0:1], s[0:1]
	s_cbranch_execnz .LBB151_13
.LBB151_3:
	s_or_b64 exec, exec, s[0:1]
	s_and_b64 exec, exec, s[4:5]
	s_cbranch_execz .LBB151_5
.LBB151_4:
	v_mov_b32_e32 v2, 0
	global_store_dword v[0:1], v2, off
.LBB151_5:
	s_endpgm
.LBB151_6:
	v_cmp_ge_u32_e32 vcc, v2, v4
                                        ; implicit-def: $vgpr0_vgpr1
	s_and_saveexec_b64 s[6:7], vcc
	s_xor_b64 s[6:7], exec, s[6:7]
	s_cbranch_execz .LBB151_10
; %bb.7:
	v_cmp_le_u32_e32 vcc, s14, v4
                                        ; implicit-def: $vgpr0_vgpr1
	s_and_saveexec_b64 s[8:9], vcc
	s_xor_b64 s[8:9], exec, s[8:9]
	s_cbranch_execz .LBB151_9
; %bb.8:
	v_mad_u64_u32 v[2:3], s[12:13], v2, s3, v[4:5]
	v_mov_b32_e32 v3, 0
	v_lshlrev_b64 v[0:1], 3, v[2:3]
	v_mov_b32_e32 v2, s10
	v_add_co_u32_e32 v4, vcc, s2, v0
	v_addc_co_u32_e32 v5, vcc, v2, v1, vcc
	v_add_co_u32_e32 v0, vcc, 4, v4
	s_mov_b64 s[4:5], exec
	v_addc_co_u32_e32 v1, vcc, 0, v5, vcc
	global_store_dword v[4:5], v3, off
.LBB151_9:
	s_or_b64 exec, exec, s[8:9]
	s_and_b64 s[4:5], s[4:5], exec
                                        ; implicit-def: $vgpr4
                                        ; implicit-def: $vgpr2
.LBB151_10:
	s_andn2_saveexec_b64 s[6:7], s[6:7]
	s_cbranch_execz .LBB151_12
; %bb.11:
	v_mad_u64_u32 v[0:1], s[8:9], v2, s3, v[4:5]
	v_mov_b32_e32 v1, 0
	v_lshlrev_b64 v[2:3], 3, v[0:1]
	v_mov_b32_e32 v0, s10
	v_add_co_u32_e32 v2, vcc, s2, v2
	v_addc_co_u32_e32 v3, vcc, v0, v3, vcc
	v_add_co_u32_e32 v0, vcc, 4, v2
	global_store_dword v[2:3], v1, off
	v_addc_co_u32_e32 v1, vcc, 0, v3, vcc
	s_or_b64 s[4:5], s[4:5], exec
.LBB151_12:
	s_or_b64 exec, exec, s[6:7]
	s_and_b64 s[4:5], s[4:5], exec
                                        ; implicit-def: $vgpr2
	s_andn2_saveexec_b64 s[0:1], s[0:1]
	s_cbranch_execz .LBB151_3
.LBB151_13:
	v_mad_u64_u32 v[0:1], s[6:7], v2, s3, v[2:3]
	v_mov_b32_e32 v1, 0
	v_lshlrev_b64 v[0:1], 3, v[0:1]
	v_mov_b32_e32 v2, s10
	v_add_co_u32_e32 v0, vcc, s2, v0
	v_addc_co_u32_e32 v1, vcc, v2, v1, vcc
	v_mov_b32_e32 v2, 1.0
	global_store_dword v[0:1], v2, off
	v_add_co_u32_e32 v0, vcc, 4, v0
	v_addc_co_u32_e32 v1, vcc, 0, v1, vcc
	s_or_b64 s[4:5], s[4:5], exec
	s_or_b64 exec, exec, s[0:1]
	s_and_b64 exec, exec, s[4:5]
	s_cbranch_execnz .LBB151_4
	s_branch .LBB151_5
	.section	.rodata,"a",@progbits
	.p2align	6, 0x0
	.amdhsa_kernel _ZN9rocsolver6v33100L16orgl2_init_identI19rocblas_complex_numIfEPKPS3_EEviiiT0_iil
		.amdhsa_group_segment_fixed_size 0
		.amdhsa_private_segment_fixed_size 0
		.amdhsa_kernarg_size 296
		.amdhsa_user_sgpr_count 6
		.amdhsa_user_sgpr_private_segment_buffer 1
		.amdhsa_user_sgpr_dispatch_ptr 0
		.amdhsa_user_sgpr_queue_ptr 0
		.amdhsa_user_sgpr_kernarg_segment_ptr 1
		.amdhsa_user_sgpr_dispatch_id 0
		.amdhsa_user_sgpr_flat_scratch_init 0
		.amdhsa_user_sgpr_kernarg_preload_length 0
		.amdhsa_user_sgpr_kernarg_preload_offset 0
		.amdhsa_user_sgpr_private_segment_size 0
		.amdhsa_uses_dynamic_stack 0
		.amdhsa_system_sgpr_private_segment_wavefront_offset 0
		.amdhsa_system_sgpr_workgroup_id_x 1
		.amdhsa_system_sgpr_workgroup_id_y 1
		.amdhsa_system_sgpr_workgroup_id_z 1
		.amdhsa_system_sgpr_workgroup_info 0
		.amdhsa_system_vgpr_workitem_id 1
		.amdhsa_next_free_vgpr 6
		.amdhsa_next_free_sgpr 16
		.amdhsa_accum_offset 8
		.amdhsa_reserve_vcc 1
		.amdhsa_reserve_flat_scratch 0
		.amdhsa_float_round_mode_32 0
		.amdhsa_float_round_mode_16_64 0
		.amdhsa_float_denorm_mode_32 3
		.amdhsa_float_denorm_mode_16_64 3
		.amdhsa_dx10_clamp 1
		.amdhsa_ieee_mode 1
		.amdhsa_fp16_overflow 0
		.amdhsa_tg_split 0
		.amdhsa_exception_fp_ieee_invalid_op 0
		.amdhsa_exception_fp_denorm_src 0
		.amdhsa_exception_fp_ieee_div_zero 0
		.amdhsa_exception_fp_ieee_overflow 0
		.amdhsa_exception_fp_ieee_underflow 0
		.amdhsa_exception_fp_ieee_inexact 0
		.amdhsa_exception_int_div_zero 0
	.end_amdhsa_kernel
	.section	.text._ZN9rocsolver6v33100L16orgl2_init_identI19rocblas_complex_numIfEPKPS3_EEviiiT0_iil,"axG",@progbits,_ZN9rocsolver6v33100L16orgl2_init_identI19rocblas_complex_numIfEPKPS3_EEviiiT0_iil,comdat
.Lfunc_end151:
	.size	_ZN9rocsolver6v33100L16orgl2_init_identI19rocblas_complex_numIfEPKPS3_EEviiiT0_iil, .Lfunc_end151-_ZN9rocsolver6v33100L16orgl2_init_identI19rocblas_complex_numIfEPKPS3_EEviiiT0_iil
                                        ; -- End function
	.section	.AMDGPU.csdata,"",@progbits
; Kernel info:
; codeLenInByte = 444
; NumSgprs: 20
; NumVgprs: 6
; NumAgprs: 0
; TotalNumVgprs: 6
; ScratchSize: 0
; MemoryBound: 0
; FloatMode: 240
; IeeeMode: 1
; LDSByteSize: 0 bytes/workgroup (compile time only)
; SGPRBlocks: 2
; VGPRBlocks: 0
; NumSGPRsForWavesPerEU: 20
; NumVGPRsForWavesPerEU: 6
; AccumOffset: 8
; Occupancy: 8
; WaveLimiterHint : 1
; COMPUTE_PGM_RSRC2:SCRATCH_EN: 0
; COMPUTE_PGM_RSRC2:USER_SGPR: 6
; COMPUTE_PGM_RSRC2:TRAP_HANDLER: 0
; COMPUTE_PGM_RSRC2:TGID_X_EN: 1
; COMPUTE_PGM_RSRC2:TGID_Y_EN: 1
; COMPUTE_PGM_RSRC2:TGID_Z_EN: 1
; COMPUTE_PGM_RSRC2:TIDIG_COMP_CNT: 1
; COMPUTE_PGM_RSRC3_GFX90A:ACCUM_OFFSET: 1
; COMPUTE_PGM_RSRC3_GFX90A:TG_SPLIT: 0
	.section	.text._ZN9rocsolver6v33100L14copyshift_downI19rocblas_complex_numIfEPKPS3_EEvbiT0_iilPT_iil,"axG",@progbits,_ZN9rocsolver6v33100L14copyshift_downI19rocblas_complex_numIfEPKPS3_EEvbiT0_iilPT_iil,comdat
	.globl	_ZN9rocsolver6v33100L14copyshift_downI19rocblas_complex_numIfEPKPS3_EEvbiT0_iilPT_iil ; -- Begin function _ZN9rocsolver6v33100L14copyshift_downI19rocblas_complex_numIfEPKPS3_EEvbiT0_iilPT_iil
	.p2align	8
	.type	_ZN9rocsolver6v33100L14copyshift_downI19rocblas_complex_numIfEPKPS3_EEvbiT0_iilPT_iil,@function
_ZN9rocsolver6v33100L14copyshift_downI19rocblas_complex_numIfEPKPS3_EEvbiT0_iilPT_iil: ; @_ZN9rocsolver6v33100L14copyshift_downI19rocblas_complex_numIfEPKPS3_EEvbiT0_iilPT_iil
; %bb.0:
	s_load_dwordx4 s[0:3], s[4:5], 0x0
	s_load_dword s9, s[4:5], 0x44
	s_load_dwordx2 s[10:11], s[4:5], 0x10
	v_and_b32_e32 v1, 0x3ff, v0
	v_bfe_u32 v0, v0, 10, 10
	s_waitcnt lgkmcnt(0)
	s_bitcmp1_b32 s0, 0
	s_cselect_b64 s[12:13], -1, 0
	s_and_b32 s0, s9, 0xffff
	s_lshr_b32 s9, s9, 16
	s_mul_i32 s16, s7, s9
	s_mov_b32 s9, 0
	s_xor_b64 s[12:13], s[12:13], -1
	s_ashr_i32 s7, s10, 31
	s_lshl_b64 s[14:15], s[8:9], 3
	s_add_u32 s2, s2, s14
	s_addc_u32 s3, s3, s15
	s_load_dwordx2 s[2:3], s[2:3], 0x0
	s_mul_i32 s6, s6, s0
	v_add_u32_e32 v2, s6, v1
	v_add_u32_e32 v3, s16, v0
	s_mov_b32 s6, s10
	s_lshl_b64 s[6:7], s[6:7], 3
	v_or_b32_e32 v0, v2, v3
	s_waitcnt lgkmcnt(0)
	s_add_u32 s2, s2, s6
	v_cmp_eq_u32_e32 vcc, 0, v0
	s_addc_u32 s3, s3, s7
	s_and_b64 s[14:15], vcc, s[12:13]
	s_and_saveexec_b64 s[6:7], s[14:15]
	s_cbranch_execz .LBB152_2
; %bb.1:
	v_mov_b32_e32 v0, 1.0
	v_mov_b32_e32 v1, 0
	global_store_dwordx2 v1, v[0:1], s[2:3]
.LBB152_2:
	s_or_b64 exec, exec, s[6:7]
	v_max_u32_e32 v0, v3, v2
	v_cmp_gt_u32_e32 vcc, s1, v0
	v_cmp_le_u32_e64 s[0:1], v2, v3
	s_and_b64 s[0:1], s[0:1], vcc
	s_and_saveexec_b64 s[6:7], s[0:1]
	s_cbranch_execz .LBB152_11
; %bb.3:
	s_load_dword s0, s[4:5], 0x28
	s_load_dwordx2 s[6:7], s[4:5], 0x30
	s_load_dwordx2 s[14:15], s[4:5], 0x20
	v_add_u32_e32 v6, 1, v3
	v_mul_lo_u32 v0, v6, v3
	s_waitcnt lgkmcnt(0)
	s_ashr_i32 s1, s0, 31
	s_mul_i32 s4, s8, s7
	s_mul_hi_u32 s5, s8, s6
	s_add_i32 s5, s5, s4
	s_mul_i32 s4, s8, s6
	s_lshl_b64 s[4:5], s[4:5], 3
	s_add_u32 s4, s14, s4
	s_addc_u32 s5, s15, s5
	s_lshl_b64 s[0:1], s[0:1], 3
	s_add_u32 s4, s4, s0
	v_lshrrev_b32_e32 v0, 1, v0
	s_addc_u32 s5, s5, s1
	s_mov_b64 s[0:1], -1
	s_and_b64 vcc, exec, s[12:13]
	v_add_u32_e32 v0, v2, v0
	s_cbranch_vccz .LBB152_7
; %bb.4:
	v_mov_b32_e32 v1, 0
	v_lshlrev_b64 v[4:5], 3, v[0:1]
	v_mov_b32_e32 v7, s5
	v_add_co_u32_e32 v4, vcc, s4, v4
	v_addc_co_u32_e32 v5, vcc, v7, v5, vcc
	global_load_dwordx2 v[4:5], v[4:5], off
	v_mad_u64_u32 v[8:9], s[0:1], v6, s11, v[2:3]
	v_mov_b32_e32 v9, v1
	v_lshlrev_b64 v[8:9], 3, v[8:9]
	v_mov_b32_e32 v7, s3
	v_add_co_u32_e32 v8, vcc, s2, v8
	v_addc_co_u32_e32 v9, vcc, v7, v9, vcc
	v_cmp_eq_u32_e32 vcc, v2, v3
	s_waitcnt vmcnt(0)
	global_store_dwordx2 v[8:9], v[4:5], off
	s_and_saveexec_b64 s[0:1], vcc
	s_cbranch_execz .LBB152_6
; %bb.5:
	v_mov_b32_e32 v3, v1
	v_lshlrev_b64 v[4:5], 3, v[2:3]
	v_mov_b32_e32 v3, s3
	v_add_co_u32_e32 v4, vcc, s2, v4
	v_addc_co_u32_e32 v5, vcc, v3, v5, vcc
	v_mov_b32_e32 v8, v1
	v_mov_b32_e32 v9, v1
	global_store_dwordx2 v[4:5], v[8:9], off offset:8
.LBB152_6:
	s_or_b64 exec, exec, s[0:1]
	s_mov_b64 s[0:1], 0
.LBB152_7:
	s_andn2_b64 vcc, exec, s[0:1]
	s_cbranch_vccnz .LBB152_11
; %bb.8:
	v_cmp_ne_u32_e32 vcc, 0, v2
	v_mov_b32_e32 v1, 0
	v_mov_b32_e32 v4, 0
	;; [unrolled: 1-line block ×3, first 2 shown]
	s_and_saveexec_b64 s[0:1], vcc
	s_cbranch_execz .LBB152_10
; %bb.9:
	v_mul_lo_u32 v3, v6, s11
	v_add3_u32 v2, v2, v3, -1
	v_mov_b32_e32 v3, 0
	v_lshlrev_b64 v[2:3], 3, v[2:3]
	v_mov_b32_e32 v4, s3
	v_add_co_u32_e32 v2, vcc, s2, v2
	v_addc_co_u32_e32 v3, vcc, v4, v3, vcc
	global_load_dwordx2 v[4:5], v[2:3], off
.LBB152_10:
	s_or_b64 exec, exec, s[0:1]
	v_lshlrev_b64 v[0:1], 3, v[0:1]
	v_mov_b32_e32 v2, s5
	v_add_co_u32_e32 v0, vcc, s4, v0
	v_addc_co_u32_e32 v1, vcc, v2, v1, vcc
	s_waitcnt vmcnt(0)
	global_store_dwordx2 v[0:1], v[4:5], off
.LBB152_11:
	s_endpgm
	.section	.rodata,"a",@progbits
	.p2align	6, 0x0
	.amdhsa_kernel _ZN9rocsolver6v33100L14copyshift_downI19rocblas_complex_numIfEPKPS3_EEvbiT0_iilPT_iil
		.amdhsa_group_segment_fixed_size 0
		.amdhsa_private_segment_fixed_size 0
		.amdhsa_kernarg_size 312
		.amdhsa_user_sgpr_count 6
		.amdhsa_user_sgpr_private_segment_buffer 1
		.amdhsa_user_sgpr_dispatch_ptr 0
		.amdhsa_user_sgpr_queue_ptr 0
		.amdhsa_user_sgpr_kernarg_segment_ptr 1
		.amdhsa_user_sgpr_dispatch_id 0
		.amdhsa_user_sgpr_flat_scratch_init 0
		.amdhsa_user_sgpr_kernarg_preload_length 0
		.amdhsa_user_sgpr_kernarg_preload_offset 0
		.amdhsa_user_sgpr_private_segment_size 0
		.amdhsa_uses_dynamic_stack 0
		.amdhsa_system_sgpr_private_segment_wavefront_offset 0
		.amdhsa_system_sgpr_workgroup_id_x 1
		.amdhsa_system_sgpr_workgroup_id_y 1
		.amdhsa_system_sgpr_workgroup_id_z 1
		.amdhsa_system_sgpr_workgroup_info 0
		.amdhsa_system_vgpr_workitem_id 1
		.amdhsa_next_free_vgpr 10
		.amdhsa_next_free_sgpr 17
		.amdhsa_accum_offset 12
		.amdhsa_reserve_vcc 1
		.amdhsa_reserve_flat_scratch 0
		.amdhsa_float_round_mode_32 0
		.amdhsa_float_round_mode_16_64 0
		.amdhsa_float_denorm_mode_32 3
		.amdhsa_float_denorm_mode_16_64 3
		.amdhsa_dx10_clamp 1
		.amdhsa_ieee_mode 1
		.amdhsa_fp16_overflow 0
		.amdhsa_tg_split 0
		.amdhsa_exception_fp_ieee_invalid_op 0
		.amdhsa_exception_fp_denorm_src 0
		.amdhsa_exception_fp_ieee_div_zero 0
		.amdhsa_exception_fp_ieee_overflow 0
		.amdhsa_exception_fp_ieee_underflow 0
		.amdhsa_exception_fp_ieee_inexact 0
		.amdhsa_exception_int_div_zero 0
	.end_amdhsa_kernel
	.section	.text._ZN9rocsolver6v33100L14copyshift_downI19rocblas_complex_numIfEPKPS3_EEvbiT0_iilPT_iil,"axG",@progbits,_ZN9rocsolver6v33100L14copyshift_downI19rocblas_complex_numIfEPKPS3_EEvbiT0_iilPT_iil,comdat
.Lfunc_end152:
	.size	_ZN9rocsolver6v33100L14copyshift_downI19rocblas_complex_numIfEPKPS3_EEvbiT0_iilPT_iil, .Lfunc_end152-_ZN9rocsolver6v33100L14copyshift_downI19rocblas_complex_numIfEPKPS3_EEvbiT0_iilPT_iil
                                        ; -- End function
	.section	.AMDGPU.csdata,"",@progbits
; Kernel info:
; codeLenInByte = 560
; NumSgprs: 21
; NumVgprs: 10
; NumAgprs: 0
; TotalNumVgprs: 10
; ScratchSize: 0
; MemoryBound: 0
; FloatMode: 240
; IeeeMode: 1
; LDSByteSize: 0 bytes/workgroup (compile time only)
; SGPRBlocks: 2
; VGPRBlocks: 1
; NumSGPRsForWavesPerEU: 21
; NumVGPRsForWavesPerEU: 10
; AccumOffset: 12
; Occupancy: 8
; WaveLimiterHint : 1
; COMPUTE_PGM_RSRC2:SCRATCH_EN: 0
; COMPUTE_PGM_RSRC2:USER_SGPR: 6
; COMPUTE_PGM_RSRC2:TRAP_HANDLER: 0
; COMPUTE_PGM_RSRC2:TGID_X_EN: 1
; COMPUTE_PGM_RSRC2:TGID_Y_EN: 1
; COMPUTE_PGM_RSRC2:TGID_Z_EN: 1
; COMPUTE_PGM_RSRC2:TIDIG_COMP_CNT: 1
; COMPUTE_PGM_RSRC3_GFX90A:ACCUM_OFFSET: 2
; COMPUTE_PGM_RSRC3_GFX90A:TG_SPLIT: 0
	.section	.text._ZN9rocsolver6v33100L10bdsqr_initI19rocblas_complex_numIfEfEEviPT0_lS5_lPiiS4_S4_S6_S5_lS6_,"axG",@progbits,_ZN9rocsolver6v33100L10bdsqr_initI19rocblas_complex_numIfEfEEviPT0_lS5_lPiiS4_S4_S6_S5_lS6_,comdat
	.globl	_ZN9rocsolver6v33100L10bdsqr_initI19rocblas_complex_numIfEfEEviPT0_lS5_lPiiS4_S4_S6_S5_lS6_ ; -- Begin function _ZN9rocsolver6v33100L10bdsqr_initI19rocblas_complex_numIfEfEEviPT0_lS5_lPiiS4_S4_S6_S5_lS6_
	.p2align	8
	.type	_ZN9rocsolver6v33100L10bdsqr_initI19rocblas_complex_numIfEfEEviPT0_lS5_lPiiS4_S4_S6_S5_lS6_,@function
_ZN9rocsolver6v33100L10bdsqr_initI19rocblas_complex_numIfEfEEviPT0_lS5_lPiiS4_S4_S6_S5_lS6_: ; @_ZN9rocsolver6v33100L10bdsqr_initI19rocblas_complex_numIfEfEEviPT0_lS5_lPiiS4_S4_S6_S5_lS6_
; %bb.0:
	s_load_dword s6, s[4:5], 0x0
	s_load_dwordx8 s[8:15], s[4:5], 0x8
	s_mov_b32 s16, s7
	s_ashr_i32 s17, s7, 31
	s_waitcnt lgkmcnt(0)
	s_ashr_i32 s7, s6, 31
	s_mul_i32 s0, s16, s11
	s_mul_hi_u32 s1, s16, s10
	s_add_i32 s0, s1, s0
	s_mul_i32 s1, s17, s10
	s_add_i32 s1, s0, s1
	s_mul_i32 s0, s16, s10
	s_lshl_b64 s[0:1], s[0:1], 2
	s_add_u32 s18, s8, s0
	s_addc_u32 s19, s9, s1
	s_mul_i32 s0, s16, s15
	s_mul_hi_u32 s1, s16, s14
	s_add_i32 s0, s1, s0
	s_mul_i32 s1, s17, s14
	s_add_i32 s1, s0, s1
	s_mul_i32 s0, s16, s14
	s_lshl_b64 s[0:1], s[0:1], 2
	s_add_u32 s20, s12, s0
	s_addc_u32 s21, s13, s1
	s_lshl_b64 s[0:1], s[6:7], 2
	s_add_u32 s22, s18, s0
	s_addc_u32 s23, s19, s1
	s_add_u32 s0, s22, -4
	s_addc_u32 s1, s23, -1
	s_load_dword s8, s[0:1], 0x0
	s_load_dword s9, s[18:19], 0x0
	s_load_dwordx2 s[24:25], s[4:5], 0x28
	v_cmp_lt_i64_e64 s[2:3], s[6:7], 2
	v_cmp_gt_i64_e64 s[26:27], s[6:7], 1
	s_waitcnt lgkmcnt(0)
	v_mov_b32_e32 v0, s8
	v_mov_b32_e32 v1, s9
	v_cmp_ge_f32_e64 s[0:1], s9, v0
	v_cndmask_b32_e64 v0, v0, v1, s[0:1]
	v_and_b32_e32 v4, 0x7fffffff, v0
	s_and_b64 vcc, exec, s[2:3]
	s_cbranch_vccnz .LBB153_3
; %bb.1:
	s_add_i32 s2, s6, -2
	s_mov_b32 s3, 1
	v_mov_b32_e32 v0, v4
.LBB153_2:                              ; =>This Inner Loop Header: Depth=1
	s_and_b64 s[8:9], s[0:1], exec
	s_cselect_b32 s8, s3, s2
	s_add_i32 s7, s3, -1
	s_and_b64 s[10:11], s[0:1], exec
	s_cselect_b32 s10, s7, s2
	s_ashr_i32 s11, s10, 31
	s_lshl_b64 s[10:11], s[10:11], 2
	s_add_u32 s10, s20, s10
	s_addc_u32 s11, s21, s11
	s_load_dword s7, s[10:11], 0x0
	s_ashr_i32 s9, s8, 31
	s_lshl_b64 s[8:9], s[8:9], 2
	s_add_u32 s8, s18, s8
	s_addc_u32 s9, s19, s9
	s_waitcnt lgkmcnt(0)
	v_add_f32_e64 v1, v0, |s7|
	s_load_dword s10, s[8:9], 0x0
	v_div_scale_f32 v2, s[8:9], v1, v1, v0
	v_rcp_f32_e32 v3, v2
	v_div_scale_f32 v5, vcc, v0, v1, v0
	s_add_i32 s2, s2, -1
	v_fma_f32 v6, -v2, v3, 1.0
	v_fmac_f32_e32 v3, v6, v3
	v_mul_f32_e32 v6, v5, v3
	v_fma_f32 v7, -v2, v6, v5
	v_fmac_f32_e32 v6, v7, v3
	v_fma_f32 v2, -v2, v6, v5
	v_div_fmas_f32 v2, v2, v3, v6
	v_div_fixup_f32 v0, v2, v1, v0
	s_waitcnt lgkmcnt(0)
	v_mul_f32_e64 v0, |s10|, v0
	s_add_i32 s3, s3, 1
	v_cmp_lt_f32_e32 vcc, v0, v4
	s_cmp_lg_u32 s3, s6
	v_cndmask_b32_e32 v4, v4, v0, vcc
	s_cbranch_scc1 .LBB153_2
.LBB153_3:
	s_load_dwordx4 s[0:3], s[4:5], 0x30
	s_load_dwordx8 s[8:15], s[4:5], 0x40
	s_lshl_b32 s31, s6, 1
	s_mul_i32 s4, s31, s16
	s_ashr_i32 s5, s4, 31
	s_lshl_b64 s[4:5], s[4:5], 2
	s_waitcnt lgkmcnt(0)
	s_add_u32 s29, s8, s4
	s_addc_u32 s30, s9, s5
	s_mov_b32 s8, 0
	v_cvt_f64_i32_e32 v[0:1], s6
	s_brev_b32 s9, 8
	v_cmp_gt_f64_e32 vcc, s[8:9], v[0:1]
	v_cndmask_b32_e64 v2, 0, 1, vcc
	v_lshlrev_b32_e32 v2, 8, v2
	v_ldexp_f64 v[0:1], v[0:1], v2
	v_rsq_f64_e32 v[2:3], v[0:1]
	s_mul_i32 s3, s16, s13
	s_mul_hi_u32 s4, s16, s12
	s_add_i32 s3, s4, s3
	s_mul_i32 s4, s17, s12
	v_mul_f64 v[6:7], v[0:1], v[2:3]
	v_mul_f64 v[2:3], v[2:3], 0.5
	s_add_i32 s5, s3, s4
	s_mul_i32 s4, s16, s12
	v_fma_f64 v[8:9], -v[2:3], v[6:7], 0.5
	s_lshl_b64 s[4:5], s[4:5], 2
	v_fmac_f64_e32 v[6:7], v[6:7], v[8:9]
	s_add_u32 s4, s10, s4
	v_fma_f64 v[10:11], -v[6:7], v[6:7], v[0:1]
	v_fmac_f64_e32 v[2:3], v[2:3], v[8:9]
	s_addc_u32 s5, s11, s5
	s_add_i32 s7, s6, -1
	v_fmac_f64_e32 v[6:7], v[10:11], v[2:3]
	v_mul_f32_e32 v5, s2, v4
	v_fma_f64 v[8:9], -v[6:7], v[6:7], v[0:1]
	s_and_b64 s[2:3], vcc, exec
	v_fmac_f64_e32 v[6:7], v[8:9], v[2:3]
	s_cselect_b32 s2, 0xffffff80, 0
	v_ldexp_f64 v[2:3], v[6:7], s2
	v_mov_b32_e32 v6, 0x260
	v_cmp_class_f64_e32 vcc, v[0:1], v6
	v_cndmask_b32_e32 v1, v3, v1, vcc
	v_cndmask_b32_e32 v0, v2, v0, vcc
	v_cvt_f32_f64_e32 v1, v[0:1]
	v_div_scale_f32 v2, s[2:3], v1, v1, v5
	v_rcp_f32_e32 v3, v2
	v_mov_b32_e32 v0, 0
	s_mov_b32 s28, 0
	s_mov_b64 s[2:3], 0
	v_fma_f32 v6, -v2, v3, 1.0
	v_fmac_f32_e32 v3, v6, v3
	v_div_scale_f32 v6, vcc, v5, v1, v5
	v_mul_f32_e32 v7, v6, v3
	v_fma_f32 v8, -v2, v7, v6
	v_fmac_f32_e32 v7, v8, v3
	v_fma_f32 v2, -v2, v7, v6
	v_cvt_f32_i32_e32 v6, s0
	v_div_fmas_f32 v2, v2, v3, v7
	v_div_fixup_f32 v1, v2, v1, v5
	s_mov_b32 s8, 0
	v_mul_f32_e32 v2, s1, v6
	v_cmp_lt_f32_e32 vcc, v1, v2
	v_cndmask_b32_e32 v5, v1, v2, vcc
	v_cndmask_b32_e64 v1, 0, 1, s[26:27]
	v_cmp_ne_u32_e64 s[0:1], 1, v1
	s_andn2_b64 vcc, exec, s[26:27]
	global_store_dwordx2 v0, v[4:5], s[4:5]
	s_cbranch_vccnz .LBB153_20
; %bb.4:
	s_add_u32 s33, s29, 4
	s_mov_b32 s11, 0
	s_addc_u32 s34, s30, 0
	s_movk_i32 s35, 0x1f8
	s_mov_b32 s8, s11
	s_mov_b32 s10, s11
	s_lshl_b32 s12, s10, 2
	s_or_b32 s9, s12, 3
	s_cmp_ge_i32 s9, s31
	s_cbranch_scc1 .LBB153_6
.LBB153_5:
	s_mov_b32 s13, s11
	s_lshl_b64 s[12:13], s[12:13], 2
	s_add_u32 s12, s29, s12
	s_addc_u32 s13, s30, s13
	s_waitcnt vmcnt(0)
	v_mov_b32_e32 v1, v0
	v_mov_b32_e32 v2, v0
	;; [unrolled: 1-line block ×3, first 2 shown]
	global_store_dwordx4 v0, v[0:3], s[12:13]
	s_waitcnt vmcnt(0)
	buffer_wbinvl1_vol
.LBB153_6:                              ; =>This Inner Loop Header: Depth=1
	s_lshl_b64 s[12:13], s[10:11], 2
	s_add_u32 s26, s18, s12
	s_addc_u32 s27, s19, s13
	global_load_dword v2, v0, s[26:27]
	s_add_u32 s12, s20, s12
	s_addc_u32 s13, s21, s13
	global_load_dword v1, v0, s[12:13]
	s_waitcnt vmcnt(1)
	v_cmp_class_f32_e64 s[26:27], v2, s35
	s_and_b64 vcc, exec, s[26:27]
	s_cbranch_vccz .LBB153_19
; %bb.7:                                ;   in Loop: Header=BB153_6 Depth=1
	s_waitcnt vmcnt(0)
	v_cmp_class_f32_e64 s[26:27], v1, s35
	s_and_b64 vcc, exec, s[26:27]
	s_cbranch_vccnz .LBB153_9
; %bb.8:                                ;   in Loop: Header=BB153_6 Depth=1
	s_mov_b64 s[2:3], -1
.LBB153_9:                              ;   in Loop: Header=BB153_6 Depth=1
	v_and_b32_e32 v2, 0x7fffffff, v1
	s_cbranch_execnz .LBB153_11
.LBB153_10:                             ;   in Loop: Header=BB153_6 Depth=1
	s_waitcnt vmcnt(0)
	v_and_b32_e32 v2, 0x7fffffff, v1
	s_mov_b64 s[2:3], -1
.LBB153_11:                             ;   in Loop: Header=BB153_6 Depth=1
	v_cmp_lt_f32_e32 vcc, v2, v5
	s_mov_b64 s[26:27], -1
                                        ; implicit-def: $sgpr9
	s_cbranch_vccz .LBB153_14
; %bb.12:                               ;   in Loop: Header=BB153_6 Depth=1
	s_andn2_b64 vcc, exec, s[26:27]
	s_cbranch_vccz .LBB153_15
.LBB153_13:                             ;   in Loop: Header=BB153_6 Depth=1
	s_cmp_eq_u32 s9, s7
	s_cbranch_scc0 .LBB153_18
	s_branch .LBB153_20
.LBB153_14:                             ;   in Loop: Header=BB153_6 Depth=1
	s_add_i32 s9, s10, 1
	s_cbranch_execnz .LBB153_13
.LBB153_15:                             ;   in Loop: Header=BB153_6 Depth=1
	s_cmp_ge_i32 s8, s10
	global_store_dword v0, v0, s[12:13]
	s_cbranch_scc1 .LBB153_17
; %bb.16:                               ;   in Loop: Header=BB153_6 Depth=1
	s_lshl_b32 s12, s28, 2
	s_ashr_i32 s13, s12, 31
	s_lshl_b64 s[12:13], s[12:13], 2
	s_mov_b32 s9, s10
	s_add_u32 s12, s33, s12
	s_addc_u32 s13, s34, s13
	v_pk_mov_b32 v[2:3], s[8:9], s[8:9] op_sel:[0,1]
	s_add_i32 s28, s28, 1
	global_store_dwordx2 v0, v[2:3], s[12:13]
.LBB153_17:                             ;   in Loop: Header=BB153_6 Depth=1
	s_add_i32 s9, s10, 1
	s_mov_b32 s8, s9
	s_cmp_eq_u32 s9, s7
	s_cbranch_scc1 .LBB153_20
.LBB153_18:                             ;   in Loop: Header=BB153_6 Depth=1
	s_mov_b32 s10, s9
	s_lshl_b32 s12, s10, 2
	s_or_b32 s9, s12, 3
	s_cmp_ge_i32 s9, s31
	s_cbranch_scc0 .LBB153_5
	s_branch .LBB153_6
.LBB153_19:                             ;   in Loop: Header=BB153_6 Depth=1
                                        ; implicit-def: $sgpr2_sgpr3
                                        ; implicit-def: $vgpr2
	s_branch .LBB153_10
.LBB153_20:
	s_waitcnt vmcnt(0)
	v_mov_b32_e32 v1, 0
	global_load_dword v0, v1, s[22:23] offset:-4
	s_cmp_lt_i32 s8, s7
	s_cbranch_scc0 .LBB153_22
; %bb.21:
	s_lshl_b32 s10, s28, 2
	s_ashr_i32 s11, s10, 31
	s_lshl_b64 s[10:11], s[10:11], 2
	s_add_u32 s10, s29, s10
	s_addc_u32 s11, s30, s11
	v_mov_b32_e32 v2, s8
	v_mov_b32_e32 v3, s7
	global_store_dwordx2 v1, v[2:3], s[10:11] offset:4
.LBB153_22:
	s_mov_b32 s8, 0x7f800000
	s_waitcnt vmcnt(0)
	v_cmp_nlg_f32_e64 s[8:9], |v0|, s8
	s_or_b64 s[2:3], s[8:9], s[2:3]
	s_andn2_b64 vcc, exec, s[2:3]
	s_mov_b64 s[2:3], -1
	s_cbranch_vccz .LBB153_28
; %bb.23:
	s_add_i32 s8, s28, 1
	v_cvt_f32_i32_e32 v0, s8
	s_lshl_b64 s[2:3], s[16:17], 2
	s_add_u32 s2, s24, s2
	s_addc_u32 s3, s25, s3
	v_mov_b32_e32 v1, 0
	s_cmp_lt_i32 s28, 0
	global_store_dwordx2 v1, v[0:1], s[4:5] offset:8
	global_store_dword v1, v1, s[2:3]
	s_cbranch_scc1 .LBB153_27
; %bb.24:
	s_mov_b64 s[2:3], 0
	v_mov_b32_e32 v3, 0
.LBB153_25:                             ; =>This Inner Loop Header: Depth=1
	v_mov_b32_e32 v2, s8
	global_atomic_cmpswap v3, v1, v[2:3], s[14:15] offset:4 glc
	s_waitcnt vmcnt(0)
	v_cmp_lt_i32_e32 vcc, s28, v3
	s_or_b64 s[2:3], vcc, s[2:3]
	s_andn2_b64 exec, exec, s[2:3]
	s_cbranch_execnz .LBB153_25
; %bb.26:
	s_or_b64 exec, exec, s[2:3]
.LBB153_27:
	s_mov_b64 s[2:3], 0
.LBB153_28:
	s_andn2_b64 vcc, exec, s[2:3]
	s_cbranch_vccnz .LBB153_34
; %bb.29:
	s_and_b64 vcc, exec, s[0:1]
	s_cbranch_vccnz .LBB153_32
; %bb.30:
	v_mov_b32_e32 v0, 0
	v_mov_b32_e32 v1, 0x7fc00000
.LBB153_31:                             ; =>This Inner Loop Header: Depth=1
	s_add_i32 s7, s7, -1
	global_store_dword v0, v1, s[18:19]
	global_store_dword v0, v1, s[20:21]
	s_add_u32 s18, s18, 4
	s_addc_u32 s19, s19, 0
	s_add_u32 s20, s20, 4
	s_addc_u32 s21, s21, 0
	s_cmp_eq_u32 s7, 0
	s_cbranch_scc0 .LBB153_31
.LBB153_32:
	s_lshl_b64 s[2:3], s[16:17], 2
	s_add_u32 s4, s24, s2
	v_mov_b32_e32 v0, 0
	v_mov_b32_e32 v1, 0x7fc00000
	s_addc_u32 s5, s25, s3
	global_store_dword v0, v1, s[22:23] offset:-4
	v_mov_b32_e32 v1, s6
	s_add_u32 s2, s14, s2
	s_mov_b64 s[0:1], exec
	global_store_dword v0, v1, s[4:5]
	s_addc_u32 s3, s15, s3
	v_mov_b32_e32 v1, 2
	global_store_dword v0, v1, s[2:3] offset:8
	v_mbcnt_lo_u32_b32 v1, s0, 0
	v_mbcnt_hi_u32_b32 v1, s1, v1
	v_cmp_eq_u32_e32 vcc, 0, v1
	s_and_saveexec_b64 s[2:3], vcc
	s_cbranch_execz .LBB153_34
; %bb.33:
	s_bcnt1_i32_b64 s0, s[0:1]
	v_mov_b32_e32 v1, s0
	global_atomic_add v0, v1, s[14:15]
.LBB153_34:
	s_endpgm
	.section	.rodata,"a",@progbits
	.p2align	6, 0x0
	.amdhsa_kernel _ZN9rocsolver6v33100L10bdsqr_initI19rocblas_complex_numIfEfEEviPT0_lS5_lPiiS4_S4_S6_S5_lS6_
		.amdhsa_group_segment_fixed_size 0
		.amdhsa_private_segment_fixed_size 0
		.amdhsa_kernarg_size 96
		.amdhsa_user_sgpr_count 6
		.amdhsa_user_sgpr_private_segment_buffer 1
		.amdhsa_user_sgpr_dispatch_ptr 0
		.amdhsa_user_sgpr_queue_ptr 0
		.amdhsa_user_sgpr_kernarg_segment_ptr 1
		.amdhsa_user_sgpr_dispatch_id 0
		.amdhsa_user_sgpr_flat_scratch_init 0
		.amdhsa_user_sgpr_kernarg_preload_length 0
		.amdhsa_user_sgpr_kernarg_preload_offset 0
		.amdhsa_user_sgpr_private_segment_size 0
		.amdhsa_uses_dynamic_stack 0
		.amdhsa_system_sgpr_private_segment_wavefront_offset 0
		.amdhsa_system_sgpr_workgroup_id_x 1
		.amdhsa_system_sgpr_workgroup_id_y 1
		.amdhsa_system_sgpr_workgroup_id_z 0
		.amdhsa_system_sgpr_workgroup_info 0
		.amdhsa_system_vgpr_workitem_id 0
		.amdhsa_next_free_vgpr 12
		.amdhsa_next_free_sgpr 36
		.amdhsa_accum_offset 12
		.amdhsa_reserve_vcc 1
		.amdhsa_reserve_flat_scratch 0
		.amdhsa_float_round_mode_32 0
		.amdhsa_float_round_mode_16_64 0
		.amdhsa_float_denorm_mode_32 3
		.amdhsa_float_denorm_mode_16_64 3
		.amdhsa_dx10_clamp 1
		.amdhsa_ieee_mode 1
		.amdhsa_fp16_overflow 0
		.amdhsa_tg_split 0
		.amdhsa_exception_fp_ieee_invalid_op 0
		.amdhsa_exception_fp_denorm_src 0
		.amdhsa_exception_fp_ieee_div_zero 0
		.amdhsa_exception_fp_ieee_overflow 0
		.amdhsa_exception_fp_ieee_underflow 0
		.amdhsa_exception_fp_ieee_inexact 0
		.amdhsa_exception_int_div_zero 0
	.end_amdhsa_kernel
	.section	.text._ZN9rocsolver6v33100L10bdsqr_initI19rocblas_complex_numIfEfEEviPT0_lS5_lPiiS4_S4_S6_S5_lS6_,"axG",@progbits,_ZN9rocsolver6v33100L10bdsqr_initI19rocblas_complex_numIfEfEEviPT0_lS5_lPiiS4_S4_S6_S5_lS6_,comdat
.Lfunc_end153:
	.size	_ZN9rocsolver6v33100L10bdsqr_initI19rocblas_complex_numIfEfEEviPT0_lS5_lPiiS4_S4_S6_S5_lS6_, .Lfunc_end153-_ZN9rocsolver6v33100L10bdsqr_initI19rocblas_complex_numIfEfEEviPT0_lS5_lPiiS4_S4_S6_S5_lS6_
                                        ; -- End function
	.section	.AMDGPU.csdata,"",@progbits
; Kernel info:
; codeLenInByte = 1496
; NumSgprs: 40
; NumVgprs: 12
; NumAgprs: 0
; TotalNumVgprs: 12
; ScratchSize: 0
; MemoryBound: 0
; FloatMode: 240
; IeeeMode: 1
; LDSByteSize: 0 bytes/workgroup (compile time only)
; SGPRBlocks: 4
; VGPRBlocks: 1
; NumSGPRsForWavesPerEU: 40
; NumVGPRsForWavesPerEU: 12
; AccumOffset: 12
; Occupancy: 8
; WaveLimiterHint : 0
; COMPUTE_PGM_RSRC2:SCRATCH_EN: 0
; COMPUTE_PGM_RSRC2:USER_SGPR: 6
; COMPUTE_PGM_RSRC2:TRAP_HANDLER: 0
; COMPUTE_PGM_RSRC2:TGID_X_EN: 1
; COMPUTE_PGM_RSRC2:TGID_Y_EN: 1
; COMPUTE_PGM_RSRC2:TGID_Z_EN: 0
; COMPUTE_PGM_RSRC2:TIDIG_COMP_CNT: 0
; COMPUTE_PGM_RSRC3_GFX90A:ACCUM_OFFSET: 2
; COMPUTE_PGM_RSRC3_GFX90A:TG_SPLIT: 0
	.section	.text._ZN9rocsolver6v33100L11swap_kernelI19rocblas_complex_numIfEiEEvT0_PT_S4_S6_S4_,"axG",@progbits,_ZN9rocsolver6v33100L11swap_kernelI19rocblas_complex_numIfEiEEvT0_PT_S4_S6_S4_,comdat
	.globl	_ZN9rocsolver6v33100L11swap_kernelI19rocblas_complex_numIfEiEEvT0_PT_S4_S6_S4_ ; -- Begin function _ZN9rocsolver6v33100L11swap_kernelI19rocblas_complex_numIfEiEEvT0_PT_S4_S6_S4_
	.p2align	8
	.type	_ZN9rocsolver6v33100L11swap_kernelI19rocblas_complex_numIfEiEEvT0_PT_S4_S6_S4_,@function
_ZN9rocsolver6v33100L11swap_kernelI19rocblas_complex_numIfEiEEvT0_PT_S4_S6_S4_: ; @_ZN9rocsolver6v33100L11swap_kernelI19rocblas_complex_numIfEiEEvT0_PT_S4_S6_S4_
; %bb.0:
	s_load_dword s16, s[4:5], 0x0
	s_waitcnt lgkmcnt(0)
	s_cmp_lt_i32 s16, 1
	s_cbranch_scc1 .LBB154_10
; %bb.1:
	s_load_dword s0, s[4:5], 0x28
	s_load_dword s1, s[4:5], 0x34
	s_load_dwordx2 s[2:3], s[4:5], 0x8
	s_load_dword s12, s[4:5], 0x10
	s_load_dwordx2 s[8:9], s[4:5], 0x18
	s_load_dword s10, s[4:5], 0x20
	s_waitcnt lgkmcnt(0)
	s_and_b32 s1, s1, 0xffff
	s_mul_i32 s6, s6, s1
	s_cmp_eq_u32 s12, 1
	s_mul_i32 s4, s0, s1
	s_cselect_b64 s[0:1], -1, 0
	s_cmp_eq_u32 s10, 1
	v_add_u32_e32 v0, s6, v0
	s_cselect_b64 s[6:7], -1, 0
	s_and_b64 s[14:15], s[0:1], s[6:7]
	v_cmp_gt_i32_e64 s[0:1], s16, v0
	s_mov_b64 s[6:7], -1
	s_and_b64 vcc, exec, s[14:15]
	s_cbranch_vccnz .LBB154_6
; %bb.2:
	s_and_saveexec_b64 s[6:7], s[0:1]
	s_cbranch_execz .LBB154_5
; %bb.3:
	v_mad_i64_i32 v[2:3], s[14:15], s10, v0, 0
	v_lshlrev_b64 v[2:3], 3, v[2:3]
	v_mov_b32_e32 v1, s9
	v_add_co_u32_e32 v2, vcc, s8, v2
	v_mad_i64_i32 v[4:5], s[14:15], s12, v0, 0
	v_addc_co_u32_e32 v3, vcc, v1, v3, vcc
	s_mul_hi_i32 s11, s10, s4
	s_mul_i32 s10, s10, s4
	v_lshlrev_b64 v[4:5], 3, v[4:5]
	s_mul_hi_i32 s13, s12, s4
	s_mul_i32 s12, s12, s4
	s_lshl_b64 s[10:11], s[10:11], 3
	v_mov_b32_e32 v1, s3
	v_add_co_u32_e32 v4, vcc, s2, v4
	s_lshl_b64 s[12:13], s[12:13], 3
	v_addc_co_u32_e32 v5, vcc, v1, v5, vcc
	s_mov_b64 s[14:15], 0
	v_mov_b32_e32 v1, s11
	v_mov_b32_e32 v6, s13
	;; [unrolled: 1-line block ×3, first 2 shown]
.LBB154_4:                              ; =>This Inner Loop Header: Depth=1
	global_load_dwordx2 v[8:9], v[4:5], off
	global_load_dwordx2 v[10:11], v[2:3], off
	v_add_u32_e32 v7, s4, v7
	v_cmp_le_i32_e32 vcc, s16, v7
	s_or_b64 s[14:15], vcc, s[14:15]
	s_waitcnt vmcnt(1)
	global_store_dwordx2 v[2:3], v[8:9], off
	s_waitcnt vmcnt(1)
	global_store_dwordx2 v[4:5], v[10:11], off
	v_add_co_u32_e32 v2, vcc, s10, v2
	v_addc_co_u32_e32 v3, vcc, v3, v1, vcc
	v_add_co_u32_e32 v4, vcc, s12, v4
	v_addc_co_u32_e32 v5, vcc, v5, v6, vcc
	s_andn2_b64 exec, exec, s[14:15]
	s_cbranch_execnz .LBB154_4
.LBB154_5:
	s_or_b64 exec, exec, s[6:7]
	s_mov_b64 s[6:7], 0
.LBB154_6:
	s_andn2_b64 vcc, exec, s[6:7]
	s_cbranch_vccnz .LBB154_10
; %bb.7:
	s_and_saveexec_b64 s[6:7], s[0:1]
	s_cbranch_execz .LBB154_10
; %bb.8:
	s_ashr_i32 s5, s4, 31
	v_ashrrev_i32_e32 v1, 31, v0
	s_lshl_b64 s[0:1], s[4:5], 3
	v_lshlrev_b64 v[2:3], 3, v[0:1]
	s_mov_b64 s[6:7], 0
	v_mov_b32_e32 v1, s9
	v_mov_b32_e32 v4, s3
	;; [unrolled: 1-line block ×3, first 2 shown]
.LBB154_9:                              ; =>This Inner Loop Header: Depth=1
	v_add_co_u32_e32 v6, vcc, s8, v2
	v_addc_co_u32_e32 v7, vcc, v1, v3, vcc
	v_add_co_u32_e32 v8, vcc, s2, v2
	v_addc_co_u32_e32 v9, vcc, v4, v3, vcc
	global_load_dwordx2 v[10:11], v[8:9], off
	global_load_dwordx2 v[12:13], v[6:7], off
	v_add_co_u32_e32 v2, vcc, s0, v2
	v_add_u32_e32 v0, s4, v0
	v_addc_co_u32_e32 v3, vcc, v3, v5, vcc
	v_cmp_le_i32_e32 vcc, s16, v0
	s_or_b64 s[6:7], vcc, s[6:7]
	s_waitcnt vmcnt(1)
	global_store_dwordx2 v[6:7], v[10:11], off
	s_waitcnt vmcnt(1)
	global_store_dwordx2 v[8:9], v[12:13], off
	s_andn2_b64 exec, exec, s[6:7]
	s_cbranch_execnz .LBB154_9
.LBB154_10:
	s_endpgm
	.section	.rodata,"a",@progbits
	.p2align	6, 0x0
	.amdhsa_kernel _ZN9rocsolver6v33100L11swap_kernelI19rocblas_complex_numIfEiEEvT0_PT_S4_S6_S4_
		.amdhsa_group_segment_fixed_size 0
		.amdhsa_private_segment_fixed_size 0
		.amdhsa_kernarg_size 296
		.amdhsa_user_sgpr_count 6
		.amdhsa_user_sgpr_private_segment_buffer 1
		.amdhsa_user_sgpr_dispatch_ptr 0
		.amdhsa_user_sgpr_queue_ptr 0
		.amdhsa_user_sgpr_kernarg_segment_ptr 1
		.amdhsa_user_sgpr_dispatch_id 0
		.amdhsa_user_sgpr_flat_scratch_init 0
		.amdhsa_user_sgpr_kernarg_preload_length 0
		.amdhsa_user_sgpr_kernarg_preload_offset 0
		.amdhsa_user_sgpr_private_segment_size 0
		.amdhsa_uses_dynamic_stack 0
		.amdhsa_system_sgpr_private_segment_wavefront_offset 0
		.amdhsa_system_sgpr_workgroup_id_x 1
		.amdhsa_system_sgpr_workgroup_id_y 0
		.amdhsa_system_sgpr_workgroup_id_z 0
		.amdhsa_system_sgpr_workgroup_info 0
		.amdhsa_system_vgpr_workitem_id 0
		.amdhsa_next_free_vgpr 14
		.amdhsa_next_free_sgpr 17
		.amdhsa_accum_offset 16
		.amdhsa_reserve_vcc 1
		.amdhsa_reserve_flat_scratch 0
		.amdhsa_float_round_mode_32 0
		.amdhsa_float_round_mode_16_64 0
		.amdhsa_float_denorm_mode_32 3
		.amdhsa_float_denorm_mode_16_64 3
		.amdhsa_dx10_clamp 1
		.amdhsa_ieee_mode 1
		.amdhsa_fp16_overflow 0
		.amdhsa_tg_split 0
		.amdhsa_exception_fp_ieee_invalid_op 0
		.amdhsa_exception_fp_denorm_src 0
		.amdhsa_exception_fp_ieee_div_zero 0
		.amdhsa_exception_fp_ieee_overflow 0
		.amdhsa_exception_fp_ieee_underflow 0
		.amdhsa_exception_fp_ieee_inexact 0
		.amdhsa_exception_int_div_zero 0
	.end_amdhsa_kernel
	.section	.text._ZN9rocsolver6v33100L11swap_kernelI19rocblas_complex_numIfEiEEvT0_PT_S4_S6_S4_,"axG",@progbits,_ZN9rocsolver6v33100L11swap_kernelI19rocblas_complex_numIfEiEEvT0_PT_S4_S6_S4_,comdat
.Lfunc_end154:
	.size	_ZN9rocsolver6v33100L11swap_kernelI19rocblas_complex_numIfEiEEvT0_PT_S4_S6_S4_, .Lfunc_end154-_ZN9rocsolver6v33100L11swap_kernelI19rocblas_complex_numIfEiEEvT0_PT_S4_S6_S4_
                                        ; -- End function
	.section	.AMDGPU.csdata,"",@progbits
; Kernel info:
; codeLenInByte = 460
; NumSgprs: 21
; NumVgprs: 14
; NumAgprs: 0
; TotalNumVgprs: 14
; ScratchSize: 0
; MemoryBound: 0
; FloatMode: 240
; IeeeMode: 1
; LDSByteSize: 0 bytes/workgroup (compile time only)
; SGPRBlocks: 2
; VGPRBlocks: 1
; NumSGPRsForWavesPerEU: 21
; NumVGPRsForWavesPerEU: 14
; AccumOffset: 16
; Occupancy: 8
; WaveLimiterHint : 0
; COMPUTE_PGM_RSRC2:SCRATCH_EN: 0
; COMPUTE_PGM_RSRC2:USER_SGPR: 6
; COMPUTE_PGM_RSRC2:TRAP_HANDLER: 0
; COMPUTE_PGM_RSRC2:TGID_X_EN: 1
; COMPUTE_PGM_RSRC2:TGID_Y_EN: 0
; COMPUTE_PGM_RSRC2:TGID_Z_EN: 0
; COMPUTE_PGM_RSRC2:TIDIG_COMP_CNT: 0
; COMPUTE_PGM_RSRC3_GFX90A:ACCUM_OFFSET: 3
; COMPUTE_PGM_RSRC3_GFX90A:TG_SPLIT: 0
	.section	.text._ZN9rocsolver6v33100L10rot_kernelIf19rocblas_complex_numIfEiEEvT1_PT0_S4_S6_S4_T_S7_,"axG",@progbits,_ZN9rocsolver6v33100L10rot_kernelIf19rocblas_complex_numIfEiEEvT1_PT0_S4_S6_S4_T_S7_,comdat
	.globl	_ZN9rocsolver6v33100L10rot_kernelIf19rocblas_complex_numIfEiEEvT1_PT0_S4_S6_S4_T_S7_ ; -- Begin function _ZN9rocsolver6v33100L10rot_kernelIf19rocblas_complex_numIfEiEEvT1_PT0_S4_S6_S4_T_S7_
	.p2align	8
	.type	_ZN9rocsolver6v33100L10rot_kernelIf19rocblas_complex_numIfEiEEvT1_PT0_S4_S6_S4_T_S7_,@function
_ZN9rocsolver6v33100L10rot_kernelIf19rocblas_complex_numIfEiEEvT1_PT0_S4_S6_S4_T_S7_: ; @_ZN9rocsolver6v33100L10rot_kernelIf19rocblas_complex_numIfEiEEvT1_PT0_S4_S6_S4_T_S7_
; %bb.0:
	s_load_dword s22, s[4:5], 0x0
	s_waitcnt lgkmcnt(0)
	s_cmp_lt_i32 s22, 1
	s_cbranch_scc1 .LBB155_10
; %bb.1:
	s_load_dword s0, s[4:5], 0x3c
	s_load_dwordx4 s[8:11], s[4:5], 0x20
	s_load_dword s1, s[4:5], 0x30
	s_load_dwordx2 s[2:3], s[4:5], 0x8
	s_load_dword s18, s[4:5], 0x10
	s_load_dwordx2 s[12:13], s[4:5], 0x18
	s_waitcnt lgkmcnt(0)
	s_and_b32 s0, s0, 0xffff
	s_mul_i32 s6, s6, s0
	s_mul_i32 s4, s1, s0
	s_cmp_eq_u32 s18, 1
	s_cselect_b64 s[0:1], -1, 0
	s_cmp_eq_u32 s8, 1
	v_add_u32_e32 v0, s6, v0
	s_cselect_b64 s[6:7], -1, 0
	s_and_b64 s[14:15], s[0:1], s[6:7]
	v_cmp_gt_i32_e64 s[0:1], s22, v0
	s_mov_b64 s[6:7], -1
	s_and_b64 vcc, exec, s[14:15]
	s_cbranch_vccnz .LBB155_6
; %bb.2:
	s_and_saveexec_b64 s[6:7], s[0:1]
	s_cbranch_execz .LBB155_5
; %bb.3:
	v_mad_i64_i32 v[2:3], s[16:17], s8, v0, 0
	v_lshlrev_b64 v[2:3], 3, v[2:3]
	v_mov_b32_e32 v1, s13
	v_add_co_u32_e32 v2, vcc, s12, v2
	v_mad_i64_i32 v[4:5], s[20:21], s18, v0, 0
	v_addc_co_u32_e32 v3, vcc, v1, v3, vcc
	v_lshlrev_b64 v[4:5], 3, v[4:5]
	v_mov_b32_e32 v1, s3
	v_add_co_u32_e32 v4, vcc, s2, v4
	s_mul_hi_i32 s17, s8, s4
	s_mul_i32 s16, s8, s4
	v_addc_co_u32_e32 v1, vcc, v5, v1, vcc
	s_mul_hi_i32 s19, s18, s4
	s_mul_i32 s18, s18, s4
	s_lshl_b64 s[16:17], s[16:17], 3
	v_add_co_u32_e32 v4, vcc, 4, v4
	s_lshl_b64 s[18:19], s[18:19], 3
	s_mov_b32 s14, s9
	s_mov_b32 s15, s9
	s_mov_b32 s11, s10
	v_addc_co_u32_e32 v5, vcc, 0, v1, vcc
	s_mov_b64 s[20:21], 0
	v_mov_b32_e32 v1, s17
	v_mov_b32_e32 v6, s19
	;; [unrolled: 1-line block ×3, first 2 shown]
.LBB155_4:                              ; =>This Inner Loop Header: Depth=1
	global_load_dwordx2 v[8:9], v[2:3], off
	global_load_dwordx2 v[10:11], v[4:5], off offset:-4
	v_add_u32_e32 v7, s4, v7
	v_cmp_le_i32_e32 vcc, s22, v7
	s_or_b64 s[20:21], vcc, s[20:21]
	s_waitcnt vmcnt(1)
	v_mul_f32_e32 v12, s10, v8
	s_waitcnt vmcnt(0)
	v_pk_mul_f32 v[14:15], v[10:11], s[10:11]
	v_mul_f32_e32 v13, s10, v9
	v_pk_fma_f32 v[8:9], v[8:9], s[14:15], v[14:15] neg_lo:[0,0,1] neg_hi:[0,0,1]
	v_fmac_f32_e32 v12, s9, v10
	v_fmac_f32_e32 v13, s9, v11
	global_store_dwordx2 v[2:3], v[8:9], off
	global_store_dwordx2 v[4:5], v[12:13], off offset:-4
	v_add_co_u32_e32 v2, vcc, s16, v2
	v_addc_co_u32_e32 v3, vcc, v3, v1, vcc
	v_add_co_u32_e32 v4, vcc, s18, v4
	v_addc_co_u32_e32 v5, vcc, v5, v6, vcc
	s_andn2_b64 exec, exec, s[20:21]
	s_cbranch_execnz .LBB155_4
.LBB155_5:
	s_or_b64 exec, exec, s[6:7]
	s_mov_b64 s[6:7], 0
.LBB155_6:
	s_andn2_b64 vcc, exec, s[6:7]
	s_cbranch_vccnz .LBB155_10
; %bb.7:
	s_and_saveexec_b64 s[6:7], s[0:1]
	s_cbranch_execz .LBB155_10
; %bb.8:
	s_ashr_i32 s5, s4, 31
	v_ashrrev_i32_e32 v1, 31, v0
	s_lshl_b64 s[0:1], s[4:5], 3
	s_mov_b32 s8, s9
	s_mov_b32 s11, s10
	v_lshlrev_b64 v[2:3], 3, v[0:1]
	s_mov_b64 s[6:7], 0
	v_mov_b32_e32 v1, s3
	v_mov_b32_e32 v4, s13
	;; [unrolled: 1-line block ×3, first 2 shown]
.LBB155_9:                              ; =>This Inner Loop Header: Depth=1
	v_add_co_u32_e32 v6, vcc, s2, v2
	v_addc_co_u32_e32 v7, vcc, v1, v3, vcc
	v_add_co_u32_e32 v8, vcc, s12, v2
	v_addc_co_u32_e32 v9, vcc, v4, v3, vcc
	global_load_dwordx2 v[10:11], v[8:9], off
	global_load_dwordx2 v[12:13], v[6:7], off
	v_add_co_u32_e32 v2, vcc, s0, v2
	v_add_u32_e32 v0, s4, v0
	v_addc_co_u32_e32 v3, vcc, v3, v5, vcc
	v_cmp_le_i32_e32 vcc, s22, v0
	s_or_b64 s[6:7], vcc, s[6:7]
	s_waitcnt vmcnt(1)
	v_mul_f32_e32 v14, s10, v10
	s_waitcnt vmcnt(0)
	v_pk_mul_f32 v[16:17], v[12:13], s[10:11]
	v_mul_f32_e32 v15, s10, v11
	v_pk_fma_f32 v[10:11], v[10:11], s[8:9], v[16:17] neg_lo:[0,0,1] neg_hi:[0,0,1]
	v_fmac_f32_e32 v14, s9, v12
	v_fmac_f32_e32 v15, s9, v13
	global_store_dwordx2 v[8:9], v[10:11], off
	global_store_dwordx2 v[6:7], v[14:15], off
	s_andn2_b64 exec, exec, s[6:7]
	s_cbranch_execnz .LBB155_9
.LBB155_10:
	s_endpgm
	.section	.rodata,"a",@progbits
	.p2align	6, 0x0
	.amdhsa_kernel _ZN9rocsolver6v33100L10rot_kernelIf19rocblas_complex_numIfEiEEvT1_PT0_S4_S6_S4_T_S7_
		.amdhsa_group_segment_fixed_size 0
		.amdhsa_private_segment_fixed_size 0
		.amdhsa_kernarg_size 304
		.amdhsa_user_sgpr_count 6
		.amdhsa_user_sgpr_private_segment_buffer 1
		.amdhsa_user_sgpr_dispatch_ptr 0
		.amdhsa_user_sgpr_queue_ptr 0
		.amdhsa_user_sgpr_kernarg_segment_ptr 1
		.amdhsa_user_sgpr_dispatch_id 0
		.amdhsa_user_sgpr_flat_scratch_init 0
		.amdhsa_user_sgpr_kernarg_preload_length 0
		.amdhsa_user_sgpr_kernarg_preload_offset 0
		.amdhsa_user_sgpr_private_segment_size 0
		.amdhsa_uses_dynamic_stack 0
		.amdhsa_system_sgpr_private_segment_wavefront_offset 0
		.amdhsa_system_sgpr_workgroup_id_x 1
		.amdhsa_system_sgpr_workgroup_id_y 0
		.amdhsa_system_sgpr_workgroup_id_z 0
		.amdhsa_system_sgpr_workgroup_info 0
		.amdhsa_system_vgpr_workitem_id 0
		.amdhsa_next_free_vgpr 18
		.amdhsa_next_free_sgpr 23
		.amdhsa_accum_offset 20
		.amdhsa_reserve_vcc 1
		.amdhsa_reserve_flat_scratch 0
		.amdhsa_float_round_mode_32 0
		.amdhsa_float_round_mode_16_64 0
		.amdhsa_float_denorm_mode_32 3
		.amdhsa_float_denorm_mode_16_64 3
		.amdhsa_dx10_clamp 1
		.amdhsa_ieee_mode 1
		.amdhsa_fp16_overflow 0
		.amdhsa_tg_split 0
		.amdhsa_exception_fp_ieee_invalid_op 0
		.amdhsa_exception_fp_denorm_src 0
		.amdhsa_exception_fp_ieee_div_zero 0
		.amdhsa_exception_fp_ieee_overflow 0
		.amdhsa_exception_fp_ieee_underflow 0
		.amdhsa_exception_fp_ieee_inexact 0
		.amdhsa_exception_int_div_zero 0
	.end_amdhsa_kernel
	.section	.text._ZN9rocsolver6v33100L10rot_kernelIf19rocblas_complex_numIfEiEEvT1_PT0_S4_S6_S4_T_S7_,"axG",@progbits,_ZN9rocsolver6v33100L10rot_kernelIf19rocblas_complex_numIfEiEEvT1_PT0_S4_S6_S4_T_S7_,comdat
.Lfunc_end155:
	.size	_ZN9rocsolver6v33100L10rot_kernelIf19rocblas_complex_numIfEiEEvT1_PT0_S4_S6_S4_T_S7_, .Lfunc_end155-_ZN9rocsolver6v33100L10rot_kernelIf19rocblas_complex_numIfEiEEvT1_PT0_S4_S6_S4_T_S7_
                                        ; -- End function
	.section	.AMDGPU.csdata,"",@progbits
; Kernel info:
; codeLenInByte = 552
; NumSgprs: 27
; NumVgprs: 18
; NumAgprs: 0
; TotalNumVgprs: 18
; ScratchSize: 0
; MemoryBound: 0
; FloatMode: 240
; IeeeMode: 1
; LDSByteSize: 0 bytes/workgroup (compile time only)
; SGPRBlocks: 3
; VGPRBlocks: 2
; NumSGPRsForWavesPerEU: 27
; NumVGPRsForWavesPerEU: 18
; AccumOffset: 20
; Occupancy: 8
; WaveLimiterHint : 0
; COMPUTE_PGM_RSRC2:SCRATCH_EN: 0
; COMPUTE_PGM_RSRC2:USER_SGPR: 6
; COMPUTE_PGM_RSRC2:TRAP_HANDLER: 0
; COMPUTE_PGM_RSRC2:TGID_X_EN: 1
; COMPUTE_PGM_RSRC2:TGID_Y_EN: 0
; COMPUTE_PGM_RSRC2:TGID_Z_EN: 0
; COMPUTE_PGM_RSRC2:TIDIG_COMP_CNT: 0
; COMPUTE_PGM_RSRC3_GFX90A:ACCUM_OFFSET: 4
; COMPUTE_PGM_RSRC3_GFX90A:TG_SPLIT: 0
	.section	.text._ZN9rocsolver6v33100L11lasr_kernelI19rocblas_complex_numIfEfPS3_iEEv13rocblas_side_14rocblas_pivot_15rocblas_direct_T2_S8_PT0_lSA_lT1_lS8_lS8_,"axG",@progbits,_ZN9rocsolver6v33100L11lasr_kernelI19rocblas_complex_numIfEfPS3_iEEv13rocblas_side_14rocblas_pivot_15rocblas_direct_T2_S8_PT0_lSA_lT1_lS8_lS8_,comdat
	.globl	_ZN9rocsolver6v33100L11lasr_kernelI19rocblas_complex_numIfEfPS3_iEEv13rocblas_side_14rocblas_pivot_15rocblas_direct_T2_S8_PT0_lSA_lT1_lS8_lS8_ ; -- Begin function _ZN9rocsolver6v33100L11lasr_kernelI19rocblas_complex_numIfEfPS3_iEEv13rocblas_side_14rocblas_pivot_15rocblas_direct_T2_S8_PT0_lSA_lT1_lS8_lS8_
	.p2align	8
	.type	_ZN9rocsolver6v33100L11lasr_kernelI19rocblas_complex_numIfEfPS3_iEEv13rocblas_side_14rocblas_pivot_15rocblas_direct_T2_S8_PT0_lSA_lT1_lS8_lS8_,@function
_ZN9rocsolver6v33100L11lasr_kernelI19rocblas_complex_numIfEfPS3_iEEv13rocblas_side_14rocblas_pivot_15rocblas_direct_T2_S8_PT0_lSA_lT1_lS8_lS8_: ; @_ZN9rocsolver6v33100L11lasr_kernelI19rocblas_complex_numIfEfPS3_iEEv13rocblas_side_14rocblas_pivot_15rocblas_direct_T2_S8_PT0_lSA_lT1_lS8_lS8_
; %bb.0:
	s_load_dword s33, s[4:5], 0x58
	s_waitcnt lgkmcnt(0)
	s_cmp_ge_u32 s7, s33
	s_cbranch_scc1 .LBB156_98
; %bb.1:
	s_load_dwordx4 s[0:3], s[4:5], 0x38
	s_load_dword s20, s[4:5], 0x48
	s_load_dwordx2 s[22:23], s[4:5], 0x50
	s_load_dword s26, s[4:5], 0x60
	s_load_dwordx2 s[24:25], s[4:5], 0x68
	s_load_dwordx4 s[16:19], s[4:5], 0x0
	s_load_dword s86, s[4:5], 0x10
	s_load_dwordx8 s[8:15], s[4:5], 0x18
	s_waitcnt lgkmcnt(0)
	s_ashr_i32 s21, s20, 31
	s_and_b32 s5, s25, 0xffff
	s_mul_i32 s6, s6, s5
	s_lshl_b64 s[2:3], s[2:3], 3
	v_add_u32_e32 v0, s6, v0
	s_add_u32 s6, s0, s2
	s_addc_u32 s25, s1, s3
	s_cmpk_lg_i32 s16, 0x8d
	s_cselect_b64 s[38:39], -1, 0
	s_cmpk_lg_i32 s16, 0x8e
	s_cselect_b64 s[44:45], -1, 0
	;; [unrolled: 2-line block ×6, first 2 shown]
	s_or_b64 s[28:29], s[38:39], s[42:43]
	s_or_b64 s[16:17], s[28:29], s[52:53]
	s_xor_b64 s[16:17], s[16:17], -1
	s_ashr_i32 s27, s19, 31
	s_add_i32 s62, s19, -2
	s_cmpk_lg_i32 s18, 0xac
	s_cselect_b64 s[54:55], -1, 0
	s_or_b64 s[28:29], s[28:29], s[54:55]
	s_xor_b64 s[28:29], s[28:29], -1
	s_cmp_gt_i32 s19, 1
	s_cselect_b64 s[30:31], -1, 0
	s_or_b64 s[36:37], s[38:39], s[50:51]
	s_or_b64 s[40:41], s[38:39], s[48:49]
	s_or_b64 s[46:47], s[44:45], s[42:43]
	s_or_b64 s[34:35], s[36:37], s[52:53]
	s_or_b64 s[36:37], s[36:37], s[54:55]
	s_or_b64 s[38:39], s[40:41], s[52:53]
	s_or_b64 s[40:41], s[40:41], s[54:55]
	s_or_b64 s[42:43], s[46:47], s[52:53]
	s_or_b64 s[46:47], s[46:47], s[54:55]
	s_xor_b64 s[34:35], s[34:35], -1
	s_xor_b64 s[36:37], s[36:37], -1
	;; [unrolled: 1-line block ×5, first 2 shown]
	s_add_i32 s18, s86, -1
	s_xor_b64 s[46:47], s[46:47], -1
                                        ; implicit-def: $vgpr48 : SGPR spill to VGPR lane
	s_add_i32 s68, s86, -2
	v_writelane_b32 v48, s46, 0
	s_cmp_gt_i32 s86, 1
	v_writelane_b32 v48, s47, 1
	s_cselect_b64 s[46:47], -1, 0
	s_or_b64 s[50:51], s[44:45], s[50:51]
	s_or_b64 s[56:57], s[50:51], s[52:53]
	s_xor_b64 s[56:57], s[56:57], -1
	v_writelane_b32 v48, s56, 2
	s_or_b64 s[50:51], s[50:51], s[54:55]
	v_writelane_b32 v48, s57, 3
	s_xor_b64 s[50:51], s[50:51], -1
	s_or_b64 s[44:45], s[44:45], s[48:49]
	v_writelane_b32 v48, s50, 4
	s_or_b64 s[48:49], s[44:45], s[52:53]
	v_writelane_b32 v48, s51, 5
	s_xor_b64 s[48:49], s[48:49], -1
	v_writelane_b32 v48, s48, 6
	v_cmp_le_i32_e32 vcc, s19, v0
	v_writelane_b32 v48, s49, 7
	s_or_b64 s[48:49], s[54:55], vcc
	s_or_b64 s[44:45], s[44:45], s[48:49]
	s_xor_b64 s[44:45], s[44:45], -1
	s_mul_i32 s4, s26, s5
	v_writelane_b32 v48, s44, 8
	v_writelane_b32 v48, s45, 9
	s_mul_hi_i32 s45, s20, s4
	s_mul_i32 s44, s20, s4
	s_mov_b32 s63, 0
	s_add_i32 s56, s19, -1
	s_lshl_b64 s[14:15], s[14:15], 2
	s_lshl_b64 s[58:59], s[22:23], 3
	s_ashr_i32 s5, s4, 31
	s_lshl_b64 s[60:61], s[44:45], 3
	s_lshl_b64 s[10:11], s[10:11], 2
	;; [unrolled: 1-line block ×3, first 2 shown]
	s_add_u32 s87, s8, s44
	s_addc_u32 s88, s9, s45
	s_add_u32 s89, s12, s44
	s_mul_i32 s26, s21, s68
	s_mul_hi_u32 s48, s20, s68
	s_addc_u32 s90, s13, s45
	s_mov_b32 s57, s63
	s_add_i32 s49, s48, s26
	s_mul_i32 s48, s20, s68
	s_mov_b32 s69, s63
	s_lshl_b64 s[44:45], s[62:63], 3
	s_lshl_b64 s[48:49], s[48:49], 3
	s_add_i32 s91, s19, 1
	s_lshl_b64 s[50:51], s[56:57], 3
	s_lshl_b64 s[62:63], s[20:21], 3
	;; [unrolled: 1-line block ×3, first 2 shown]
	s_add_u32 s5, s48, s2
	s_addc_u32 s26, s49, s3
	s_add_u32 s52, s0, s5
	s_mul_i32 s5, s21, s18
	s_mul_hi_u32 s21, s20, s18
	s_mul_i32 s66, s20, s18
	s_addc_u32 s26, s1, s26
	s_add_i32 s49, s21, s5
	s_mov_b32 s48, s66
	s_lshl_b64 s[48:49], s[48:49], 3
	s_add_u32 s5, s48, s2
	s_addc_u32 s21, s49, s3
	s_add_u32 s53, s0, s5
	s_addc_u32 s54, s1, s21
	s_lshl_b64 s[48:49], s[68:69], 2
	s_add_u32 s5, s8, s48
	s_addc_u32 s21, s9, s49
	s_add_u32 s57, s12, s48
	s_addc_u32 s92, s13, s49
	;; [unrolled: 2-line block ×4, first 2 shown]
	v_mad_i64_i32 v[2:3], s[0:1], s20, v0, 0
	v_lshlrev_b64 v[2:3], 3, v[2:3]
	v_mov_b32_e32 v1, s25
	v_add_co_u32_e32 v4, vcc, s6, v2
	v_addc_co_u32_e32 v1, vcc, v1, v3, vcc
	v_add_co_u32_e32 v2, vcc, 8, v4
	v_addc_co_u32_e32 v3, vcc, 0, v1, vcc
	v_mov_b32_e32 v5, s45
	v_add_co_u32_e32 v16, vcc, s44, v4
	v_addc_co_u32_e32 v17, vcc, v1, v5, vcc
	v_add_co_u32_e32 v18, vcc, 4, v4
	v_addc_co_u32_e32 v19, vcc, 0, v1, vcc
	v_mov_b32_e32 v1, s51
	v_add_co_u32_e32 v20, vcc, s50, v18
	v_addc_co_u32_e32 v21, vcc, v19, v1, vcc
	v_add_co_u32_e32 v22, vcc, 4, v16
	v_ashrrev_i32_e32 v1, 31, v0
	v_addc_co_u32_e32 v23, vcc, 0, v17, vcc
	v_lshlrev_b64 v[4:5], 3, v[0:1]
	v_mov_b32_e32 v1, s25
	v_add_co_u32_e32 v24, vcc, s6, v4
	v_addc_co_u32_e32 v25, vcc, v1, v5, vcc
	v_mov_b32_e32 v1, s26
	v_add_co_u32_e32 v26, vcc, s52, v4
	v_addc_co_u32_e32 v27, vcc, v1, v5, vcc
	;; [unrolled: 3-line block ×3, first 2 shown]
	v_add_co_u32_e32 v28, vcc, 4, v6
	v_addc_co_u32_e32 v29, vcc, 0, v1, vcc
	v_mov_b32_e32 v1, s3
	v_add_co_u32_e32 v4, vcc, s2, v4
	v_addc_co_u32_e32 v1, vcc, v1, v5, vcc
	v_add_co_u32_e32 v30, vcc, 4, v4
	v_addc_co_u32_e32 v31, vcc, 0, v1, vcc
	;; [unrolled: 2-line block ×3, first 2 shown]
	s_add_i32 s93, s86, 1
	v_add_co_u32_e32 v34, vcc, 4, v26
	s_sub_u32 s94, 0, s62
	v_addc_co_u32_e32 v35, vcc, 0, v27, vcc
	s_mov_b32 s26, s19
	s_mul_hi_i32 s67, s20, s18
	v_mov_b32_e32 v36, 0
	s_subb_u32 s95, 0, s63
	v_cmp_gt_i32_e64 s[0:1], s86, v0
	v_cmp_gt_i32_e64 s[2:3], s19, v0
	s_branch .LBB156_4
.LBB156_2:                              ;   in Loop: Header=BB156_4 Depth=1
	s_or_b64 exec, exec, s[68:69]
.LBB156_3:                              ;   in Loop: Header=BB156_4 Depth=1
	s_add_i32 s7, s7, s24
	s_cmp_ge_u32 s7, s33
	s_cbranch_scc1 .LBB156_98
.LBB156_4:                              ; =>This Loop Header: Depth=1
                                        ;     Child Loop BB156_8 Depth 2
                                        ;       Child Loop BB156_9 Depth 3
                                        ;     Child Loop BB156_16 Depth 2
                                        ;       Child Loop BB156_17 Depth 3
	;; [unrolled: 2-line block ×12, first 2 shown]
	s_mul_i32 s44, s11, s7
	s_mul_hi_u32 s45, s10, s7
	s_add_i32 s84, s45, s44
	s_mul_i32 s44, s15, s7
	s_mul_hi_u32 s45, s14, s7
	s_mul_i32 s85, s10, s7
	s_add_i32 s50, s45, s44
	s_add_u32 s68, s8, s85
	v_mov_b32_e32 v1, s7
	s_mul_i32 s51, s14, s7
	s_addc_u32 s69, s9, s84
	v_mad_u64_u32 v[4:5], s[44:45], s58, v1, v[2:3]
	s_add_u32 s70, s12, s51
	s_mul_i32 s44, s7, s23
	s_mul_hi_u32 s45, s7, s22
	s_addc_u32 s71, s13, s50
	s_add_i32 s45, s45, s44
	s_mul_i32 s44, s7, s22
	s_lshl_b64 s[44:45], s[44:45], 3
	s_mul_i32 s52, s59, s7
	s_add_u32 s54, s6, s44
	v_add_u32_e32 v5, s52, v5
	s_addc_u32 s55, s25, s45
	s_andn2_b64 vcc, exec, s[16:17]
	s_mov_b64 s[72:73], -1
	s_cbranch_vccnz .LBB156_11
; %bb.5:                                ;   in Loop: Header=BB156_4 Depth=1
	s_and_saveexec_b64 s[72:73], s[0:1]
	s_cbranch_execz .LBB156_10
; %bb.6:                                ;   in Loop: Header=BB156_4 Depth=1
	s_lshl_b64 s[44:45], s[26:27], 3
	s_add_u32 s44, s54, s44
	s_addc_u32 s45, s55, s45
	s_add_u32 s53, s44, -8
	s_addc_u32 s48, s45, -1
	s_mov_b64 s[74:75], 0
	v_mov_b32_e32 v1, s55
	v_pk_mov_b32 v[6:7], v[4:5], v[4:5] op_sel:[0,1]
	v_mov_b32_e32 v14, v0
	s_branch .LBB156_8
.LBB156_7:                              ;   in Loop: Header=BB156_8 Depth=2
	v_mov_b32_e32 v12, s48
	v_add_co_u32_e32 v8, vcc, s53, v8
	v_addc_co_u32_e32 v9, vcc, v12, v9, vcc
	v_add_u32_e32 v14, s4, v14
	v_cmp_le_i32_e32 vcc, s86, v14
	s_waitcnt vmcnt(0)
	global_store_dwordx2 v[8:9], v[10:11], off
	v_mov_b32_e32 v8, s61
	s_or_b64 s[74:75], vcc, s[74:75]
	v_add_co_u32_e32 v6, vcc, s60, v6
	v_addc_co_u32_e32 v7, vcc, v7, v8, vcc
	s_andn2_b64 exec, exec, s[74:75]
	s_cbranch_execz .LBB156_10
.LBB156_8:                              ;   Parent Loop BB156_4 Depth=1
                                        ; =>  This Loop Header: Depth=2
                                        ;       Child Loop BB156_9 Depth 3
	v_mad_i64_i32 v[8:9], s[44:45], v14, s20, 0
	v_lshlrev_b64 v[8:9], 3, v[8:9]
	v_add_co_u32_e32 v10, vcc, s54, v8
	v_addc_co_u32_e32 v11, vcc, v1, v9, vcc
	global_load_dwordx2 v[10:11], v[10:11], off
	s_andn2_b64 vcc, exec, s[30:31]
	s_mov_b64 s[76:77], s[68:69]
	v_pk_mov_b32 v[12:13], v[6:7], v[6:7] op_sel:[0,1]
	s_mov_b64 s[78:79], s[70:71]
	s_mov_b32 s44, s56
	s_cbranch_vccnz .LBB156_7
.LBB156_9:                              ;   Parent Loop BB156_4 Depth=1
                                        ;     Parent Loop BB156_8 Depth=2
                                        ; =>    This Inner Loop Header: Depth=3
	global_load_dword v38, v36, s[78:79]
	global_load_dwordx2 v[40:41], v[12:13], off
	global_load_dword v42, v36, s[76:77]
	s_add_i32 s44, s44, -1
	s_add_u32 s78, s78, 4
	s_addc_u32 s79, s79, 0
	s_add_u32 s76, s76, 4
	s_addc_u32 s77, s77, 0
	s_cmp_eq_u32 s44, 0
	s_waitcnt vmcnt(1)
	v_mul_f32_e32 v44, v38, v40
	v_mul_f32_e32 v45, v38, v41
	s_waitcnt vmcnt(0)
	v_fmac_f32_e32 v44, v10, v42
	v_fmac_f32_e32 v45, v11, v42
	v_pk_mul_f32 v[38:39], v[10:11], v[38:39] op_sel_hi:[1,0]
	global_store_dwordx2 v[12:13], v[44:45], off offset:-8
	v_add_co_u32_e32 v12, vcc, 8, v12
	v_pk_fma_f32 v[10:11], v[42:43], v[40:41], v[38:39] op_sel_hi:[0,1,1] neg_lo:[0,0,1] neg_hi:[0,0,1]
	v_addc_co_u32_e32 v13, vcc, 0, v13, vcc
	s_cbranch_scc0 .LBB156_9
	s_branch .LBB156_7
.LBB156_10:                             ;   in Loop: Header=BB156_4 Depth=1
	s_or_b64 exec, exec, s[72:73]
	s_mov_b64 s[72:73], 0
.LBB156_11:                             ;   in Loop: Header=BB156_4 Depth=1
	s_andn2_b64 vcc, exec, s[72:73]
	s_cbranch_vccnz .LBB156_3
; %bb.12:                               ;   in Loop: Header=BB156_4 Depth=1
	s_mul_hi_u32 s44, s58, s7
	s_add_i32 s52, s44, s52
	s_add_u32 s72, s87, s85
	s_addc_u32 s73, s88, s84
	s_add_u32 s74, s89, s51
	s_mul_i32 s53, s58, s7
	s_addc_u32 s75, s90, s50
	s_andn2_b64 vcc, exec, s[28:29]
	s_mov_b64 s[76:77], -1
	s_cbranch_vccnz .LBB156_19
; %bb.13:                               ;   in Loop: Header=BB156_4 Depth=1
	s_and_saveexec_b64 s[76:77], s[0:1]
	s_cbranch_execz .LBB156_18
; %bb.14:                               ;   in Loop: Header=BB156_4 Depth=1
	s_lshl_b64 s[44:45], s[26:27], 3
	s_add_u32 s44, s54, s44
	s_addc_u32 s45, s55, s45
	v_mov_b32_e32 v1, s52
	v_add_co_u32_e32 v6, vcc, s53, v16
	s_add_u32 s48, s44, -8
	v_addc_co_u32_e32 v7, vcc, v17, v1, vcc
	s_addc_u32 s49, s45, -1
	s_mov_b64 s[78:79], 0
	v_mov_b32_e32 v1, v0
	s_branch .LBB156_16
.LBB156_15:                             ;   in Loop: Header=BB156_16 Depth=2
	v_mov_b32_e32 v12, s55
	v_add_co_u32_e32 v8, vcc, s54, v8
	v_addc_co_u32_e32 v9, vcc, v12, v9, vcc
	v_add_u32_e32 v1, s4, v1
	v_cmp_le_i32_e32 vcc, s86, v1
	s_waitcnt vmcnt(0)
	global_store_dwordx2 v[8:9], v[10:11], off
	v_mov_b32_e32 v8, s61
	s_or_b64 s[78:79], vcc, s[78:79]
	v_add_co_u32_e32 v6, vcc, s60, v6
	v_addc_co_u32_e32 v7, vcc, v7, v8, vcc
	s_andn2_b64 exec, exec, s[78:79]
	s_cbranch_execz .LBB156_18
.LBB156_16:                             ;   Parent Loop BB156_4 Depth=1
                                        ; =>  This Loop Header: Depth=2
                                        ;       Child Loop BB156_17 Depth 3
	v_mad_i64_i32 v[8:9], s[44:45], v1, s20, 0
	v_lshlrev_b64 v[8:9], 3, v[8:9]
	v_mov_b32_e32 v11, s49
	v_add_co_u32_e32 v10, vcc, s48, v8
	v_addc_co_u32_e32 v11, vcc, v11, v9, vcc
	global_load_dwordx2 v[10:11], v[10:11], off
	s_andn2_b64 vcc, exec, s[30:31]
	v_pk_mov_b32 v[12:13], v[6:7], v[6:7] op_sel:[0,1]
	s_mov_b64 s[80:81], s[74:75]
	s_mov_b64 s[82:83], s[72:73]
	s_mov_b32 s44, s56
	s_cbranch_vccnz .LBB156_15
.LBB156_17:                             ;   Parent Loop BB156_4 Depth=1
                                        ;     Parent Loop BB156_16 Depth=2
                                        ; =>    This Inner Loop Header: Depth=3
	global_load_dwordx2 v[14:15], v[12:13], off
	global_load_dword v38, v36, s[80:81]
	global_load_dword v40, v36, s[82:83]
	s_add_i32 s44, s44, -1
	s_add_u32 s82, s82, -4
	s_addc_u32 s83, s83, -1
	s_add_u32 s80, s80, -4
	s_addc_u32 s81, s81, -1
	s_cmp_eq_u32 s44, 0
	s_waitcnt vmcnt(1)
	v_mul_f32_e32 v37, v38, v14
	v_mul_f32_e32 v39, v38, v15
	s_waitcnt vmcnt(0)
	v_fma_f32 v42, v10, v40, -v37
	v_fma_f32 v43, v11, v40, -v39
	v_pk_mul_f32 v[14:15], v[40:41], v[14:15] op_sel_hi:[0,1]
	global_store_dwordx2 v[12:13], v[42:43], off offset:8
	v_add_co_u32_e32 v12, vcc, -8, v12
	v_pk_fma_f32 v[10:11], v[10:11], v[38:39], v[14:15] op_sel_hi:[1,0,1]
	v_addc_co_u32_e32 v13, vcc, -1, v13, vcc
	s_cbranch_scc0 .LBB156_17
	s_branch .LBB156_15
.LBB156_18:                             ;   in Loop: Header=BB156_4 Depth=1
	s_or_b64 exec, exec, s[76:77]
	s_mov_b64 s[76:77], 0
.LBB156_19:                             ;   in Loop: Header=BB156_4 Depth=1
	s_andn2_b64 vcc, exec, s[76:77]
	s_cbranch_vccnz .LBB156_3
; %bb.20:                               ;   in Loop: Header=BB156_4 Depth=1
	s_andn2_b64 vcc, exec, s[34:35]
	s_mov_b64 s[76:77], -1
	s_cbranch_vccnz .LBB156_27
; %bb.21:                               ;   in Loop: Header=BB156_4 Depth=1
	s_and_saveexec_b64 s[76:77], s[0:1]
	s_cbranch_execz .LBB156_26
; %bb.22:                               ;   in Loop: Header=BB156_4 Depth=1
	s_mov_b64 s[78:79], 0
	v_mov_b32_e32 v1, v0
	s_branch .LBB156_24
.LBB156_23:                             ;   in Loop: Header=BB156_24 Depth=2
	v_add_u32_e32 v1, s4, v1
	v_cmp_le_i32_e32 vcc, s86, v1
	s_waitcnt vmcnt(0)
	global_store_dwordx2 v[6:7], v[8:9], off
	v_mov_b32_e32 v6, s61
	s_or_b64 s[78:79], vcc, s[78:79]
	v_add_co_u32_e32 v4, vcc, s60, v4
	v_addc_co_u32_e32 v5, vcc, v5, v6, vcc
	s_andn2_b64 exec, exec, s[78:79]
	s_cbranch_execz .LBB156_26
.LBB156_24:                             ;   Parent Loop BB156_4 Depth=1
                                        ; =>  This Loop Header: Depth=2
                                        ;       Child Loop BB156_25 Depth 3
	v_mad_i64_i32 v[6:7], s[44:45], v1, s20, 0
	v_lshlrev_b64 v[6:7], 3, v[6:7]
	v_mov_b32_e32 v8, s55
	v_add_co_u32_e32 v6, vcc, s54, v6
	v_addc_co_u32_e32 v7, vcc, v8, v7, vcc
	global_load_dwordx2 v[8:9], v[6:7], off
	s_andn2_b64 vcc, exec, s[30:31]
	v_pk_mov_b32 v[10:11], v[4:5], v[4:5] op_sel:[0,1]
	s_mov_b32 s44, s56
	s_mov_b64 s[80:81], s[68:69]
	s_mov_b64 s[82:83], s[70:71]
	s_cbranch_vccnz .LBB156_23
.LBB156_25:                             ;   Parent Loop BB156_4 Depth=1
                                        ;     Parent Loop BB156_24 Depth=2
                                        ; =>    This Inner Loop Header: Depth=3
	global_load_dword v12, v36, s[82:83]
	global_load_dwordx2 v[14:15], v[10:11], off
	global_load_dword v38, v36, s[80:81]
	s_add_u32 s82, s82, 4
	s_addc_u32 s83, s83, 0
	s_add_u32 s80, s80, 4
	s_addc_u32 s81, s81, 0
	s_add_i32 s44, s44, -1
	s_cmp_eq_u32 s44, 0
	s_waitcnt vmcnt(2)
	v_mul_f32_e32 v37, v8, v12
	v_mul_f32_e32 v39, v9, v12
	s_waitcnt vmcnt(1)
	v_pk_mul_f32 v[12:13], v[12:13], v[14:15] op_sel_hi:[0,1]
	s_waitcnt vmcnt(0)
	v_fma_f32 v14, v38, v14, -v37
	v_fma_f32 v15, v38, v15, -v39
	global_store_dwordx2 v[10:11], v[14:15], off
	v_add_co_u32_e32 v10, vcc, 8, v10
	v_pk_fma_f32 v[8:9], v[8:9], v[38:39], v[12:13] op_sel_hi:[1,0,1]
	v_addc_co_u32_e32 v11, vcc, 0, v11, vcc
	s_cbranch_scc0 .LBB156_25
	s_branch .LBB156_23
.LBB156_26:                             ;   in Loop: Header=BB156_4 Depth=1
	s_or_b64 exec, exec, s[76:77]
	s_mov_b64 s[76:77], 0
.LBB156_27:                             ;   in Loop: Header=BB156_4 Depth=1
	s_andn2_b64 vcc, exec, s[76:77]
	s_cbranch_vccnz .LBB156_3
; %bb.28:                               ;   in Loop: Header=BB156_4 Depth=1
	s_andn2_b64 vcc, exec, s[36:37]
	s_mov_b64 s[76:77], -1
	s_cbranch_vccnz .LBB156_35
; %bb.29:                               ;   in Loop: Header=BB156_4 Depth=1
	s_and_saveexec_b64 s[76:77], s[0:1]
	s_cbranch_execz .LBB156_34
; %bb.30:                               ;   in Loop: Header=BB156_4 Depth=1
	v_mov_b32_e32 v1, s52
	v_add_co_u32_e32 v4, vcc, s53, v20
	v_addc_co_u32_e32 v5, vcc, v21, v1, vcc
	s_mov_b64 s[78:79], 0
	v_mov_b32_e32 v1, v0
	s_branch .LBB156_32
.LBB156_31:                             ;   in Loop: Header=BB156_32 Depth=2
	v_add_u32_e32 v1, s4, v1
	v_cmp_le_i32_e32 vcc, s86, v1
	s_waitcnt vmcnt(0)
	global_store_dwordx2 v[6:7], v[8:9], off
	v_mov_b32_e32 v6, s61
	s_or_b64 s[78:79], vcc, s[78:79]
	v_add_co_u32_e32 v4, vcc, s60, v4
	v_addc_co_u32_e32 v5, vcc, v5, v6, vcc
	s_andn2_b64 exec, exec, s[78:79]
	s_cbranch_execz .LBB156_34
.LBB156_32:                             ;   Parent Loop BB156_4 Depth=1
                                        ; =>  This Loop Header: Depth=2
                                        ;       Child Loop BB156_33 Depth 3
	v_mad_i64_i32 v[6:7], s[44:45], v1, s20, 0
	v_lshlrev_b64 v[6:7], 3, v[6:7]
	v_mov_b32_e32 v8, s55
	v_add_co_u32_e32 v6, vcc, s54, v6
	v_addc_co_u32_e32 v7, vcc, v8, v7, vcc
	global_load_dwordx2 v[8:9], v[6:7], off
	s_andn2_b64 vcc, exec, s[30:31]
	v_pk_mov_b32 v[10:11], v[4:5], v[4:5] op_sel:[0,1]
	s_mov_b64 s[80:81], s[74:75]
	s_mov_b64 s[82:83], s[72:73]
	s_mov_b32 s44, s91
	s_cbranch_vccnz .LBB156_31
.LBB156_33:                             ;   Parent Loop BB156_4 Depth=1
                                        ;     Parent Loop BB156_32 Depth=2
                                        ; =>    This Inner Loop Header: Depth=3
	global_load_dword v12, v36, s[80:81]
	global_load_dwordx2 v[14:15], v[10:11], off offset:-4
	global_load_dword v38, v36, s[82:83]
	s_add_i32 s44, s44, -1
	s_add_u32 s82, s82, -4
	s_addc_u32 s83, s83, -1
	s_add_u32 s80, s80, -4
	s_addc_u32 s81, s81, -1
	s_cmp_lt_u32 s44, 3
	s_waitcnt vmcnt(2)
	v_mul_f32_e32 v37, v8, v12
	v_mul_f32_e32 v39, v9, v12
	s_waitcnt vmcnt(1)
	v_pk_mul_f32 v[12:13], v[12:13], v[14:15] op_sel_hi:[0,1]
	s_waitcnt vmcnt(0)
	v_fma_f32 v14, v38, v14, -v37
	v_fma_f32 v15, v38, v15, -v39
	global_store_dwordx2 v[10:11], v[14:15], off offset:-4
	v_add_co_u32_e32 v10, vcc, -8, v10
	v_pk_fma_f32 v[8:9], v[8:9], v[38:39], v[12:13] op_sel_hi:[1,0,1]
	v_addc_co_u32_e32 v11, vcc, -1, v11, vcc
	s_cbranch_scc0 .LBB156_33
	s_branch .LBB156_31
.LBB156_34:                             ;   in Loop: Header=BB156_4 Depth=1
	s_or_b64 exec, exec, s[76:77]
	s_mov_b64 s[76:77], 0
.LBB156_35:                             ;   in Loop: Header=BB156_4 Depth=1
	s_andn2_b64 vcc, exec, s[76:77]
	s_cbranch_vccnz .LBB156_3
; %bb.36:                               ;   in Loop: Header=BB156_4 Depth=1
	s_andn2_b64 vcc, exec, s[38:39]
	s_mov_b64 s[76:77], -1
	s_cbranch_vccnz .LBB156_43
; %bb.37:                               ;   in Loop: Header=BB156_4 Depth=1
	s_and_saveexec_b64 s[76:77], s[0:1]
	s_cbranch_execz .LBB156_42
; %bb.38:                               ;   in Loop: Header=BB156_4 Depth=1
	s_lshl_b64 s[44:45], s[26:27], 3
	s_add_u32 s44, s54, s44
	s_addc_u32 s45, s55, s45
	v_mov_b32_e32 v1, s52
	v_add_co_u32_e32 v4, vcc, s53, v18
	s_add_u32 s48, s44, -8
	v_addc_co_u32_e32 v5, vcc, v19, v1, vcc
	s_addc_u32 s49, s45, -1
	s_mov_b64 s[78:79], 0
	v_mov_b32_e32 v1, v0
	s_branch .LBB156_40
.LBB156_39:                             ;   in Loop: Header=BB156_40 Depth=2
	v_add_u32_e32 v1, s4, v1
	v_cmp_le_i32_e32 vcc, s86, v1
	s_waitcnt vmcnt(0)
	global_store_dwordx2 v[6:7], v[8:9], off
	v_mov_b32_e32 v6, s61
	s_or_b64 s[78:79], vcc, s[78:79]
	v_add_co_u32_e32 v4, vcc, s60, v4
	v_addc_co_u32_e32 v5, vcc, v5, v6, vcc
	s_andn2_b64 exec, exec, s[78:79]
	s_cbranch_execz .LBB156_42
.LBB156_40:                             ;   Parent Loop BB156_4 Depth=1
                                        ; =>  This Loop Header: Depth=2
                                        ;       Child Loop BB156_41 Depth 3
	v_mad_i64_i32 v[6:7], s[44:45], v1, s20, 0
	v_lshlrev_b64 v[6:7], 3, v[6:7]
	v_mov_b32_e32 v8, s49
	v_add_co_u32_e32 v6, vcc, s48, v6
	v_addc_co_u32_e32 v7, vcc, v8, v7, vcc
	global_load_dwordx2 v[8:9], v[6:7], off
	s_andn2_b64 vcc, exec, s[30:31]
	v_pk_mov_b32 v[10:11], v[4:5], v[4:5] op_sel:[0,1]
	s_mov_b64 s[80:81], s[70:71]
	s_mov_b64 s[82:83], s[68:69]
	s_mov_b32 s44, s56
	s_cbranch_vccnz .LBB156_39
.LBB156_41:                             ;   Parent Loop BB156_4 Depth=1
                                        ;     Parent Loop BB156_40 Depth=2
                                        ; =>    This Inner Loop Header: Depth=3
	global_load_dwordx2 v[12:13], v[10:11], off offset:-4
	global_load_dword v14, v36, s[82:83]
	global_load_dword v38, v36, s[80:81]
	s_add_i32 s44, s44, -1
	s_add_u32 s82, s82, 4
	s_addc_u32 s83, s83, 0
	s_add_u32 s80, s80, 4
	s_addc_u32 s81, s81, 0
	s_cmp_eq_u32 s44, 0
	s_waitcnt vmcnt(1)
	v_mul_f32_e32 v40, v14, v12
	v_mul_f32_e32 v41, v14, v13
	s_waitcnt vmcnt(0)
	v_fmac_f32_e32 v40, v8, v38
	v_fmac_f32_e32 v41, v9, v38
	v_pk_mul_f32 v[12:13], v[38:39], v[12:13] op_sel_hi:[0,1]
	global_store_dwordx2 v[10:11], v[40:41], off offset:-4
	v_add_co_u32_e32 v10, vcc, 8, v10
	v_pk_fma_f32 v[8:9], v[8:9], v[14:15], v[12:13] op_sel_hi:[1,0,1] neg_lo:[0,0,1] neg_hi:[0,0,1]
	v_addc_co_u32_e32 v11, vcc, 0, v11, vcc
	s_cbranch_scc0 .LBB156_41
	s_branch .LBB156_39
.LBB156_42:                             ;   in Loop: Header=BB156_4 Depth=1
	s_or_b64 exec, exec, s[76:77]
	s_mov_b64 s[76:77], 0
.LBB156_43:                             ;   in Loop: Header=BB156_4 Depth=1
	s_andn2_b64 vcc, exec, s[76:77]
	s_cbranch_vccnz .LBB156_3
; %bb.44:                               ;   in Loop: Header=BB156_4 Depth=1
	s_andn2_b64 vcc, exec, s[40:41]
	s_mov_b64 s[76:77], -1
	s_cbranch_vccnz .LBB156_51
; %bb.45:                               ;   in Loop: Header=BB156_4 Depth=1
	s_and_saveexec_b64 s[76:77], s[0:1]
	s_cbranch_execz .LBB156_50
; %bb.46:                               ;   in Loop: Header=BB156_4 Depth=1
	s_lshl_b64 s[44:45], s[26:27], 3
	s_add_u32 s44, s54, s44
	s_addc_u32 s45, s55, s45
	v_mov_b32_e32 v1, s52
	v_add_co_u32_e32 v4, vcc, s53, v22
	s_add_u32 s48, s44, -8
	v_addc_co_u32_e32 v5, vcc, v23, v1, vcc
	s_addc_u32 s49, s45, -1
	s_mov_b64 s[78:79], 0
	v_mov_b32_e32 v1, v0
	s_branch .LBB156_48
.LBB156_47:                             ;   in Loop: Header=BB156_48 Depth=2
	v_add_u32_e32 v1, s4, v1
	v_cmp_le_i32_e32 vcc, s86, v1
	s_waitcnt vmcnt(0)
	global_store_dwordx2 v[6:7], v[8:9], off
	v_mov_b32_e32 v6, s61
	s_or_b64 s[78:79], vcc, s[78:79]
	v_add_co_u32_e32 v4, vcc, s60, v4
	v_addc_co_u32_e32 v5, vcc, v5, v6, vcc
	s_andn2_b64 exec, exec, s[78:79]
	s_cbranch_execz .LBB156_50
.LBB156_48:                             ;   Parent Loop BB156_4 Depth=1
                                        ; =>  This Loop Header: Depth=2
                                        ;       Child Loop BB156_49 Depth 3
	v_mad_i64_i32 v[6:7], s[44:45], v1, s20, 0
	v_lshlrev_b64 v[6:7], 3, v[6:7]
	v_mov_b32_e32 v8, s49
	v_add_co_u32_e32 v6, vcc, s48, v6
	v_addc_co_u32_e32 v7, vcc, v8, v7, vcc
	global_load_dwordx2 v[8:9], v[6:7], off
	s_andn2_b64 vcc, exec, s[30:31]
	v_pk_mov_b32 v[10:11], v[4:5], v[4:5] op_sel:[0,1]
	s_mov_b64 s[80:81], s[74:75]
	s_mov_b64 s[82:83], s[72:73]
	s_mov_b32 s44, s56
	s_cbranch_vccnz .LBB156_47
.LBB156_49:                             ;   Parent Loop BB156_4 Depth=1
                                        ;     Parent Loop BB156_48 Depth=2
                                        ; =>    This Inner Loop Header: Depth=3
	global_load_dwordx2 v[12:13], v[10:11], off offset:-4
	global_load_dword v14, v36, s[82:83]
	global_load_dword v38, v36, s[80:81]
	s_add_i32 s44, s44, -1
	s_add_u32 s82, s82, -4
	s_addc_u32 s83, s83, -1
	s_add_u32 s80, s80, -4
	s_addc_u32 s81, s81, -1
	s_cmp_eq_u32 s44, 0
	s_waitcnt vmcnt(1)
	v_mul_f32_e32 v40, v14, v12
	v_mul_f32_e32 v41, v14, v13
	s_waitcnt vmcnt(0)
	v_fmac_f32_e32 v40, v8, v38
	v_fmac_f32_e32 v41, v9, v38
	v_pk_mul_f32 v[12:13], v[38:39], v[12:13] op_sel_hi:[0,1]
	global_store_dwordx2 v[10:11], v[40:41], off offset:-4
	v_add_co_u32_e32 v10, vcc, -8, v10
	v_pk_fma_f32 v[8:9], v[8:9], v[14:15], v[12:13] op_sel_hi:[1,0,1] neg_lo:[0,0,1] neg_hi:[0,0,1]
	v_addc_co_u32_e32 v11, vcc, -1, v11, vcc
	s_cbranch_scc0 .LBB156_49
	s_branch .LBB156_47
.LBB156_50:                             ;   in Loop: Header=BB156_4 Depth=1
	s_or_b64 exec, exec, s[76:77]
	s_mov_b64 s[76:77], 0
.LBB156_51:                             ;   in Loop: Header=BB156_4 Depth=1
	s_andn2_b64 vcc, exec, s[76:77]
	s_cbranch_vccnz .LBB156_3
; %bb.52:                               ;   in Loop: Header=BB156_4 Depth=1
	s_andn2_b64 vcc, exec, s[42:43]
	s_mov_b64 s[72:73], -1
	s_cbranch_vccnz .LBB156_59
; %bb.53:                               ;   in Loop: Header=BB156_4 Depth=1
	s_and_saveexec_b64 s[72:73], s[2:3]
	s_cbranch_execz .LBB156_58
; %bb.54:                               ;   in Loop: Header=BB156_4 Depth=1
	s_lshl_b64 s[44:45], s[66:67], 3
	v_mov_b32_e32 v1, s52
	v_add_co_u32_e32 v4, vcc, s53, v24
	s_add_u32 s80, s54, s44
	v_addc_co_u32_e32 v5, vcc, v25, v1, vcc
	s_addc_u32 s81, s55, s45
	s_mov_b64 s[74:75], 0
	v_mov_b32_e32 v6, v0
	s_branch .LBB156_56
.LBB156_55:                             ;   in Loop: Header=BB156_56 Depth=2
	v_mov_b32_e32 v1, s81
	v_add_co_u32_e32 v8, vcc, s80, v8
	v_addc_co_u32_e32 v9, vcc, v1, v9, vcc
	v_add_u32_e32 v6, s4, v6
	v_cmp_le_i32_e32 vcc, s19, v6
	v_mov_b32_e32 v1, s65
	s_or_b64 s[74:75], vcc, s[74:75]
	v_add_co_u32_e32 v4, vcc, s64, v4
	v_addc_co_u32_e32 v5, vcc, v5, v1, vcc
	s_waitcnt vmcnt(0)
	global_store_dwordx2 v[8:9], v[10:11], off
	s_andn2_b64 exec, exec, s[74:75]
	s_cbranch_execz .LBB156_58
.LBB156_56:                             ;   Parent Loop BB156_4 Depth=1
                                        ; =>  This Loop Header: Depth=2
                                        ;       Child Loop BB156_57 Depth 3
	v_ashrrev_i32_e32 v7, 31, v6
	v_lshlrev_b64 v[8:9], 3, v[6:7]
	v_mov_b32_e32 v1, s55
	v_add_co_u32_e32 v10, vcc, s54, v8
	v_addc_co_u32_e32 v11, vcc, v1, v9, vcc
	global_load_dwordx2 v[10:11], v[10:11], off
	s_andn2_b64 vcc, exec, s[46:47]
	s_mov_b64 s[76:77], s[70:71]
	s_mov_b64 s[78:79], s[68:69]
	v_pk_mov_b32 v[12:13], v[4:5], v[4:5] op_sel:[0,1]
	s_mov_b32 s44, s18
	s_cbranch_vccnz .LBB156_55
.LBB156_57:                             ;   Parent Loop BB156_4 Depth=1
                                        ;     Parent Loop BB156_56 Depth=2
                                        ; =>    This Inner Loop Header: Depth=3
	v_mov_b32_e32 v1, s63
	v_add_co_u32_e32 v38, vcc, s62, v12
	global_load_dword v14, v36, s[76:77]
	v_addc_co_u32_e32 v39, vcc, v13, v1, vcc
	global_load_dwordx2 v[40:41], v[38:39], off
	global_load_dword v42, v36, s[78:79]
	s_add_i32 s44, s44, -1
	s_add_u32 s78, s78, 4
	s_addc_u32 s79, s79, 0
	s_add_u32 s76, s76, 4
	s_addc_u32 s77, s77, 0
	s_cmp_eq_u32 s44, 0
	s_waitcnt vmcnt(2)
	v_pk_mul_f32 v[44:45], v[10:11], v[14:15] op_sel_hi:[1,0]
	s_waitcnt vmcnt(1)
	v_mul_f32_e32 v46, v14, v40
	v_mul_f32_e32 v47, v14, v41
	s_waitcnt vmcnt(0)
	v_fmac_f32_e32 v46, v10, v42
	v_fmac_f32_e32 v47, v11, v42
	v_pk_fma_f32 v[10:11], v[42:43], v[40:41], v[44:45] op_sel_hi:[0,1,1] neg_lo:[0,0,1] neg_hi:[0,0,1]
	global_store_dwordx2 v[12:13], v[46:47], off
	v_pk_mov_b32 v[12:13], v[38:39], v[38:39] op_sel:[0,1]
	s_cbranch_scc0 .LBB156_57
	s_branch .LBB156_55
.LBB156_58:                             ;   in Loop: Header=BB156_4 Depth=1
	s_or_b64 exec, exec, s[72:73]
	s_mov_b64 s[72:73], 0
.LBB156_59:                             ;   in Loop: Header=BB156_4 Depth=1
	s_andn2_b64 vcc, exec, s[72:73]
	s_cbranch_vccnz .LBB156_3
; %bb.60:                               ;   in Loop: Header=BB156_4 Depth=1
	s_add_u32 s72, s5, s85
	s_addc_u32 s73, s21, s84
	v_mov_b32_e32 v1, s52
	v_add_co_u32_e32 v4, vcc, s53, v28
	v_readlane_b32 s44, v48, 0
	s_add_u32 s74, s57, s51
	v_addc_co_u32_e32 v5, vcc, v29, v1, vcc
	v_readlane_b32 s45, v48, 1
	s_addc_u32 s75, s92, s50
	s_andn2_b64 vcc, exec, s[44:45]
	s_mov_b64 s[76:77], -1
	s_cbranch_vccnz .LBB156_68
; %bb.61:                               ;   in Loop: Header=BB156_4 Depth=1
	s_and_saveexec_b64 s[76:77], s[2:3]
	s_cbranch_execz .LBB156_67
; %bb.62:                               ;   in Loop: Header=BB156_4 Depth=1
	s_lshl_b64 s[44:45], s[66:67], 3
	v_mov_b32_e32 v1, s52
	v_add_co_u32_e32 v6, vcc, s53, v26
	s_add_u32 s50, s54, s44
	v_addc_co_u32_e32 v1, vcc, v27, v1, vcc
	s_addc_u32 s51, s55, s45
	s_mov_b64 s[78:79], 0
	v_pk_mov_b32 v[8:9], v[4:5], v[4:5] op_sel:[0,1]
	v_mov_b32_e32 v10, v0
	s_branch .LBB156_64
.LBB156_63:                             ;   in Loop: Header=BB156_64 Depth=2
	v_mov_b32_e32 v7, s55
	v_add_co_u32_e32 v12, vcc, s54, v12
	v_addc_co_u32_e32 v13, vcc, v7, v13, vcc
	v_mov_b32_e32 v7, s65
	v_add_co_u32_e32 v6, vcc, s64, v6
	v_add_u32_e32 v10, s4, v10
	v_addc_co_u32_e32 v1, vcc, v1, v7, vcc
	v_cmp_le_i32_e32 vcc, s19, v10
	s_or_b64 s[78:79], vcc, s[78:79]
	v_add_co_u32_e32 v8, vcc, s64, v8
	v_addc_co_u32_e32 v9, vcc, v9, v7, vcc
	s_waitcnt vmcnt(0)
	global_store_dwordx2 v[12:13], v[14:15], off
	s_andn2_b64 exec, exec, s[78:79]
	s_cbranch_execz .LBB156_67
.LBB156_64:                             ;   Parent Loop BB156_4 Depth=1
                                        ; =>  This Loop Header: Depth=2
                                        ;       Child Loop BB156_66 Depth 3
	v_ashrrev_i32_e32 v11, 31, v10
	v_lshlrev_b64 v[12:13], 3, v[10:11]
	v_mov_b32_e32 v7, s51
	v_add_co_u32_e32 v14, vcc, s50, v12
	v_addc_co_u32_e32 v15, vcc, v7, v13, vcc
	global_load_dwordx2 v[14:15], v[14:15], off
	s_andn2_b64 vcc, exec, s[46:47]
	s_cbranch_vccnz .LBB156_63
; %bb.65:                               ;   in Loop: Header=BB156_64 Depth=2
	s_mov_b64 s[80:81], 0
	s_mov_b64 s[82:83], s[74:75]
	;; [unrolled: 1-line block ×3, first 2 shown]
	s_mov_b32 s48, s18
.LBB156_66:                             ;   Parent Loop BB156_4 Depth=1
                                        ;     Parent Loop BB156_64 Depth=2
                                        ; =>    This Inner Loop Header: Depth=3
	v_mov_b32_e32 v7, s81
	v_add_co_u32_e32 v42, vcc, s80, v6
	v_addc_co_u32_e32 v43, vcc, v1, v7, vcc
	global_load_dword v38, v36, s[84:85]
	global_load_dword v40, v36, s[82:83]
	s_add_i32 s48, s48, -1
	global_load_dwordx2 v[42:43], v[42:43], off
	v_add_co_u32_e32 v44, vcc, s80, v8
	s_sub_u32 s80, s80, s62
	s_subb_u32 s81, s81, s63
	s_add_u32 s84, s84, -4
	s_addc_u32 s85, s85, -1
	s_add_u32 s82, s82, -4
	v_addc_co_u32_e32 v45, vcc, v9, v7, vcc
	s_addc_u32 s83, s83, -1
	s_cmp_eq_u32 s48, 0
	s_waitcnt vmcnt(0)
	v_mul_f32_e32 v7, v40, v42
	v_mul_f32_e32 v11, v40, v43
	v_pk_mul_f32 v[42:43], v[38:39], v[42:43] op_sel_hi:[0,1]
	v_fma_f32 v46, v14, v38, -v7
	v_fma_f32 v47, v15, v38, -v11
	v_pk_fma_f32 v[14:15], v[14:15], v[40:41], v[42:43] op_sel_hi:[1,0,1]
	global_store_dwordx2 v[44:45], v[46:47], off offset:-4
	s_cbranch_scc0 .LBB156_66
	s_branch .LBB156_63
.LBB156_67:                             ;   in Loop: Header=BB156_4 Depth=1
	s_or_b64 exec, exec, s[76:77]
	s_mov_b64 s[76:77], 0
.LBB156_68:                             ;   in Loop: Header=BB156_4 Depth=1
	s_andn2_b64 vcc, exec, s[76:77]
	s_cbranch_vccnz .LBB156_3
; %bb.69:                               ;   in Loop: Header=BB156_4 Depth=1
	v_readlane_b32 s44, v48, 2
	v_readlane_b32 s45, v48, 3
	s_andn2_b64 vcc, exec, s[44:45]
	s_mov_b64 s[76:77], -1
	s_cbranch_vccnz .LBB156_76
; %bb.70:                               ;   in Loop: Header=BB156_4 Depth=1
	s_and_saveexec_b64 s[76:77], s[2:3]
	s_cbranch_execz .LBB156_75
; %bb.71:                               ;   in Loop: Header=BB156_4 Depth=1
	v_mov_b32_e32 v1, s52
	v_add_co_u32_e32 v6, vcc, s53, v30
	v_addc_co_u32_e32 v7, vcc, v31, v1, vcc
	s_mov_b64 s[78:79], 0
	v_mov_b32_e32 v8, v0
	s_branch .LBB156_73
.LBB156_72:                             ;   in Loop: Header=BB156_73 Depth=2
	v_add_u32_e32 v8, s4, v8
	v_cmp_le_i32_e32 vcc, s19, v8
	v_mov_b32_e32 v1, s65
	s_or_b64 s[78:79], vcc, s[78:79]
	v_add_co_u32_e32 v6, vcc, s64, v6
	v_addc_co_u32_e32 v7, vcc, v7, v1, vcc
	s_waitcnt vmcnt(0)
	global_store_dwordx2 v[10:11], v[12:13], off
	s_andn2_b64 exec, exec, s[78:79]
	s_cbranch_execz .LBB156_75
.LBB156_73:                             ;   Parent Loop BB156_4 Depth=1
                                        ; =>  This Loop Header: Depth=2
                                        ;       Child Loop BB156_74 Depth 3
	v_ashrrev_i32_e32 v9, 31, v8
	v_lshlrev_b64 v[10:11], 3, v[8:9]
	v_mov_b32_e32 v1, s55
	v_add_co_u32_e32 v10, vcc, s54, v10
	v_addc_co_u32_e32 v11, vcc, v1, v11, vcc
	global_load_dwordx2 v[12:13], v[10:11], off
	s_andn2_b64 vcc, exec, s[46:47]
	v_pk_mov_b32 v[14:15], v[6:7], v[6:7] op_sel:[0,1]
	s_mov_b32 s48, s18
	s_mov_b64 s[80:81], s[68:69]
	s_mov_b64 s[82:83], s[70:71]
	s_cbranch_vccnz .LBB156_72
.LBB156_74:                             ;   Parent Loop BB156_4 Depth=1
                                        ;     Parent Loop BB156_73 Depth=2
                                        ; =>    This Inner Loop Header: Depth=3
	global_load_dword v38, v36, s[82:83]
	global_load_dwordx2 v[40:41], v[14:15], off offset:-4
	global_load_dword v42, v36, s[80:81]
	s_add_u32 s82, s82, 4
	s_addc_u32 s83, s83, 0
	s_add_u32 s80, s80, 4
	v_mov_b32_e32 v1, s63
	s_addc_u32 s81, s81, 0
	s_add_i32 s48, s48, -1
	s_cmp_eq_u32 s48, 0
	s_waitcnt vmcnt(2)
	v_mul_f32_e32 v9, v12, v38
	v_mul_f32_e32 v37, v13, v38
	s_waitcnt vmcnt(1)
	v_pk_mul_f32 v[38:39], v[38:39], v[40:41] op_sel_hi:[0,1]
	s_waitcnt vmcnt(0)
	v_fma_f32 v40, v42, v40, -v9
	v_fma_f32 v41, v42, v41, -v37
	global_store_dwordx2 v[14:15], v[40:41], off offset:-4
	v_add_co_u32_e32 v14, vcc, s62, v14
	v_pk_fma_f32 v[12:13], v[12:13], v[42:43], v[38:39] op_sel_hi:[1,0,1]
	v_addc_co_u32_e32 v15, vcc, v15, v1, vcc
	s_cbranch_scc0 .LBB156_74
	s_branch .LBB156_72
.LBB156_75:                             ;   in Loop: Header=BB156_4 Depth=1
	s_or_b64 exec, exec, s[76:77]
	s_mov_b64 s[76:77], 0
.LBB156_76:                             ;   in Loop: Header=BB156_4 Depth=1
	s_andn2_b64 vcc, exec, s[76:77]
	s_cbranch_vccnz .LBB156_3
; %bb.77:                               ;   in Loop: Header=BB156_4 Depth=1
	v_readlane_b32 s44, v48, 4
	v_readlane_b32 s45, v48, 5
	s_andn2_b64 vcc, exec, s[44:45]
	s_mov_b64 s[76:77], -1
	s_cbranch_vccnz .LBB156_84
; %bb.78:                               ;   in Loop: Header=BB156_4 Depth=1
	s_and_saveexec_b64 s[76:77], s[2:3]
	s_cbranch_execz .LBB156_83
; %bb.79:                               ;   in Loop: Header=BB156_4 Depth=1
	s_mov_b64 s[78:79], 0
	v_mov_b32_e32 v6, v0
	s_branch .LBB156_81
.LBB156_80:                             ;   in Loop: Header=BB156_81 Depth=2
	v_add_u32_e32 v6, s4, v6
	v_cmp_le_i32_e32 vcc, s19, v6
	v_mov_b32_e32 v1, s65
	s_or_b64 s[78:79], vcc, s[78:79]
	v_add_co_u32_e32 v4, vcc, s64, v4
	v_addc_co_u32_e32 v5, vcc, v5, v1, vcc
	s_waitcnt vmcnt(0)
	global_store_dwordx2 v[8:9], v[10:11], off
	s_andn2_b64 exec, exec, s[78:79]
	s_cbranch_execz .LBB156_83
.LBB156_81:                             ;   Parent Loop BB156_4 Depth=1
                                        ; =>  This Loop Header: Depth=2
                                        ;       Child Loop BB156_82 Depth 3
	v_ashrrev_i32_e32 v7, 31, v6
	v_lshlrev_b64 v[8:9], 3, v[6:7]
	v_mov_b32_e32 v1, s55
	v_add_co_u32_e32 v8, vcc, s54, v8
	v_addc_co_u32_e32 v9, vcc, v1, v9, vcc
	global_load_dwordx2 v[10:11], v[8:9], off
	s_andn2_b64 vcc, exec, s[46:47]
	v_pk_mov_b32 v[12:13], v[4:5], v[4:5] op_sel:[0,1]
	s_mov_b64 s[80:81], s[74:75]
	s_mov_b64 s[82:83], s[72:73]
	s_mov_b32 s48, s93
	s_cbranch_vccnz .LBB156_80
.LBB156_82:                             ;   Parent Loop BB156_4 Depth=1
                                        ;     Parent Loop BB156_81 Depth=2
                                        ; =>    This Inner Loop Header: Depth=3
	global_load_dword v14, v36, s[80:81]
	global_load_dwordx2 v[38:39], v[12:13], off offset:-4
	global_load_dword v40, v36, s[82:83]
	s_add_i32 s48, s48, -1
	s_add_u32 s82, s82, -4
	s_addc_u32 s83, s83, -1
	s_add_u32 s80, s80, -4
	v_mov_b32_e32 v1, s95
	s_addc_u32 s81, s81, -1
	s_cmp_lt_u32 s48, 3
	s_waitcnt vmcnt(2)
	v_mul_f32_e32 v7, v10, v14
	v_mul_f32_e32 v37, v11, v14
	s_waitcnt vmcnt(1)
	v_pk_mul_f32 v[14:15], v[14:15], v[38:39] op_sel_hi:[0,1]
	s_waitcnt vmcnt(0)
	v_fma_f32 v38, v40, v38, -v7
	v_fma_f32 v39, v40, v39, -v37
	global_store_dwordx2 v[12:13], v[38:39], off offset:-4
	v_add_co_u32_e32 v12, vcc, s94, v12
	v_pk_fma_f32 v[10:11], v[10:11], v[40:41], v[14:15] op_sel_hi:[1,0,1]
	v_addc_co_u32_e32 v13, vcc, v13, v1, vcc
	s_cbranch_scc0 .LBB156_82
	s_branch .LBB156_80
.LBB156_83:                             ;   in Loop: Header=BB156_4 Depth=1
	s_or_b64 exec, exec, s[76:77]
	s_mov_b64 s[76:77], 0
.LBB156_84:                             ;   in Loop: Header=BB156_4 Depth=1
	s_andn2_b64 vcc, exec, s[76:77]
	s_cbranch_vccnz .LBB156_3
; %bb.85:                               ;   in Loop: Header=BB156_4 Depth=1
	v_readlane_b32 s44, v48, 6
	v_readlane_b32 s45, v48, 7
	s_andn2_b64 vcc, exec, s[44:45]
	s_mov_b64 s[76:77], -1
	s_cbranch_vccnz .LBB156_92
; %bb.86:                               ;   in Loop: Header=BB156_4 Depth=1
	s_and_saveexec_b64 s[76:77], s[2:3]
	s_cbranch_execz .LBB156_91
; %bb.87:                               ;   in Loop: Header=BB156_4 Depth=1
	s_lshl_b64 s[44:45], s[66:67], 3
	v_mov_b32_e32 v1, s52
	v_add_co_u32_e32 v4, vcc, s53, v32
	s_add_u32 s50, s54, s44
	v_addc_co_u32_e32 v5, vcc, v33, v1, vcc
	s_addc_u32 s51, s55, s45
	s_mov_b64 s[78:79], 0
	v_mov_b32_e32 v6, v0
	s_branch .LBB156_89
.LBB156_88:                             ;   in Loop: Header=BB156_89 Depth=2
	v_add_u32_e32 v6, s4, v6
	v_cmp_le_i32_e32 vcc, s19, v6
	v_mov_b32_e32 v1, s65
	s_or_b64 s[78:79], vcc, s[78:79]
	v_add_co_u32_e32 v4, vcc, s64, v4
	v_addc_co_u32_e32 v5, vcc, v5, v1, vcc
	s_waitcnt vmcnt(0)
	global_store_dwordx2 v[8:9], v[10:11], off
	s_andn2_b64 exec, exec, s[78:79]
	s_cbranch_execz .LBB156_91
.LBB156_89:                             ;   Parent Loop BB156_4 Depth=1
                                        ; =>  This Loop Header: Depth=2
                                        ;       Child Loop BB156_90 Depth 3
	v_ashrrev_i32_e32 v7, 31, v6
	v_lshlrev_b64 v[8:9], 3, v[6:7]
	v_mov_b32_e32 v1, s51
	v_add_co_u32_e32 v8, vcc, s50, v8
	v_addc_co_u32_e32 v9, vcc, v1, v9, vcc
	global_load_dwordx2 v[10:11], v[8:9], off
	s_andn2_b64 vcc, exec, s[46:47]
	v_pk_mov_b32 v[12:13], v[4:5], v[4:5] op_sel:[0,1]
	s_mov_b64 s[80:81], s[70:71]
	s_mov_b64 s[82:83], s[68:69]
	s_mov_b32 s48, s18
	s_cbranch_vccnz .LBB156_88
.LBB156_90:                             ;   Parent Loop BB156_4 Depth=1
                                        ;     Parent Loop BB156_89 Depth=2
                                        ; =>    This Inner Loop Header: Depth=3
	global_load_dwordx2 v[14:15], v[12:13], off offset:-4
	global_load_dword v38, v36, s[82:83]
	global_load_dword v40, v36, s[80:81]
	s_add_i32 s48, s48, -1
	s_add_u32 s82, s82, 4
	s_addc_u32 s83, s83, 0
	s_add_u32 s80, s80, 4
	v_mov_b32_e32 v1, s63
	s_addc_u32 s81, s81, 0
	s_cmp_eq_u32 s48, 0
	s_waitcnt vmcnt(1)
	v_mul_f32_e32 v42, v38, v14
	v_mul_f32_e32 v43, v38, v15
	s_waitcnt vmcnt(0)
	v_fmac_f32_e32 v42, v10, v40
	v_fmac_f32_e32 v43, v11, v40
	v_pk_mul_f32 v[14:15], v[40:41], v[14:15] op_sel_hi:[0,1]
	global_store_dwordx2 v[12:13], v[42:43], off offset:-4
	v_add_co_u32_e32 v12, vcc, s62, v12
	v_pk_fma_f32 v[10:11], v[10:11], v[38:39], v[14:15] op_sel_hi:[1,0,1] neg_lo:[0,0,1] neg_hi:[0,0,1]
	v_addc_co_u32_e32 v13, vcc, v13, v1, vcc
	s_cbranch_scc0 .LBB156_90
	s_branch .LBB156_88
.LBB156_91:                             ;   in Loop: Header=BB156_4 Depth=1
	s_or_b64 exec, exec, s[76:77]
	s_mov_b64 s[76:77], 0
.LBB156_92:                             ;   in Loop: Header=BB156_4 Depth=1
	s_andn2_b64 vcc, exec, s[76:77]
	s_cbranch_vccnz .LBB156_3
; %bb.93:                               ;   in Loop: Header=BB156_4 Depth=1
	s_mov_b64 s[68:69], exec
	v_readlane_b32 s44, v48, 8
	v_readlane_b32 s45, v48, 9
	s_and_b64 s[44:45], s[68:69], s[44:45]
	s_mov_b64 exec, s[44:45]
	s_cbranch_execz .LBB156_2
; %bb.94:                               ;   in Loop: Header=BB156_4 Depth=1
	s_lshl_b64 s[44:45], s[66:67], 3
	v_mov_b32_e32 v1, s52
	v_add_co_u32_e32 v4, vcc, s53, v34
	s_add_u32 s50, s54, s44
	v_addc_co_u32_e32 v5, vcc, v35, v1, vcc
	s_addc_u32 s51, s55, s45
	s_mov_b64 s[70:71], 0
	v_mov_b32_e32 v6, v0
	s_branch .LBB156_96
.LBB156_95:                             ;   in Loop: Header=BB156_96 Depth=2
	v_add_u32_e32 v6, s4, v6
	v_cmp_le_i32_e32 vcc, s19, v6
	v_mov_b32_e32 v1, s65
	s_or_b64 s[70:71], vcc, s[70:71]
	v_add_co_u32_e32 v4, vcc, s64, v4
	v_addc_co_u32_e32 v5, vcc, v5, v1, vcc
	s_waitcnt vmcnt(0)
	global_store_dwordx2 v[8:9], v[10:11], off
	s_andn2_b64 exec, exec, s[70:71]
	s_cbranch_execz .LBB156_2
.LBB156_96:                             ;   Parent Loop BB156_4 Depth=1
                                        ; =>  This Loop Header: Depth=2
                                        ;       Child Loop BB156_97 Depth 3
	v_ashrrev_i32_e32 v7, 31, v6
	v_lshlrev_b64 v[8:9], 3, v[6:7]
	v_mov_b32_e32 v1, s51
	v_add_co_u32_e32 v8, vcc, s50, v8
	v_addc_co_u32_e32 v9, vcc, v1, v9, vcc
	global_load_dwordx2 v[10:11], v[8:9], off
	s_andn2_b64 vcc, exec, s[46:47]
	v_pk_mov_b32 v[12:13], v[4:5], v[4:5] op_sel:[0,1]
	s_mov_b64 s[76:77], s[74:75]
	s_mov_b64 s[78:79], s[72:73]
	s_mov_b32 s48, s18
	s_cbranch_vccnz .LBB156_95
.LBB156_97:                             ;   Parent Loop BB156_4 Depth=1
                                        ;     Parent Loop BB156_96 Depth=2
                                        ; =>    This Inner Loop Header: Depth=3
	global_load_dwordx2 v[14:15], v[12:13], off offset:-4
	global_load_dword v38, v36, s[78:79]
	global_load_dword v40, v36, s[76:77]
	s_add_i32 s48, s48, -1
	s_add_u32 s78, s78, -4
	s_addc_u32 s79, s79, -1
	s_add_u32 s76, s76, -4
	v_mov_b32_e32 v1, s95
	s_addc_u32 s77, s77, -1
	s_cmp_eq_u32 s48, 0
	s_waitcnt vmcnt(1)
	v_mul_f32_e32 v42, v38, v14
	v_mul_f32_e32 v43, v38, v15
	s_waitcnt vmcnt(0)
	v_fmac_f32_e32 v42, v10, v40
	v_fmac_f32_e32 v43, v11, v40
	v_pk_mul_f32 v[14:15], v[40:41], v[14:15] op_sel_hi:[0,1]
	global_store_dwordx2 v[12:13], v[42:43], off offset:-4
	v_add_co_u32_e32 v12, vcc, s94, v12
	v_pk_fma_f32 v[10:11], v[10:11], v[38:39], v[14:15] op_sel_hi:[1,0,1] neg_lo:[0,0,1] neg_hi:[0,0,1]
	v_addc_co_u32_e32 v13, vcc, v13, v1, vcc
	s_cbranch_scc0 .LBB156_97
	s_branch .LBB156_95
.LBB156_98:
	s_endpgm
	.section	.rodata,"a",@progbits
	.p2align	6, 0x0
	.amdhsa_kernel _ZN9rocsolver6v33100L11lasr_kernelI19rocblas_complex_numIfEfPS3_iEEv13rocblas_side_14rocblas_pivot_15rocblas_direct_T2_S8_PT0_lSA_lT1_lS8_lS8_
		.amdhsa_group_segment_fixed_size 0
		.amdhsa_private_segment_fixed_size 0
		.amdhsa_kernarg_size 352
		.amdhsa_user_sgpr_count 6
		.amdhsa_user_sgpr_private_segment_buffer 1
		.amdhsa_user_sgpr_dispatch_ptr 0
		.amdhsa_user_sgpr_queue_ptr 0
		.amdhsa_user_sgpr_kernarg_segment_ptr 1
		.amdhsa_user_sgpr_dispatch_id 0
		.amdhsa_user_sgpr_flat_scratch_init 0
		.amdhsa_user_sgpr_kernarg_preload_length 0
		.amdhsa_user_sgpr_kernarg_preload_offset 0
		.amdhsa_user_sgpr_private_segment_size 0
		.amdhsa_uses_dynamic_stack 0
		.amdhsa_system_sgpr_private_segment_wavefront_offset 0
		.amdhsa_system_sgpr_workgroup_id_x 1
		.amdhsa_system_sgpr_workgroup_id_y 0
		.amdhsa_system_sgpr_workgroup_id_z 1
		.amdhsa_system_sgpr_workgroup_info 0
		.amdhsa_system_vgpr_workitem_id 0
		.amdhsa_next_free_vgpr 49
		.amdhsa_next_free_sgpr 96
		.amdhsa_accum_offset 52
		.amdhsa_reserve_vcc 1
		.amdhsa_reserve_flat_scratch 0
		.amdhsa_float_round_mode_32 0
		.amdhsa_float_round_mode_16_64 0
		.amdhsa_float_denorm_mode_32 3
		.amdhsa_float_denorm_mode_16_64 3
		.amdhsa_dx10_clamp 1
		.amdhsa_ieee_mode 1
		.amdhsa_fp16_overflow 0
		.amdhsa_tg_split 0
		.amdhsa_exception_fp_ieee_invalid_op 0
		.amdhsa_exception_fp_denorm_src 0
		.amdhsa_exception_fp_ieee_div_zero 0
		.amdhsa_exception_fp_ieee_overflow 0
		.amdhsa_exception_fp_ieee_underflow 0
		.amdhsa_exception_fp_ieee_inexact 0
		.amdhsa_exception_int_div_zero 0
	.end_amdhsa_kernel
	.section	.text._ZN9rocsolver6v33100L11lasr_kernelI19rocblas_complex_numIfEfPS3_iEEv13rocblas_side_14rocblas_pivot_15rocblas_direct_T2_S8_PT0_lSA_lT1_lS8_lS8_,"axG",@progbits,_ZN9rocsolver6v33100L11lasr_kernelI19rocblas_complex_numIfEfPS3_iEEv13rocblas_side_14rocblas_pivot_15rocblas_direct_T2_S8_PT0_lSA_lT1_lS8_lS8_,comdat
.Lfunc_end156:
	.size	_ZN9rocsolver6v33100L11lasr_kernelI19rocblas_complex_numIfEfPS3_iEEv13rocblas_side_14rocblas_pivot_15rocblas_direct_T2_S8_PT0_lSA_lT1_lS8_lS8_, .Lfunc_end156-_ZN9rocsolver6v33100L11lasr_kernelI19rocblas_complex_numIfEfPS3_iEEv13rocblas_side_14rocblas_pivot_15rocblas_direct_T2_S8_PT0_lSA_lT1_lS8_lS8_
                                        ; -- End function
	.section	.AMDGPU.csdata,"",@progbits
; Kernel info:
; codeLenInByte = 4668
; NumSgprs: 100
; NumVgprs: 49
; NumAgprs: 0
; TotalNumVgprs: 49
; ScratchSize: 0
; MemoryBound: 0
; FloatMode: 240
; IeeeMode: 1
; LDSByteSize: 0 bytes/workgroup (compile time only)
; SGPRBlocks: 12
; VGPRBlocks: 6
; NumSGPRsForWavesPerEU: 100
; NumVGPRsForWavesPerEU: 49
; AccumOffset: 52
; Occupancy: 8
; WaveLimiterHint : 0
; COMPUTE_PGM_RSRC2:SCRATCH_EN: 0
; COMPUTE_PGM_RSRC2:USER_SGPR: 6
; COMPUTE_PGM_RSRC2:TRAP_HANDLER: 0
; COMPUTE_PGM_RSRC2:TGID_X_EN: 1
; COMPUTE_PGM_RSRC2:TGID_Y_EN: 0
; COMPUTE_PGM_RSRC2:TGID_Z_EN: 1
; COMPUTE_PGM_RSRC2:TIDIG_COMP_CNT: 0
; COMPUTE_PGM_RSRC3_GFX90A:ACCUM_OFFSET: 12
; COMPUTE_PGM_RSRC3_GFX90A:TG_SPLIT: 0
	.section	.text._ZN9rocsolver6v33100L11scal_kernelIf19rocblas_complex_numIfEiEEvT1_T_PT0_S4_,"axG",@progbits,_ZN9rocsolver6v33100L11scal_kernelIf19rocblas_complex_numIfEiEEvT1_T_PT0_S4_,comdat
	.globl	_ZN9rocsolver6v33100L11scal_kernelIf19rocblas_complex_numIfEiEEvT1_T_PT0_S4_ ; -- Begin function _ZN9rocsolver6v33100L11scal_kernelIf19rocblas_complex_numIfEiEEvT1_T_PT0_S4_
	.p2align	8
	.type	_ZN9rocsolver6v33100L11scal_kernelIf19rocblas_complex_numIfEiEEvT1_T_PT0_S4_,@function
_ZN9rocsolver6v33100L11scal_kernelIf19rocblas_complex_numIfEiEEvT1_T_PT0_S4_: ; @_ZN9rocsolver6v33100L11scal_kernelIf19rocblas_complex_numIfEiEEvT1_T_PT0_S4_
; %bb.0:
	s_load_dwordx2 s[2:3], s[4:5], 0x0
	s_waitcnt lgkmcnt(0)
	s_cmp_lt_i32 s2, 1
	s_cbranch_scc1 .LBB157_10
; %bb.1:
	s_load_dword s0, s[4:5], 0x24
	s_load_dword s1, s[4:5], 0x18
	s_load_dwordx2 s[8:9], s[4:5], 0x8
	s_load_dword s12, s[4:5], 0x10
	s_waitcnt lgkmcnt(0)
	s_and_b32 s0, s0, 0xffff
	s_mul_i32 s6, s6, s0
	v_add_u32_e32 v0, s6, v0
	s_mul_i32 s4, s1, s0
	s_cmp_eq_u32 s12, 1
	v_cmp_gt_i32_e64 s[0:1], s2, v0
	s_mov_b64 s[6:7], -1
	s_cbranch_scc1 .LBB157_6
; %bb.2:
	s_and_saveexec_b64 s[6:7], s[0:1]
	s_cbranch_execz .LBB157_5
; %bb.3:
	v_mad_i64_i32 v[2:3], s[14:15], s12, v0, 0
	v_lshlrev_b64 v[2:3], 3, v[2:3]
	s_mul_hi_i32 s13, s12, s4
	s_mul_i32 s12, s12, s4
	v_mov_b32_e32 v1, s9
	v_add_co_u32_e32 v2, vcc, s8, v2
	s_lshl_b64 s[12:13], s[12:13], 3
	s_mov_b32 s10, s3
	s_mov_b32 s11, s3
	v_addc_co_u32_e32 v3, vcc, v1, v3, vcc
	s_mov_b64 s[14:15], 0
	v_mov_b32_e32 v1, s13
	v_mov_b32_e32 v4, v0
.LBB157_4:                              ; =>This Inner Loop Header: Depth=1
	global_load_dwordx2 v[6:7], v[2:3], off
	v_add_u32_e32 v4, s4, v4
	v_cmp_le_i32_e32 vcc, s2, v4
	s_or_b64 s[14:15], vcc, s[14:15]
	s_waitcnt vmcnt(0)
	v_pk_mul_f32 v[6:7], v[6:7], s[10:11]
	global_store_dwordx2 v[2:3], v[6:7], off
	v_add_co_u32_e32 v2, vcc, s12, v2
	v_addc_co_u32_e32 v3, vcc, v3, v1, vcc
	s_andn2_b64 exec, exec, s[14:15]
	s_cbranch_execnz .LBB157_4
.LBB157_5:
	s_or_b64 exec, exec, s[6:7]
	s_mov_b64 s[6:7], 0
.LBB157_6:
	s_andn2_b64 vcc, exec, s[6:7]
	s_cbranch_vccnz .LBB157_10
; %bb.7:
	s_and_saveexec_b64 s[6:7], s[0:1]
	s_cbranch_execz .LBB157_10
; %bb.8:
	v_ashrrev_i32_e32 v1, 31, v0
	v_lshlrev_b64 v[2:3], 3, v[0:1]
	s_ashr_i32 s5, s4, 31
	v_mov_b32_e32 v1, s9
	v_add_co_u32_e32 v2, vcc, s8, v2
	s_lshl_b64 s[6:7], s[4:5], 3
	s_mov_b32 s0, s3
	s_mov_b32 s1, s3
	v_addc_co_u32_e32 v3, vcc, v1, v3, vcc
	s_mov_b64 s[8:9], 0
	v_mov_b32_e32 v1, s7
.LBB157_9:                              ; =>This Inner Loop Header: Depth=1
	global_load_dwordx2 v[4:5], v[2:3], off
	v_add_u32_e32 v0, s4, v0
	v_cmp_le_i32_e32 vcc, s2, v0
	s_or_b64 s[8:9], vcc, s[8:9]
	s_waitcnt vmcnt(0)
	v_pk_mul_f32 v[4:5], v[4:5], s[0:1]
	global_store_dwordx2 v[2:3], v[4:5], off
	v_add_co_u32_e32 v2, vcc, s6, v2
	v_addc_co_u32_e32 v3, vcc, v3, v1, vcc
	s_andn2_b64 exec, exec, s[8:9]
	s_cbranch_execnz .LBB157_9
.LBB157_10:
	s_endpgm
	.section	.rodata,"a",@progbits
	.p2align	6, 0x0
	.amdhsa_kernel _ZN9rocsolver6v33100L11scal_kernelIf19rocblas_complex_numIfEiEEvT1_T_PT0_S4_
		.amdhsa_group_segment_fixed_size 0
		.amdhsa_private_segment_fixed_size 0
		.amdhsa_kernarg_size 280
		.amdhsa_user_sgpr_count 6
		.amdhsa_user_sgpr_private_segment_buffer 1
		.amdhsa_user_sgpr_dispatch_ptr 0
		.amdhsa_user_sgpr_queue_ptr 0
		.amdhsa_user_sgpr_kernarg_segment_ptr 1
		.amdhsa_user_sgpr_dispatch_id 0
		.amdhsa_user_sgpr_flat_scratch_init 0
		.amdhsa_user_sgpr_kernarg_preload_length 0
		.amdhsa_user_sgpr_kernarg_preload_offset 0
		.amdhsa_user_sgpr_private_segment_size 0
		.amdhsa_uses_dynamic_stack 0
		.amdhsa_system_sgpr_private_segment_wavefront_offset 0
		.amdhsa_system_sgpr_workgroup_id_x 1
		.amdhsa_system_sgpr_workgroup_id_y 0
		.amdhsa_system_sgpr_workgroup_id_z 0
		.amdhsa_system_sgpr_workgroup_info 0
		.amdhsa_system_vgpr_workitem_id 0
		.amdhsa_next_free_vgpr 8
		.amdhsa_next_free_sgpr 16
		.amdhsa_accum_offset 8
		.amdhsa_reserve_vcc 1
		.amdhsa_reserve_flat_scratch 0
		.amdhsa_float_round_mode_32 0
		.amdhsa_float_round_mode_16_64 0
		.amdhsa_float_denorm_mode_32 3
		.amdhsa_float_denorm_mode_16_64 3
		.amdhsa_dx10_clamp 1
		.amdhsa_ieee_mode 1
		.amdhsa_fp16_overflow 0
		.amdhsa_tg_split 0
		.amdhsa_exception_fp_ieee_invalid_op 0
		.amdhsa_exception_fp_denorm_src 0
		.amdhsa_exception_fp_ieee_div_zero 0
		.amdhsa_exception_fp_ieee_overflow 0
		.amdhsa_exception_fp_ieee_underflow 0
		.amdhsa_exception_fp_ieee_inexact 0
		.amdhsa_exception_int_div_zero 0
	.end_amdhsa_kernel
	.section	.text._ZN9rocsolver6v33100L11scal_kernelIf19rocblas_complex_numIfEiEEvT1_T_PT0_S4_,"axG",@progbits,_ZN9rocsolver6v33100L11scal_kernelIf19rocblas_complex_numIfEiEEvT1_T_PT0_S4_,comdat
.Lfunc_end157:
	.size	_ZN9rocsolver6v33100L11scal_kernelIf19rocblas_complex_numIfEiEEvT1_T_PT0_S4_, .Lfunc_end157-_ZN9rocsolver6v33100L11scal_kernelIf19rocblas_complex_numIfEiEEvT1_T_PT0_S4_
                                        ; -- End function
	.section	.AMDGPU.csdata,"",@progbits
; Kernel info:
; codeLenInByte = 352
; NumSgprs: 20
; NumVgprs: 8
; NumAgprs: 0
; TotalNumVgprs: 8
; ScratchSize: 0
; MemoryBound: 0
; FloatMode: 240
; IeeeMode: 1
; LDSByteSize: 0 bytes/workgroup (compile time only)
; SGPRBlocks: 2
; VGPRBlocks: 0
; NumSGPRsForWavesPerEU: 20
; NumVGPRsForWavesPerEU: 8
; AccumOffset: 8
; Occupancy: 8
; WaveLimiterHint : 0
; COMPUTE_PGM_RSRC2:SCRATCH_EN: 0
; COMPUTE_PGM_RSRC2:USER_SGPR: 6
; COMPUTE_PGM_RSRC2:TRAP_HANDLER: 0
; COMPUTE_PGM_RSRC2:TGID_X_EN: 1
; COMPUTE_PGM_RSRC2:TGID_Y_EN: 0
; COMPUTE_PGM_RSRC2:TGID_Z_EN: 0
; COMPUTE_PGM_RSRC2:TIDIG_COMP_CNT: 0
; COMPUTE_PGM_RSRC3_GFX90A:ACCUM_OFFSET: 1
; COMPUTE_PGM_RSRC3_GFX90A:TG_SPLIT: 0
	.section	.text._ZN9rocsolver6v33100L17bdsqr_lower2upperI19rocblas_complex_numIfEfPS3_PKS4_EEviiiPT0_lS8_lT1_iilT2_iilPiS8_lSB_,"axG",@progbits,_ZN9rocsolver6v33100L17bdsqr_lower2upperI19rocblas_complex_numIfEfPS3_PKS4_EEviiiPT0_lS8_lT1_iilT2_iilPiS8_lSB_,comdat
	.globl	_ZN9rocsolver6v33100L17bdsqr_lower2upperI19rocblas_complex_numIfEfPS3_PKS4_EEviiiPT0_lS8_lT1_iilT2_iilPiS8_lSB_ ; -- Begin function _ZN9rocsolver6v33100L17bdsqr_lower2upperI19rocblas_complex_numIfEfPS3_PKS4_EEviiiPT0_lS8_lT1_iilT2_iilPiS8_lSB_
	.p2align	8
	.type	_ZN9rocsolver6v33100L17bdsqr_lower2upperI19rocblas_complex_numIfEfPS3_PKS4_EEviiiPT0_lS8_lT1_iilT2_iilPiS8_lSB_,@function
_ZN9rocsolver6v33100L17bdsqr_lower2upperI19rocblas_complex_numIfEfPS3_PKS4_EEviiiPT0_lS8_lT1_iilT2_iilPiS8_lSB_: ; @_ZN9rocsolver6v33100L17bdsqr_lower2upperI19rocblas_complex_numIfEfPS3_PKS4_EEviiiPT0_lS8_lT1_iilT2_iilPiS8_lSB_
; %bb.0:
	s_load_dwordx2 s[0:1], s[4:5], 0x78
	s_mov_b32 s28, s7
	s_ashr_i32 s29, s7, 31
	s_lshl_b64 s[2:3], s[28:29], 2
	s_waitcnt lgkmcnt(0)
	s_add_u32 s0, s0, s2
	s_addc_u32 s1, s1, s3
	s_load_dword s0, s[0:1], 0x8
	s_waitcnt lgkmcnt(0)
	s_cmp_lg_u32 s0, 0
	s_cbranch_scc1 .LBB158_34
; %bb.1:
	s_load_dwordx8 s[8:15], s[4:5], 0x30
	s_load_dwordx4 s[0:3], s[4:5], 0x68
	s_mov_b64 s[6:7], 0
	s_mov_b64 s[24:25], 0
	s_waitcnt lgkmcnt(0)
	s_cmp_eq_u64 s[8:9], 0
	s_cbranch_scc1 .LBB158_3
; %bb.2:
	s_ashr_i32 s17, s10, 31
	s_mov_b32 s16, s10
	s_mul_i32 s10, s28, s13
	s_mul_hi_u32 s13, s28, s12
	s_add_i32 s10, s13, s10
	s_mul_i32 s13, s29, s12
	s_add_i32 s13, s10, s13
	s_mul_i32 s12, s28, s12
	s_lshl_b64 s[12:13], s[12:13], 3
	s_add_u32 s10, s8, s12
	s_addc_u32 s12, s9, s13
	s_lshl_b64 s[8:9], s[16:17], 3
	s_add_u32 s24, s10, s8
	s_addc_u32 s25, s12, s9
.LBB158_3:
	s_load_dwordx2 s[8:9], s[4:5], 0x50
	s_cmp_eq_u64 s[14:15], 0
	s_cbranch_scc1 .LBB158_5
; %bb.4:
	s_lshl_b64 s[6:7], s[28:29], 3
	s_add_u32 s6, s14, s6
	s_addc_u32 s7, s15, s7
	s_load_dwordx2 s[6:7], s[6:7], 0x0
	s_waitcnt lgkmcnt(0)
	s_ashr_i32 s13, s8, 31
	s_mov_b32 s12, s8
	s_lshl_b64 s[12:13], s[12:13], 3
	s_add_u32 s6, s6, s12
	s_addc_u32 s7, s7, s13
.LBB158_5:
	s_mul_i32 s3, s28, s3
	s_waitcnt lgkmcnt(0)
	s_mul_hi_u32 s8, s28, s2
	s_load_dwordx4 s[20:23], s[4:5], 0x0
	s_add_i32 s3, s8, s3
	s_mul_i32 s8, s29, s2
	s_add_i32 s3, s3, s8
	s_mul_i32 s2, s28, s2
	s_lshl_b64 s[2:3], s[2:3], 2
	s_add_u32 s8, s0, s2
	s_waitcnt lgkmcnt(0)
	s_addc_u32 s23, s1, s3
	v_cmp_eq_u32_e32 vcc, 0, v0
	s_and_saveexec_b64 s[2:3], vcc
	s_cbranch_execz .LBB158_22
; %bb.6:
	s_load_dwordx8 s[12:19], s[4:5], 0x10
	s_waitcnt lgkmcnt(0)
	s_mul_i32 s0, s28, s15
	s_mul_hi_u32 s1, s28, s14
	s_mul_i32 s10, s29, s14
	s_add_i32 s0, s1, s0
	s_add_i32 s1, s0, s10
	s_mul_i32 s0, s28, s14
	s_lshl_b64 s[0:1], s[0:1], 2
	s_add_u32 s14, s12, s0
	s_addc_u32 s15, s13, s1
	s_load_dword s10, s[14:15], 0x0
	s_add_i32 s26, s20, -1
	s_cmp_lt_i32 s20, 2
	s_waitcnt lgkmcnt(0)
	v_mov_b32_e32 v3, s10
	s_cbranch_scc1 .LBB158_21
; %bb.7:
	s_mul_i32 s19, s28, s19
	s_mul_hi_u32 s27, s28, s18
	s_add_i32 s19, s27, s19
	s_mul_i32 s27, s29, s18
	s_add_i32 s19, s19, s27
	s_mul_i32 s18, s28, s18
	s_lshl_b64 s[18:19], s[18:19], 2
	s_add_u32 s30, s18, s16
	s_addc_u32 s31, s19, s17
	s_or_b32 s18, s22, s21
	s_cmp_lg_u32 s18, 0
	s_cselect_b64 s[18:19], -1, 0
	s_add_u32 s28, s8, 16
	s_addc_u32 s29, s23, 0
	s_load_dword s16, s[30:31], 0x0
	s_add_u32 s0, s0, s12
	s_addc_u32 s1, s1, s13
	s_add_u32 s12, s0, 4
	s_addc_u32 s13, s1, 0
	s_add_u32 s30, s30, 4
	s_mov_b32 s17, 0
	s_addc_u32 s31, s31, 0
	v_mov_b32_e32 v3, s10
	s_waitcnt lgkmcnt(0)
	v_mov_b32_e32 v4, s16
	s_mov_b32 s10, 0xf800000
	v_mov_b32_e32 v1, 0x260
	v_mov_b32_e32 v2, 0
	s_mov_b64 s[34:35], s[28:29]
	s_mov_b32 s27, 0
	s_branch .LBB158_9
.LBB158_8:                              ;   in Loop: Header=BB158_9 Depth=1
	s_add_i32 s27, s27, 1
	s_add_u32 s34, s34, 4
	s_addc_u32 s35, s35, 0
	s_add_u32 s12, s12, 4
	s_addc_u32 s13, s13, 0
	;; [unrolled: 2-line block ×3, first 2 shown]
	s_cmp_lg_u32 s26, s27
	s_waitcnt vmcnt(0)
	v_mul_f32_e32 v3, v5, v3
	s_cbranch_scc0 .LBB158_21
.LBB158_9:                              ; =>This Inner Loop Header: Depth=1
	v_cmp_eq_f32_e32 vcc, 0, v4
	s_cbranch_vccnz .LBB158_13
; %bb.10:                               ;   in Loop: Header=BB158_9 Depth=1
	v_cmp_neq_f32_e32 vcc, 0, v3
	s_cbranch_vccz .LBB158_14
; %bb.11:                               ;   in Loop: Header=BB158_9 Depth=1
	v_cmp_ngt_f32_e64 s[0:1], |v4|, |v3|
	s_and_b64 vcc, exec, s[0:1]
	s_cbranch_vccz .LBB158_15
; %bb.12:                               ;   in Loop: Header=BB158_9 Depth=1
	v_div_scale_f32 v5, s[0:1], v3, v3, -v4
	v_rcp_f32_e32 v6, v5
	v_div_scale_f32 v7, vcc, -v4, v3, -v4
	v_fma_f32 v8, -v5, v6, 1.0
	v_fmac_f32_e32 v6, v8, v6
	v_mul_f32_e32 v8, v7, v6
	v_fma_f32 v9, -v5, v8, v7
	v_fmac_f32_e32 v8, v9, v6
	v_fma_f32 v5, -v5, v8, v7
	v_div_fmas_f32 v5, v5, v6, v8
	v_div_fixup_f32 v6, v5, v3, -v4
	v_fma_f32 v5, v6, v6, 1.0
	v_mul_f32_e32 v7, 0x4f800000, v5
	v_cmp_gt_f32_e32 vcc, s10, v5
	v_cndmask_b32_e32 v5, v5, v7, vcc
	v_sqrt_f32_e32 v7, v5
	v_add_u32_e32 v8, -1, v7
	v_fma_f32 v9, -v8, v7, v5
	v_cmp_ge_f32_e64 s[0:1], 0, v9
	v_add_u32_e32 v9, 1, v7
	v_cndmask_b32_e64 v8, v7, v8, s[0:1]
	v_fma_f32 v7, -v9, v7, v5
	v_cmp_lt_f32_e64 s[0:1], 0, v7
	v_cndmask_b32_e64 v7, v8, v9, s[0:1]
	v_mul_f32_e32 v8, 0x37800000, v7
	v_cndmask_b32_e32 v7, v7, v8, vcc
	v_cmp_class_f32_e32 vcc, v5, v1
	v_cndmask_b32_e32 v5, v7, v5, vcc
	v_div_scale_f32 v7, s[0:1], v5, v5, 1.0
	v_rcp_f32_e32 v8, v7
	v_fma_f32 v9, -v7, v8, 1.0
	v_fmac_f32_e32 v8, v9, v8
	v_div_scale_f32 v9, vcc, 1.0, v5, 1.0
	v_mul_f32_e32 v10, v9, v8
	v_fma_f32 v11, -v7, v10, v9
	v_fmac_f32_e32 v10, v11, v8
	v_fma_f32 v7, -v7, v10, v9
	v_div_fmas_f32 v7, v7, v8, v10
	v_div_fixup_f32 v5, v7, v5, 1.0
	v_mul_f32_e32 v6, v6, v5
	s_cbranch_execz .LBB158_16
	s_branch .LBB158_17
.LBB158_13:                             ;   in Loop: Header=BB158_9 Depth=1
	v_mov_b32_e32 v6, 0
	v_mov_b32_e32 v5, 1.0
	s_branch .LBB158_19
.LBB158_14:                             ;   in Loop: Header=BB158_9 Depth=1
                                        ; implicit-def: $vgpr3
                                        ; implicit-def: $vgpr5
                                        ; implicit-def: $vgpr6
	s_cbranch_execnz .LBB158_18
	s_branch .LBB158_19
.LBB158_15:                             ;   in Loop: Header=BB158_9 Depth=1
                                        ; implicit-def: $vgpr5
                                        ; implicit-def: $vgpr6
.LBB158_16:                             ;   in Loop: Header=BB158_9 Depth=1
	v_div_scale_f32 v5, s[0:1], v4, v4, -v3
	v_rcp_f32_e32 v6, v5
	v_div_scale_f32 v7, vcc, -v3, v4, -v3
	v_fma_f32 v8, -v5, v6, 1.0
	v_fmac_f32_e32 v6, v8, v6
	v_mul_f32_e32 v8, v7, v6
	v_fma_f32 v9, -v5, v8, v7
	v_fmac_f32_e32 v8, v9, v6
	v_fma_f32 v5, -v5, v8, v7
	v_div_fmas_f32 v5, v5, v6, v8
	v_div_fixup_f32 v5, v5, v4, -v3
	v_fma_f32 v6, v5, v5, 1.0
	v_mul_f32_e32 v7, 0x4f800000, v6
	v_cmp_gt_f32_e32 vcc, s10, v6
	v_cndmask_b32_e32 v6, v6, v7, vcc
	v_sqrt_f32_e32 v7, v6
	v_add_u32_e32 v8, -1, v7
	v_fma_f32 v9, -v8, v7, v6
	v_cmp_ge_f32_e64 s[0:1], 0, v9
	v_add_u32_e32 v9, 1, v7
	v_cndmask_b32_e64 v8, v7, v8, s[0:1]
	v_fma_f32 v7, -v9, v7, v6
	v_cmp_lt_f32_e64 s[0:1], 0, v7
	v_cndmask_b32_e64 v7, v8, v9, s[0:1]
	v_mul_f32_e32 v8, 0x37800000, v7
	v_cndmask_b32_e32 v7, v7, v8, vcc
	v_cmp_class_f32_e32 vcc, v6, v1
	v_cndmask_b32_e32 v6, v7, v6, vcc
	v_div_scale_f32 v7, s[0:1], v6, v6, 1.0
	v_rcp_f32_e32 v8, v7
	v_fma_f32 v9, -v7, v8, 1.0
	v_fmac_f32_e32 v8, v9, v8
	v_div_scale_f32 v9, vcc, 1.0, v6, 1.0
	v_mul_f32_e32 v10, v9, v8
	v_fma_f32 v11, -v7, v10, v9
	v_fmac_f32_e32 v10, v11, v8
	v_fma_f32 v7, -v7, v10, v9
	v_div_fmas_f32 v7, v7, v8, v10
	v_div_fixup_f32 v6, v7, v6, 1.0
	v_mul_f32_e32 v5, v5, v6
.LBB158_17:                             ;   in Loop: Header=BB158_9 Depth=1
	v_mul_f32_e32 v7, v4, v6
	v_fma_f32 v3, v3, v5, -v7
	s_branch .LBB158_19
.LBB158_18:                             ;   in Loop: Header=BB158_9 Depth=1
	v_xor_b32_e32 v3, 0x80000000, v4
	v_mov_b32_e32 v5, 0
	v_mov_b32_e32 v6, 1.0
.LBB158_19:                             ;   in Loop: Header=BB158_9 Depth=1
	global_load_dword v7, v2, s[12:13]
	s_andn2_b64 vcc, exec, s[18:19]
	global_store_dword v2, v3, s[12:13] offset:-4
	global_load_dword v4, v2, s[30:31]
	s_waitcnt vmcnt(2)
	v_mul_f32_e64 v3, v7, -v6
	global_store_dword v2, v3, s[30:31] offset:-4
	global_load_dword v3, v2, s[12:13]
	s_cbranch_vccnz .LBB158_8
; %bb.20:                               ;   in Loop: Header=BB158_9 Depth=1
	s_add_i32 s16, s20, s27
	s_lshl_b64 s[0:1], s[16:17], 2
	s_add_u32 s0, s28, s0
	s_addc_u32 s1, s29, s1
	global_store_dword v2, v5, s[34:35]
	global_store_dword v2, v6, s[0:1]
	s_branch .LBB158_8
.LBB158_21:
	s_ashr_i32 s27, s26, 31
	s_lshl_b64 s[0:1], s[26:27], 2
	s_add_u32 s0, s14, s0
	s_addc_u32 s1, s15, s1
	v_mov_b32_e32 v1, 0
	global_store_dword v1, v3, s[0:1]
.LBB158_22:
	s_or_b64 exec, exec, s[2:3]
	v_cmp_gt_i32_e32 vcc, s21, v0
	s_barrier
	s_and_saveexec_b64 s[2:3], vcc
	s_cbranch_execz .LBB158_28
; %bb.23:
	s_load_dword s10, s[4:5], 0x8c
	s_add_i32 s28, s20, -1
	s_cmp_gt_i32 s20, 1
	s_cselect_b64 s[0:1], -1, 0
	s_mul_i32 s18, s28, s11
	s_waitcnt lgkmcnt(0)
	s_and_b32 s29, s10, 0xffff
	s_add_u32 s12, s8, 16
	s_addc_u32 s13, s23, 0
	s_ashr_i32 s19, s18, 31
	s_ashr_i32 s15, s11, 31
	s_mov_b32 s14, s11
	s_lshl_b64 s[10:11], s[14:15], 3
	s_mov_b32 s15, 0
	s_mov_b32 s14, s20
	v_cndmask_b32_e64 v2, 0, 1, s[0:1]
	s_lshl_b64 s[18:19], s[18:19], 3
	s_lshl_b64 s[14:15], s[14:15], 2
	s_mov_b64 s[16:17], 0
	v_mov_b32_e32 v1, s25
	v_cmp_ne_u32_e64 s[0:1], 1, v2
	v_mov_b32_e32 v10, 0
	v_mov_b32_e32 v11, s19
	;; [unrolled: 1-line block ×3, first 2 shown]
	s_branch .LBB158_25
.LBB158_24:                             ;   in Loop: Header=BB158_25 Depth=1
	v_add_co_u32_e32 v6, vcc, s18, v6
	v_addc_co_u32_e32 v7, vcc, v7, v11, vcc
	v_add_u32_e32 v2, s29, v2
	v_cmp_le_i32_e32 vcc, s21, v2
	s_or_b64 s[16:17], vcc, s[16:17]
	s_waitcnt vmcnt(0) lgkmcnt(0)
	flat_store_dwordx2 v[6:7], v[4:5]
	s_andn2_b64 exec, exec, s[16:17]
	s_cbranch_execz .LBB158_28
.LBB158_25:                             ; =>This Loop Header: Depth=1
                                        ;     Child Loop BB158_27 Depth 2
	v_ashrrev_i32_e32 v3, 31, v2
	v_lshlrev_b64 v[4:5], 3, v[2:3]
	v_add_co_u32_e32 v6, vcc, s24, v4
	v_addc_co_u32_e32 v7, vcc, v1, v5, vcc
	flat_load_dwordx2 v[4:5], v[6:7]
	s_and_b64 vcc, exec, s[0:1]
	s_cbranch_vccnz .LBB158_24
; %bb.26:                               ;   in Loop: Header=BB158_25 Depth=1
	s_mov_b32 s19, s28
	s_mov_b64 s[26:27], s[12:13]
	v_pk_mov_b32 v[8:9], v[6:7], v[6:7] op_sel:[0,1]
.LBB158_27:                             ;   Parent Loop BB158_25 Depth=1
                                        ; =>  This Inner Loop Header: Depth=2
	s_add_u32 s30, s26, s14
	v_mov_b32_e32 v3, s11
	v_add_co_u32_e32 v12, vcc, s10, v8
	s_addc_u32 s31, s27, s15
	v_addc_co_u32_e32 v13, vcc, v9, v3, vcc
	global_load_dword v14, v10, s[30:31]
	flat_load_dwordx2 v[16:17], v[12:13]
	global_load_dword v18, v10, s[26:27]
	s_add_u32 s26, s26, 4
	s_addc_u32 s27, s27, 0
	s_add_i32 s19, s19, -1
	s_cmp_lg_u32 s19, 0
	s_waitcnt vmcnt(0) lgkmcnt(0)
	v_mul_f32_e32 v3, v16, v14
	v_mul_f32_e32 v19, v17, v14
	v_pk_mul_f32 v[14:15], v[4:5], v[14:15] op_sel_hi:[1,0]
	v_fma_f32 v20, v4, v18, -v3
	v_fma_f32 v21, v5, v18, -v19
	v_pk_fma_f32 v[4:5], v[16:17], v[18:19], v[14:15] op_sel_hi:[1,0,1]
	flat_store_dwordx2 v[8:9], v[20:21]
	v_pk_mov_b32 v[8:9], v[12:13], v[12:13] op_sel:[0,1]
	s_cbranch_scc1 .LBB158_27
	s_branch .LBB158_24
.LBB158_28:
	s_or_b64 exec, exec, s[2:3]
	v_cmp_gt_i32_e32 vcc, s22, v0
	s_and_saveexec_b64 s[0:1], vcc
	s_cbranch_execz .LBB158_34
; %bb.29:
	s_load_dword s3, s[4:5], 0x8c
	s_add_i32 s2, s20, -1
	s_cmp_gt_i32 s20, 1
	s_cselect_b64 s[0:1], -1, 0
	s_mov_b32 s21, 0
	s_waitcnt lgkmcnt(0)
	s_and_b32 s18, s3, 0xffff
	s_add_u32 s4, s8, 16
	s_addc_u32 s5, s23, 0
	s_ashr_i32 s3, s2, 31
	v_cndmask_b32_e64 v3, 0, 1, s[0:1]
	s_lshl_b64 s[14:15], s[2:3], 3
	v_mul_lo_u32 v2, v0, s9
	s_mul_i32 s8, s9, s18
	s_lshl_b64 s[10:11], s[20:21], 2
	s_mov_b64 s[12:13], 0
	v_mov_b32_e32 v1, s7
	v_cmp_ne_u32_e64 s[0:1], 1, v3
	v_mov_b32_e32 v10, 0
	v_mov_b32_e32 v11, s15
	s_branch .LBB158_31
.LBB158_30:                             ;   in Loop: Header=BB158_31 Depth=1
	v_add_co_u32_e32 v4, vcc, s14, v4
	v_addc_co_u32_e32 v5, vcc, v5, v11, vcc
	v_add_u32_e32 v0, s18, v0
	v_cmp_le_i32_e32 vcc, s22, v0
	s_or_b64 s[12:13], vcc, s[12:13]
	v_add_u32_e32 v2, s8, v2
	s_waitcnt vmcnt(0) lgkmcnt(0)
	flat_store_dwordx2 v[4:5], v[6:7]
	s_andn2_b64 exec, exec, s[12:13]
	s_cbranch_execz .LBB158_34
.LBB158_31:                             ; =>This Loop Header: Depth=1
                                        ;     Child Loop BB158_33 Depth 2
	v_mul_lo_u32 v4, v0, s9
	v_ashrrev_i32_e32 v5, 31, v4
	v_lshlrev_b64 v[4:5], 3, v[4:5]
	v_add_co_u32_e32 v4, vcc, s6, v4
	v_addc_co_u32_e32 v5, vcc, v1, v5, vcc
	flat_load_dwordx2 v[6:7], v[4:5]
	s_and_b64 vcc, exec, s[0:1]
	s_cbranch_vccnz .LBB158_30
; %bb.32:                               ;   in Loop: Header=BB158_31 Depth=1
	v_ashrrev_i32_e32 v3, 31, v2
	v_lshlrev_b64 v[8:9], 3, v[2:3]
	v_add_co_u32_e32 v8, vcc, s6, v8
	v_addc_co_u32_e32 v9, vcc, v1, v9, vcc
	s_mov_b32 s3, s2
	s_mov_b64 s[16:17], s[4:5]
.LBB158_33:                             ;   Parent Loop BB158_31 Depth=1
                                        ; =>  This Inner Loop Header: Depth=2
	s_add_u32 s20, s16, s10
	s_addc_u32 s21, s17, s11
	flat_load_dwordx2 v[12:13], v[8:9] offset:8
	global_load_dword v14, v10, s[16:17]
	global_load_dword v16, v10, s[20:21]
	v_add_co_u32_e32 v18, vcc, 8, v8
	s_add_u32 s16, s16, 4
	v_addc_co_u32_e32 v19, vcc, 0, v9, vcc
	s_addc_u32 s17, s17, 0
	s_add_i32 s3, s3, -1
	s_cmp_lg_u32 s3, 0
	s_waitcnt vmcnt(0) lgkmcnt(0)
	v_mul_f32_e32 v3, v12, v16
	v_mul_f32_e32 v15, v13, v16
	v_pk_mul_f32 v[16:17], v[6:7], v[16:17] op_sel_hi:[1,0]
	v_fma_f32 v20, v6, v14, -v3
	v_fma_f32 v21, v7, v14, -v15
	v_pk_fma_f32 v[6:7], v[12:13], v[14:15], v[16:17] op_sel_hi:[1,0,1]
	flat_store_dwordx2 v[8:9], v[20:21]
	v_pk_mov_b32 v[8:9], v[18:19], v[18:19] op_sel:[0,1]
	s_cbranch_scc1 .LBB158_33
	s_branch .LBB158_30
.LBB158_34:
	s_endpgm
	.section	.rodata,"a",@progbits
	.p2align	6, 0x0
	.amdhsa_kernel _ZN9rocsolver6v33100L17bdsqr_lower2upperI19rocblas_complex_numIfEfPS3_PKS4_EEviiiPT0_lS8_lT1_iilT2_iilPiS8_lSB_
		.amdhsa_group_segment_fixed_size 0
		.amdhsa_private_segment_fixed_size 0
		.amdhsa_kernarg_size 384
		.amdhsa_user_sgpr_count 6
		.amdhsa_user_sgpr_private_segment_buffer 1
		.amdhsa_user_sgpr_dispatch_ptr 0
		.amdhsa_user_sgpr_queue_ptr 0
		.amdhsa_user_sgpr_kernarg_segment_ptr 1
		.amdhsa_user_sgpr_dispatch_id 0
		.amdhsa_user_sgpr_flat_scratch_init 0
		.amdhsa_user_sgpr_kernarg_preload_length 0
		.amdhsa_user_sgpr_kernarg_preload_offset 0
		.amdhsa_user_sgpr_private_segment_size 0
		.amdhsa_uses_dynamic_stack 0
		.amdhsa_system_sgpr_private_segment_wavefront_offset 0
		.amdhsa_system_sgpr_workgroup_id_x 1
		.amdhsa_system_sgpr_workgroup_id_y 1
		.amdhsa_system_sgpr_workgroup_id_z 0
		.amdhsa_system_sgpr_workgroup_info 0
		.amdhsa_system_vgpr_workitem_id 0
		.amdhsa_next_free_vgpr 22
		.amdhsa_next_free_sgpr 36
		.amdhsa_accum_offset 24
		.amdhsa_reserve_vcc 1
		.amdhsa_reserve_flat_scratch 0
		.amdhsa_float_round_mode_32 0
		.amdhsa_float_round_mode_16_64 0
		.amdhsa_float_denorm_mode_32 3
		.amdhsa_float_denorm_mode_16_64 3
		.amdhsa_dx10_clamp 1
		.amdhsa_ieee_mode 1
		.amdhsa_fp16_overflow 0
		.amdhsa_tg_split 0
		.amdhsa_exception_fp_ieee_invalid_op 0
		.amdhsa_exception_fp_denorm_src 0
		.amdhsa_exception_fp_ieee_div_zero 0
		.amdhsa_exception_fp_ieee_overflow 0
		.amdhsa_exception_fp_ieee_underflow 0
		.amdhsa_exception_fp_ieee_inexact 0
		.amdhsa_exception_int_div_zero 0
	.end_amdhsa_kernel
	.section	.text._ZN9rocsolver6v33100L17bdsqr_lower2upperI19rocblas_complex_numIfEfPS3_PKS4_EEviiiPT0_lS8_lT1_iilT2_iilPiS8_lSB_,"axG",@progbits,_ZN9rocsolver6v33100L17bdsqr_lower2upperI19rocblas_complex_numIfEfPS3_PKS4_EEviiiPT0_lS8_lT1_iilT2_iilPiS8_lSB_,comdat
.Lfunc_end158:
	.size	_ZN9rocsolver6v33100L17bdsqr_lower2upperI19rocblas_complex_numIfEfPS3_PKS4_EEviiiPT0_lS8_lT1_iilT2_iilPiS8_lSB_, .Lfunc_end158-_ZN9rocsolver6v33100L17bdsqr_lower2upperI19rocblas_complex_numIfEfPS3_PKS4_EEviiiPT0_lS8_lT1_iilT2_iilPiS8_lSB_
                                        ; -- End function
	.section	.AMDGPU.csdata,"",@progbits
; Kernel info:
; codeLenInByte = 1964
; NumSgprs: 40
; NumVgprs: 22
; NumAgprs: 0
; TotalNumVgprs: 22
; ScratchSize: 0
; MemoryBound: 0
; FloatMode: 240
; IeeeMode: 1
; LDSByteSize: 0 bytes/workgroup (compile time only)
; SGPRBlocks: 4
; VGPRBlocks: 2
; NumSGPRsForWavesPerEU: 40
; NumVGPRsForWavesPerEU: 22
; AccumOffset: 24
; Occupancy: 8
; WaveLimiterHint : 0
; COMPUTE_PGM_RSRC2:SCRATCH_EN: 0
; COMPUTE_PGM_RSRC2:USER_SGPR: 6
; COMPUTE_PGM_RSRC2:TRAP_HANDLER: 0
; COMPUTE_PGM_RSRC2:TGID_X_EN: 1
; COMPUTE_PGM_RSRC2:TGID_Y_EN: 1
; COMPUTE_PGM_RSRC2:TGID_Z_EN: 0
; COMPUTE_PGM_RSRC2:TIDIG_COMP_CNT: 0
; COMPUTE_PGM_RSRC3_GFX90A:ACCUM_OFFSET: 5
; COMPUTE_PGM_RSRC3_GFX90A:TG_SPLIT: 0
	.section	.text._ZN9rocsolver6v33100L13bdsqr_computeILi256E19rocblas_complex_numIfEfPKPS3_S4_S6_EEviiiiPT1_lS8_lT2_iilT3_iilT4_iiliS7_S7_S7_S7_PiS8_ilSC_,"axG",@progbits,_ZN9rocsolver6v33100L13bdsqr_computeILi256E19rocblas_complex_numIfEfPKPS3_S4_S6_EEviiiiPT1_lS8_lT2_iilT3_iilT4_iiliS7_S7_S7_S7_PiS8_ilSC_,comdat
	.globl	_ZN9rocsolver6v33100L13bdsqr_computeILi256E19rocblas_complex_numIfEfPKPS3_S4_S6_EEviiiiPT1_lS8_lT2_iilT3_iilT4_iiliS7_S7_S7_S7_PiS8_ilSC_ ; -- Begin function _ZN9rocsolver6v33100L13bdsqr_computeILi256E19rocblas_complex_numIfEfPKPS3_S4_S6_EEviiiiPT1_lS8_lT2_iilT3_iilT4_iiliS7_S7_S7_S7_PiS8_ilSC_
	.p2align	8
	.type	_ZN9rocsolver6v33100L13bdsqr_computeILi256E19rocblas_complex_numIfEfPKPS3_S4_S6_EEviiiiPT1_lS8_lT2_iilT3_iilT4_iiliS7_S7_S7_S7_PiS8_ilSC_,@function
_ZN9rocsolver6v33100L13bdsqr_computeILi256E19rocblas_complex_numIfEfPKPS3_S4_S6_EEviiiiPT1_lS8_lT2_iilT3_iilT4_iiliS7_S7_S7_S7_PiS8_ilSC_: ; @_ZN9rocsolver6v33100L13bdsqr_computeILi256E19rocblas_complex_numIfEfPKPS3_S4_S6_EEviiiiPT1_lS8_lT2_iilT3_iilT4_iiliS7_S7_S7_S7_PiS8_ilSC_
; %bb.0:
	s_load_dwordx4 s[0:3], s[4:5], 0xa8
	s_ashr_i32 s9, s8, 31
	s_lshl_b64 s[10:11], s[8:9], 2
	s_waitcnt lgkmcnt(0)
	s_add_u32 s2, s2, s10
	s_addc_u32 s3, s3, s11
	s_load_dword s2, s[2:3], 0x8
	s_waitcnt lgkmcnt(0)
	s_cmp_lg_u32 s2, 0
	s_cbranch_scc1 .LBB159_181
; %bb.1:
	s_load_dwordx4 s[36:39], s[4:5], 0x30
	s_mov_b64 s[44:45], 0
	s_mov_b64 s[34:35], 0
	s_waitcnt lgkmcnt(0)
	s_cmp_eq_u64 s[36:37], 0
	s_cbranch_scc1 .LBB159_3
; %bb.2:
	s_lshl_b64 s[2:3], s[8:9], 3
	s_add_u32 s2, s36, s2
	s_addc_u32 s3, s37, s3
	s_load_dwordx2 s[2:3], s[2:3], 0x0
	s_ashr_i32 s11, s38, 31
	s_mov_b32 s10, s38
	s_lshl_b64 s[10:11], s[10:11], 3
	s_waitcnt lgkmcnt(0)
	s_add_u32 s34, s2, s10
	s_addc_u32 s35, s3, s11
.LBB159_3:
	s_load_dwordx8 s[20:27], s[4:5], 0x48
	s_waitcnt lgkmcnt(0)
	s_cmp_eq_u64 s[20:21], 0
	s_cbranch_scc1 .LBB159_5
; %bb.4:
	s_mul_i32 s6, s8, s25
	s_mul_hi_u32 s10, s8, s24
	s_add_i32 s6, s10, s6
	s_mul_i32 s10, s9, s24
	s_add_i32 s11, s6, s10
	s_mul_i32 s10, s8, s24
	s_ashr_i32 s3, s22, 31
	s_lshl_b64 s[10:11], s[10:11], 3
	s_mov_b32 s2, s22
	s_add_u32 s6, s20, s10
	s_addc_u32 s10, s21, s11
	s_lshl_b64 s[2:3], s[2:3], 3
	s_add_u32 s44, s6, s2
	s_addc_u32 s45, s10, s3
.LBB159_5:
	s_load_dwordx2 s[20:21], s[4:5], 0x68
	s_cmp_eq_u64 s[26:27], 0
	s_mov_b64 s[36:37], 0
	s_cbranch_scc1 .LBB159_7
; %bb.6:
	s_lshl_b64 s[2:3], s[8:9], 3
	s_add_u32 s2, s26, s2
	s_addc_u32 s3, s27, s3
	s_load_dwordx2 s[2:3], s[2:3], 0x0
	s_waitcnt lgkmcnt(0)
	s_ashr_i32 s11, s20, 31
	s_mov_b32 s10, s20
	s_lshl_b64 s[10:11], s[10:11], 3
	s_add_u32 s36, s2, s10
	s_addc_u32 s37, s3, s11
.LBB159_7:
	s_load_dwordx4 s[12:15], s[4:5], 0x90
	s_mul_i32 s1, s8, s1
	s_mul_hi_u32 s2, s8, s0
	s_add_i32 s1, s2, s1
	s_mul_i32 s2, s9, s0
	s_add_i32 s1, s1, s2
	s_mul_i32 s0, s8, s0
	s_lshl_b64 s[60:61], s[0:1], 2
	s_waitcnt lgkmcnt(0)
	s_add_u32 s46, s14, s60
	s_addc_u32 s47, s15, s61
	s_load_dword s0, s[46:47], 0x8
	s_waitcnt lgkmcnt(0)
	v_cvt_i32_f32_e32 v1, s0
	v_cmp_ge_i32_e32 vcc, s7, v1
	s_cbranch_vccnz .LBB159_181
; %bb.8:
	s_load_dwordx4 s[40:43], s[4:5], 0x0
	s_load_dwordx8 s[24:31], s[4:5], 0x10
                                        ; implicit-def: $vgpr38 : SGPR spill to VGPR lane
	s_load_dwordx2 s[56:57], s[4:5], 0x78
	s_load_dwordx2 s[58:59], s[4:5], 0x84
	s_load_dword s77, s[4:5], 0xa0
	s_load_dword s18, s[4:5], 0xbc
	v_lshlrev_b32_e32 v14, 2, v0
	v_mul_lo_u32 v20, v0, s39
	s_waitcnt lgkmcnt(0)
	s_mul_i32 s0, s8, s40
	s_lshl_b32 s0, s0, 1
	s_ashr_i32 s1, s0, 31
	s_lshl_b64 s[0:1], s[0:1], 2
	s_mul_i32 s2, s8, s27
	s_mul_hi_u32 s3, s8, s26
	s_add_u32 s6, s12, s0
	s_addc_u32 s20, s13, s1
	s_add_i32 s0, s3, s2
	s_mul_i32 s1, s9, s26
	s_add_i32 s1, s0, s1
	s_mul_i32 s0, s8, s26
	s_lshl_b64 s[0:1], s[0:1], 2
	s_add_u32 s22, s24, s0
	s_addc_u32 s33, s25, s1
	s_mul_i32 s0, s8, s31
	s_mul_hi_u32 s1, s8, s30
	s_add_i32 s0, s1, s0
	s_mul_i32 s1, s9, s30
	s_add_i32 s1, s0, s1
	s_mul_i32 s0, s8, s30
	v_writelane_b32 v38, s0, 0
	s_lshl_b64 s[10:11], s[0:1], 2
	s_add_u32 s38, s28, s10
	s_addc_u32 s40, s29, s11
	s_cmp_lg_u32 s41, 0
	s_cselect_b64 s[26:27], -1, 0
	s_or_b32 s8, s43, s42
	s_cmp_eq_u32 s8, 0
	v_writelane_b32 v38, s1, 1
	s_cselect_b64 s[8:9], -1, 0
	v_writelane_b32 v38, s8, 2
	s_cmp_lg_u64 s[34:35], 0
	v_writelane_b32 v38, s9, 3
	s_cselect_b64 s[8:9], -1, 0
	s_and_b64 s[88:89], s[26:27], s[8:9]
	s_add_u32 s50, s4, 0xb8
	s_addc_u32 s51, s5, 0
	s_cmp_lg_u64 s[44:45], 0
	s_cselect_b64 s[8:9], -1, 0
	s_cmp_lg_u32 s42, 0
	s_cselect_b64 s[12:13], -1, 0
	s_and_b64 s[92:93], s[12:13], s[8:9]
	v_cmp_gt_i32_e64 s[8:9], s42, v0
	v_writelane_b32 v38, s8, 4
	s_cmp_lg_u64 s[36:37], 0
	v_writelane_b32 v38, s9, 5
	s_cselect_b64 s[8:9], -1, 0
	s_cmp_lg_u32 s43, 0
	s_cselect_b64 s[12:13], -1, 0
	s_and_b64 s[8:9], s[12:13], s[8:9]
	v_writelane_b32 v38, s8, 6
	v_writelane_b32 v38, s9, 7
	v_cmp_gt_i32_e64 s[8:9], s43, v0
	v_writelane_b32 v38, s8, 8
	v_writelane_b32 v38, s9, 9
	s_add_u32 s4, s22, -4
	v_writelane_b32 v38, s4, 10
	s_addc_u32 s4, s33, -1
	v_writelane_b32 v38, s4, 11
	s_add_u32 s4, s14, s60
	s_addc_u32 s8, s15, s61
	v_writelane_b32 v38, s4, 12
	s_add_u32 s4, s4, 12
	v_writelane_b32 v38, s4, 13
	s_addc_u32 s4, s8, 0
	v_writelane_b32 v38, s4, 14
	s_add_u32 s4, s28, -4
	v_mov_b32_e32 v2, s33
	v_add_co_u32_e32 v16, vcc, s22, v14
	s_addc_u32 s5, s29, -1
	v_addc_co_u32_e32 v17, vcc, 0, v2, vcc
	v_writelane_b32 v38, s4, 15
	s_add_u32 s4, s4, s10
	s_movk_i32 s0, 0x80
	v_mov_b32_e32 v2, s40
	v_add_co_u32_e32 v18, vcc, s38, v14
	v_writelane_b32 v38, s4, 16
	v_mul_lo_u32 v22, v0, s21
	v_cmp_gt_u32_e64 s[0:1], s0, v0
	v_cmp_gt_u32_e64 s[2:3], 64, v0
	v_cmp_eq_u32_e64 s[16:17], 0, v0
	v_cmp_gt_i32_e64 s[90:91], s41, v0
	v_mov_b32_e32 v15, 0
	v_addc_co_u32_e32 v19, vcc, 0, v2, vcc
	v_writelane_b32 v38, s5, 17
	s_addc_u32 s4, s5, s11
	v_add_u32_e32 v21, -1, v20
	v_add_u32_e32 v23, -1, v22
	s_mov_b32 s11, 0xf800000
	v_mov_b32_e32 v24, 0x260
	v_mov_b32_e32 v25, 1
	v_writelane_b32 v38, s4, 18
	s_branch .LBB159_11
.LBB159_9:                              ;   in Loop: Header=BB159_11 Depth=1
	s_or_b64 exec, exec, s[12:13]
.LBB159_10:                             ;   in Loop: Header=BB159_11 Depth=1
	s_add_i32 s7, s18, s7
	v_cmp_lt_i32_e32 vcc, s7, v1
	s_cbranch_vccz .LBB159_181
.LBB159_11:                             ; =>This Loop Header: Depth=1
                                        ;     Child Loop BB159_15 Depth 2
                                        ;     Child Loop BB159_40 Depth 2
	;; [unrolled: 1-line block ×5, first 2 shown]
                                        ;       Child Loop BB159_164 Depth 3
                                        ;     Child Loop BB159_170 Depth 2
                                        ;       Child Loop BB159_172 Depth 3
                                        ;     Child Loop BB159_178 Depth 2
                                        ;       Child Loop BB159_180 Depth 3
	s_lshl_b32 s4, s7, 2
	s_ashr_i32 s5, s4, 31
	s_lshl_b64 s[4:5], s[4:5], 2
	s_add_u32 s12, s6, s4
	s_addc_u32 s13, s20, s5
	global_load_dwordx2 v[2:3], v15, s[12:13] offset:4
	s_waitcnt vmcnt(0)
	v_readfirstlane_b32 s62, v2
	v_readfirstlane_b32 s60, v3
	s_cmp_le_i32 s60, s62
	s_cbranch_scc1 .LBB159_10
; %bb.12:                               ;   in Loop: Header=BB159_11 Depth=1
	global_load_dword v2, v15, s[12:13] offset:12
	s_waitcnt vmcnt(0)
	v_cmp_le_i32_e32 vcc, s56, v2
	s_cbranch_vccnz .LBB159_10
; %bb.13:                               ;   in Loop: Header=BB159_11 Depth=1
	s_sub_i32 s28, s60, s62
	s_ashr_i32 s63, s62, 31
	v_cmp_ge_i32_e32 vcc, s28, v0
	v_mov_b32_e32 v4, 0
	s_and_saveexec_b64 s[4:5], vcc
	s_cbranch_execz .LBB159_17
; %bb.14:                               ;   in Loop: Header=BB159_11 Depth=1
	s_lshl_b64 s[14:15], s[62:63], 2
	v_mov_b32_e32 v3, s15
	v_add_co_u32_e32 v2, vcc, s14, v16
	v_addc_co_u32_e32 v3, vcc, v17, v3, vcc
	s_mov_b64 s[14:15], 0
	v_mov_b32_e32 v4, 0
	v_mov_b32_e32 v5, v0
.LBB159_15:                             ;   Parent Loop BB159_11 Depth=1
                                        ; =>  This Inner Loop Header: Depth=2
	global_load_dword v6, v[2:3], off
	v_add_co_u32_e32 v2, vcc, 0x400, v2
	v_add_u32_e32 v5, 0x100, v5
	v_addc_co_u32_e32 v3, vcc, 0, v3, vcc
	v_cmp_lt_i32_e32 vcc, s28, v5
	s_or_b64 s[14:15], vcc, s[14:15]
	s_waitcnt vmcnt(0)
	v_cmp_lt_f32_e64 s[24:25], v4, |v6|
	v_cndmask_b32_e64 v4, v4, |v6|, s[24:25]
	s_andn2_b64 exec, exec, s[14:15]
	s_cbranch_execnz .LBB159_15
; %bb.16:                               ;   in Loop: Header=BB159_11 Depth=1
	s_or_b64 exec, exec, s[14:15]
.LBB159_17:                             ;   in Loop: Header=BB159_11 Depth=1
	s_or_b64 exec, exec, s[4:5]
	s_cmp_lt_i32 s28, 1
	ds_write_b32 v14, v4
	s_waitcnt lgkmcnt(0)
	s_barrier
	s_cbranch_scc1 .LBB159_38
; %bb.18:                               ;   in Loop: Header=BB159_11 Depth=1
	s_and_saveexec_b64 s[4:5], s[0:1]
	s_cbranch_execz .LBB159_22
; %bb.19:                               ;   in Loop: Header=BB159_11 Depth=1
	ds_read_b32 v2, v14 offset:512
	s_waitcnt lgkmcnt(0)
	v_cmp_lt_f32_e32 vcc, v4, v2
	s_and_saveexec_b64 s[14:15], vcc
	s_cbranch_execz .LBB159_21
; %bb.20:                               ;   in Loop: Header=BB159_11 Depth=1
	v_mov_b32_e32 v4, v2
	ds_write_b32 v14, v2
.LBB159_21:                             ;   in Loop: Header=BB159_11 Depth=1
	s_or_b64 exec, exec, s[14:15]
.LBB159_22:                             ;   in Loop: Header=BB159_11 Depth=1
	s_or_b64 exec, exec, s[4:5]
	s_waitcnt lgkmcnt(0)
	s_barrier
	s_and_saveexec_b64 s[4:5], s[2:3]
	s_cbranch_execz .LBB159_37
; %bb.23:                               ;   in Loop: Header=BB159_11 Depth=1
	ds_read_b32 v2, v14 offset:256
	s_waitcnt lgkmcnt(0)
	v_cmp_lt_f32_e32 vcc, v4, v2
	s_and_saveexec_b64 s[14:15], vcc
	s_cbranch_execz .LBB159_25
; %bb.24:                               ;   in Loop: Header=BB159_11 Depth=1
	v_mov_b32_e32 v4, v2
	ds_write_b32 v14, v2
.LBB159_25:                             ;   in Loop: Header=BB159_11 Depth=1
	s_or_b64 exec, exec, s[14:15]
	ds_read_b32 v2, v14 offset:128
	s_waitcnt lgkmcnt(0)
	v_cmp_lt_f32_e32 vcc, v4, v2
	s_and_saveexec_b64 s[14:15], vcc
	s_cbranch_execz .LBB159_27
; %bb.26:                               ;   in Loop: Header=BB159_11 Depth=1
	v_mov_b32_e32 v4, v2
	ds_write_b32 v14, v2
.LBB159_27:                             ;   in Loop: Header=BB159_11 Depth=1
	s_or_b64 exec, exec, s[14:15]
	;; [unrolled: 10-line block ×6, first 2 shown]
	ds_read_b32 v2, v14 offset:4
	s_waitcnt lgkmcnt(0)
	v_cmp_lt_f32_e32 vcc, v4, v2
	s_and_b64 exec, exec, vcc
	s_cbranch_execz .LBB159_37
; %bb.36:                               ;   in Loop: Header=BB159_11 Depth=1
	ds_write_b32 v14, v2
.LBB159_37:                             ;   in Loop: Header=BB159_11 Depth=1
	s_or_b64 exec, exec, s[4:5]
.LBB159_38:                             ;   in Loop: Header=BB159_11 Depth=1
	v_cmp_gt_i32_e32 vcc, s28, v0
	v_mov_b32_e32 v4, 0
	s_waitcnt lgkmcnt(0)
	s_barrier
	s_and_saveexec_b64 s[4:5], vcc
	s_cbranch_execz .LBB159_42
; %bb.39:                               ;   in Loop: Header=BB159_11 Depth=1
	s_lshl_b64 s[14:15], s[62:63], 2
	v_mov_b32_e32 v3, s15
	v_add_co_u32_e32 v2, vcc, s14, v18
	v_addc_co_u32_e32 v3, vcc, v19, v3, vcc
	s_mov_b64 s[14:15], 0
	v_mov_b32_e32 v4, 0
	v_mov_b32_e32 v5, v0
.LBB159_40:                             ;   Parent Loop BB159_11 Depth=1
                                        ; =>  This Inner Loop Header: Depth=2
	global_load_dword v6, v[2:3], off
	v_add_co_u32_e32 v2, vcc, 0x400, v2
	v_add_u32_e32 v5, 0x100, v5
	v_addc_co_u32_e32 v3, vcc, 0, v3, vcc
	v_cmp_le_i32_e32 vcc, s28, v5
	s_or_b64 s[14:15], vcc, s[14:15]
	s_waitcnt vmcnt(0)
	v_cmp_lt_f32_e64 s[24:25], v4, |v6|
	v_cndmask_b32_e64 v4, v4, |v6|, s[24:25]
	s_andn2_b64 exec, exec, s[14:15]
	s_cbranch_execnz .LBB159_40
; %bb.41:                               ;   in Loop: Header=BB159_11 Depth=1
	s_or_b64 exec, exec, s[14:15]
.LBB159_42:                             ;   in Loop: Header=BB159_11 Depth=1
	s_or_b64 exec, exec, s[4:5]
	s_cmp_lt_i32 s28, 2
	ds_write_b32 v14, v4 offset:4
	s_waitcnt lgkmcnt(0)
	s_barrier
	s_cbranch_scc1 .LBB159_63
; %bb.43:                               ;   in Loop: Header=BB159_11 Depth=1
	s_and_saveexec_b64 s[4:5], s[0:1]
	s_cbranch_execz .LBB159_47
; %bb.44:                               ;   in Loop: Header=BB159_11 Depth=1
	ds_read_b32 v2, v14 offset:516
	s_waitcnt lgkmcnt(0)
	v_cmp_lt_f32_e32 vcc, v4, v2
	s_and_saveexec_b64 s[14:15], vcc
	s_cbranch_execz .LBB159_46
; %bb.45:                               ;   in Loop: Header=BB159_11 Depth=1
	v_mov_b32_e32 v4, v2
	ds_write_b32 v14, v2 offset:4
.LBB159_46:                             ;   in Loop: Header=BB159_11 Depth=1
	s_or_b64 exec, exec, s[14:15]
.LBB159_47:                             ;   in Loop: Header=BB159_11 Depth=1
	s_or_b64 exec, exec, s[4:5]
	s_waitcnt lgkmcnt(0)
	s_barrier
	s_and_saveexec_b64 s[4:5], s[2:3]
	s_cbranch_execz .LBB159_62
; %bb.48:                               ;   in Loop: Header=BB159_11 Depth=1
	ds_read_b32 v2, v14 offset:260
	s_waitcnt lgkmcnt(0)
	v_cmp_lt_f32_e32 vcc, v4, v2
	s_and_saveexec_b64 s[14:15], vcc
	s_cbranch_execz .LBB159_50
; %bb.49:                               ;   in Loop: Header=BB159_11 Depth=1
	v_mov_b32_e32 v4, v2
	ds_write_b32 v14, v2 offset:4
.LBB159_50:                             ;   in Loop: Header=BB159_11 Depth=1
	s_or_b64 exec, exec, s[14:15]
	ds_read_b32 v2, v14 offset:132
	s_waitcnt lgkmcnt(0)
	v_cmp_lt_f32_e32 vcc, v4, v2
	s_and_saveexec_b64 s[14:15], vcc
	s_cbranch_execz .LBB159_52
; %bb.51:                               ;   in Loop: Header=BB159_11 Depth=1
	v_mov_b32_e32 v4, v2
	ds_write_b32 v14, v2 offset:4
.LBB159_52:                             ;   in Loop: Header=BB159_11 Depth=1
	s_or_b64 exec, exec, s[14:15]
	;; [unrolled: 10-line block ×6, first 2 shown]
	ds_read_b32 v2, v14 offset:8
	s_waitcnt lgkmcnt(0)
	v_cmp_lt_f32_e32 vcc, v4, v2
	s_and_b64 exec, exec, vcc
	s_cbranch_execz .LBB159_62
; %bb.61:                               ;   in Loop: Header=BB159_11 Depth=1
	ds_write_b32 v14, v2 offset:4
.LBB159_62:                             ;   in Loop: Header=BB159_11 Depth=1
	s_or_b64 exec, exec, s[4:5]
.LBB159_63:                             ;   in Loop: Header=BB159_11 Depth=1
	s_lshl_b64 s[64:65], s[62:63], 2
	s_add_u32 s9, s38, s64
	s_addc_u32 s10, s40, s65
	s_add_u32 s14, s22, s64
	s_addc_u32 s15, s33, s65
	s_waitcnt lgkmcnt(0)
	s_barrier
	s_and_saveexec_b64 s[66:67], s[16:17]
	s_cbranch_execz .LBB159_78
; %bb.64:                               ;   in Loop: Header=BB159_11 Depth=1
	s_ashr_i32 s61, s60, 31
	s_lshl_b64 s[4:5], s[60:61], 2
	s_add_u32 s4, s22, s4
	s_addc_u32 s5, s33, s5
	global_load_dword v3, v15, s[14:15]
	global_load_dword v4, v15, s[4:5]
	s_ashr_i32 s29, s28, 31
	s_lshl_b64 s[4:5], s[28:29], 2
	s_add_u32 s19, s14, s4
	s_addc_u32 s29, s15, s5
	s_waitcnt vmcnt(0)
	v_cmp_ge_f32_e64 s[4:5], |v3|, |v4|
	s_and_b64 s[24:25], s[4:5], exec
	s_cselect_b32 s25, s15, s29
	s_cselect_b32 s24, s14, s19
	global_load_dword v5, v15, s[24:25]
	v_cndmask_b32_e64 v2, 0, 1, s[4:5]
	ds_write_b32 v15, v2 offset:1028
	s_cmp_lt_i32 s28, 1
	s_waitcnt vmcnt(0)
	v_and_b32_e32 v2, 0x7fffffff, v5
	s_cbranch_scc1 .LBB159_71
; %bb.65:                               ;   in Loop: Header=BB159_11 Depth=1
	s_not_b32 s19, s62
	s_add_i32 s19, s19, s60
	s_mov_b32 s24, 0
	v_mov_b32_e32 v5, v2
	s_branch .LBB159_67
.LBB159_66:                             ;   in Loop: Header=BB159_67 Depth=2
	s_add_i32 s24, s24, 1
	s_and_b64 s[48:49], s[4:5], exec
	s_cselect_b32 s48, s24, s19
	s_ashr_i32 s49, s48, 31
	s_lshl_b64 s[48:49], s[48:49], 2
	s_add_u32 s48, s14, s48
	s_addc_u32 s49, s15, s49
	global_load_dword v7, v15, s[48:49]
	v_add_f32_e64 v6, v5, |v6|
	v_div_scale_f32 v8, s[48:49], v6, v6, v5
	v_rcp_f32_e32 v9, v8
	v_div_scale_f32 v10, vcc, v5, v6, v5
	s_add_i32 s19, s19, -1
	v_fma_f32 v11, -v8, v9, 1.0
	v_fmac_f32_e32 v9, v11, v9
	v_mul_f32_e32 v11, v10, v9
	v_fma_f32 v12, -v8, v11, v10
	v_fmac_f32_e32 v11, v12, v9
	v_fma_f32 v8, -v8, v11, v10
	v_div_fmas_f32 v8, v8, v9, v11
	v_div_fixup_f32 v5, v8, v6, v5
	s_cmp_eq_u32 s19, -1
	s_mov_b64 s[68:69], 0
	s_cselect_b64 s[70:71], -1, 0
	s_waitcnt vmcnt(0)
	v_mul_f32_e64 v5, v5, |v7|
	v_cmp_lt_f32_e32 vcc, v5, v2
	v_cndmask_b32_e32 v2, v2, v5, vcc
	s_andn2_b64 vcc, exec, s[70:71]
	s_cbranch_vccz .LBB159_69
.LBB159_67:                             ;   Parent Loop BB159_11 Depth=1
                                        ; =>  This Inner Loop Header: Depth=2
	s_and_b64 s[30:31], s[4:5], exec
	s_cselect_b32 s30, s24, s19
	s_ashr_i32 s31, s30, 31
	s_lshl_b64 s[30:31], s[30:31], 2
	s_add_u32 s30, s9, s30
	s_addc_u32 s31, s10, s31
	global_load_dword v6, v15, s[30:31]
	v_mul_f32_e32 v7, s58, v5
	s_waitcnt vmcnt(0)
	v_cmp_nle_f32_e64 s[48:49], |v6|, v7
	s_and_b64 vcc, exec, s[48:49]
	s_cbranch_vccnz .LBB159_66
; %bb.68:                               ;   in Loop: Header=BB159_11 Depth=1
	s_mov_b64 s[68:69], -1
                                        ; implicit-def: $vgpr5
                                        ; implicit-def: $sgpr19
                                        ; implicit-def: $sgpr24
                                        ; implicit-def: $vgpr2
.LBB159_69:                             ;   in Loop: Header=BB159_11 Depth=1
	s_and_b64 vcc, exec, s[68:69]
	s_cbranch_vccz .LBB159_71
; %bb.70:                               ;   in Loop: Header=BB159_11 Depth=1
	v_mov_b32_e32 v2, -1.0
	global_store_dword v15, v15, s[30:31]
.LBB159_71:                             ;   in Loop: Header=BB159_11 Depth=1
	v_cmp_nle_f32_e32 vcc, 0, v2
	v_and_b32_e32 v3, 0x7fffffff, v3
	v_and_b32_e32 v4, 0x7fffffff, v4
	ds_write_b32 v15, v2 offset:1032
	ds_write_b8 v15, v15 offset:1036
	s_cbranch_vccnz .LBB159_78
; %bb.72:                               ;   in Loop: Header=BB159_11 Depth=1
	ds_read_b64 v[6:7], v15
	s_mov_b64 s[30:31], -1
	s_waitcnt lgkmcnt(0)
	v_cmp_lt_f32_e32 vcc, v6, v7
	v_cndmask_b32_e32 v5, v6, v7, vcc
	v_div_scale_f32 v6, s[24:25], v5, v5, v2
	v_rcp_f32_e32 v7, v6
	v_div_scale_f32 v8, vcc, v2, v5, v2
	v_fma_f32 v9, -v6, v7, 1.0
	v_fmac_f32_e32 v7, v9, v7
	v_mul_f32_e32 v9, v8, v7
	v_fma_f32 v10, -v6, v9, v8
	v_fmac_f32_e32 v9, v10, v7
	v_fma_f32 v6, -v6, v9, v8
	v_div_fmas_f32 v6, v6, v7, v9
	v_div_fixup_f32 v5, v6, v5, v2
	v_cmp_ge_f32_e32 vcc, s59, v5
	s_cbranch_vccnz .LBB159_75
; %bb.73:                               ;   in Loop: Header=BB159_11 Depth=1
	v_cndmask_b32_e64 v3, v4, v3, s[4:5]
	v_cmp_lt_f32_e32 vcc, 0, v3
	s_mov_b64 s[30:31], 0
	s_cbranch_vccz .LBB159_75
; %bb.74:                               ;   in Loop: Header=BB159_11 Depth=1
	v_mul_f32_e32 v2, v2, v2
	v_div_scale_f32 v4, s[4:5], v3, v3, v2
	v_rcp_f32_e32 v5, v4
	v_div_scale_f32 v6, vcc, v2, v3, v2
	v_fma_f32 v7, -v4, v5, 1.0
	v_fmac_f32_e32 v5, v7, v5
	v_mul_f32_e32 v7, v6, v5
	v_fma_f32 v8, -v4, v7, v6
	v_fmac_f32_e32 v7, v8, v5
	v_fma_f32 v4, -v4, v7, v6
	v_div_fmas_f32 v4, v4, v5, v7
	v_div_fixup_f32 v2, v4, v3, v2
	v_div_scale_f32 v4, s[4:5], v3, v3, v2
	v_rcp_f32_e32 v5, v4
	v_fma_f32 v6, -v4, v5, 1.0
	v_fmac_f32_e32 v5, v6, v5
	v_div_scale_f32 v6, vcc, v2, v3, v2
	v_mul_f32_e32 v7, v6, v5
	v_fma_f32 v8, -v4, v7, v6
	v_fmac_f32_e32 v7, v8, v5
	v_fma_f32 v4, -v4, v7, v6
	v_div_fmas_f32 v4, v4, v5, v7
	v_div_fixup_f32 v2, v4, v3, v2
	v_cmp_gt_f32_e64 s[30:31], s57, v2
.LBB159_75:                             ;   in Loop: Header=BB159_11 Depth=1
	s_and_b64 vcc, exec, s[30:31]
	s_cbranch_vccz .LBB159_77
; %bb.76:                               ;   in Loop: Header=BB159_11 Depth=1
	ds_write_b32 v15, v15 offset:1032
.LBB159_77:                             ;   in Loop: Header=BB159_11 Depth=1
	ds_write_b8 v15, v25 offset:1036
.LBB159_78:                             ;   in Loop: Header=BB159_11 Depth=1
	s_or_b64 exec, exec, s[66:67]
	s_waitcnt lgkmcnt(0)
	s_barrier
	ds_read_u8 v2, v15 offset:1036
	s_mov_b64 s[4:5], -1
	s_waitcnt lgkmcnt(0)
	v_cmp_eq_u32_e32 vcc, 0, v2
	s_cbranch_vccz .LBB159_82
; %bb.79:                               ;   in Loop: Header=BB159_11 Depth=1
	s_and_saveexec_b64 s[4:5], s[16:17]
	s_cbranch_execz .LBB159_81
; %bb.80:                               ;   in Loop: Header=BB159_11 Depth=1
	global_store_dword v15, v15, s[12:13]
.LBB159_81:                             ;   in Loop: Header=BB159_11 Depth=1
	s_or_b64 exec, exec, s[4:5]
	s_mov_b64 s[4:5], 0
.LBB159_82:                             ;   in Loop: Header=BB159_11 Depth=1
	s_andn2_b64 vcc, exec, s[4:5]
	s_cbranch_vccnz .LBB159_10
; %bb.83:                               ;   in Loop: Header=BB159_11 Depth=1
	ds_read_b32 v2, v15 offset:1028
	s_waitcnt lgkmcnt(0)
	v_readfirstlane_b32 s66, v2
	s_and_saveexec_b64 s[4:5], s[16:17]
	s_cbranch_execz .LBB159_85
; %bb.84:                               ;   in Loop: Header=BB159_11 Depth=1
	s_cmp_eq_u32 s66, 0
	s_cselect_b32 s19, -1, 1
	v_mov_b32_e32 v2, s19
	global_store_dword v15, v2, s[12:13]
.LBB159_85:                             ;   in Loop: Header=BB159_11 Depth=1
	s_or_b64 exec, exec, s[4:5]
	s_add_i32 s78, s28, 1
	s_mul_i32 s68, s62, s77
	s_sub_i32 s76, 1, s66
	s_ashr_i32 s69, s68, 31
	s_sub_i32 s70, s66, s76
	s_lshl_b32 s12, s78, 1
	s_and_b64 s[4:5], s[26:27], exec
	s_cselect_b32 s29, s12, 0
	s_and_saveexec_b64 s[72:73], s[16:17]
	s_cbranch_execz .LBB159_158
; %bb.86:                               ;   in Loop: Header=BB159_11 Depth=1
	s_cmp_lg_u32 s66, 0
	s_cselect_b64 s[74:75], -1, 0
	s_and_b64 s[4:5], s[74:75], exec
	s_cselect_b32 s84, 0, s28
	s_ashr_i32 s85, s84, 31
	s_lshl_b64 s[4:5], s[84:85], 2
	s_add_u32 s14, s14, s4
	s_addc_u32 s15, s15, s5
	global_load_dword v2, v15, s[14:15]
	v_mov_b32_e32 v3, 0
	s_waitcnt vmcnt(0)
	v_cmp_eq_f32_e32 vcc, 0, v2
	s_cbranch_vccnz .LBB159_88
; %bb.87:                               ;   in Loop: Header=BB159_11 Depth=1
	ds_read_b32 v3, v15 offset:1032
	v_cmp_lt_f32_e32 vcc, 0, v2
	v_cndmask_b32_e64 v4, 0, 1, vcc
	v_cmp_gt_f32_e32 vcc, 0, v2
	v_subbrev_co_u32_e32 v4, vcc, 0, v4, vcc
	s_waitcnt lgkmcnt(0)
	v_div_scale_f32 v5, s[4:5], v2, v2, v3
	v_rcp_f32_e32 v6, v5
	v_cvt_f32_i32_e32 v4, v4
	v_sub_f32_e64 v7, |v2|, v3
	v_fma_f32 v8, -v5, v6, 1.0
	v_fmac_f32_e32 v6, v8, v6
	v_div_scale_f32 v8, vcc, v3, v2, v3
	v_mul_f32_e32 v9, v8, v6
	v_fma_f32 v10, -v5, v9, v8
	v_fmac_f32_e32 v9, v10, v6
	v_fma_f32 v5, -v5, v9, v8
	v_div_fmas_f32 v5, v5, v6, v9
	v_div_fixup_f32 v3, v5, v2, v3
	v_add_f32_e32 v3, v3, v4
	v_mul_f32_e32 v3, v7, v3
.LBB159_88:                             ;   in Loop: Header=BB159_11 Depth=1
	s_cmp_gt_i32 s28, 0
	s_cbranch_scc1 .LBB159_90
; %bb.89:                               ;   in Loop: Header=BB159_11 Depth=1
	s_add_i32 s61, s28, -1
	s_cbranch_execz .LBB159_91
	s_branch .LBB159_157
.LBB159_90:                             ;   in Loop: Header=BB159_11 Depth=1
                                        ; implicit-def: $sgpr61
.LBB159_91:                             ;   in Loop: Header=BB159_11 Depth=1
	s_ashr_i32 s67, s66, 31
	s_sub_u32 s12, 0, s66
	s_subb_u32 s13, 0, s67
	s_add_u32 s80, s84, s66
	s_addc_u32 s81, s85, s67
	s_lshl_b64 s[82:83], s[80:81], 2
	s_add_u32 s86, s9, s82
	s_addc_u32 s87, s10, s83
	global_load_dword v4, v15, s[86:87] offset:-4
	v_writelane_b32 v38, s88, 19
	v_writelane_b32 v38, s89, 20
	v_mov_b32_e32 v5, 0
	v_writelane_b32 v38, s90, 21
	v_writelane_b32 v38, s91, 22
	s_waitcnt vmcnt(0)
	v_cmp_eq_f32_e32 vcc, 0, v4
	s_cbranch_vccnz .LBB159_95
; %bb.92:                               ;   in Loop: Header=BB159_11 Depth=1
	v_cmp_eq_f32_e32 vcc, 0, v3
	v_mov_b32_e32 v6, 0
	s_cbranch_vccnz .LBB159_96
; %bb.93:                               ;   in Loop: Header=BB159_11 Depth=1
	v_cmp_gt_f32_e64 s[4:5], |v4|, |v3|
	s_and_b64 vcc, exec, s[4:5]
	s_cbranch_vccnz .LBB159_97
; %bb.94:                               ;   in Loop: Header=BB159_11 Depth=1
	v_div_scale_f32 v5, s[4:5], v3, v3, -v4
	v_rcp_f32_e32 v6, v5
	v_div_scale_f32 v7, vcc, -v4, v3, -v4
	v_fma_f32 v8, -v5, v6, 1.0
	v_fmac_f32_e32 v6, v8, v6
	v_mul_f32_e32 v8, v7, v6
	v_fma_f32 v9, -v5, v8, v7
	v_fmac_f32_e32 v8, v9, v6
	v_fma_f32 v5, -v5, v8, v7
	v_div_fmas_f32 v5, v5, v6, v8
	v_div_fixup_f32 v5, v5, v3, -v4
	v_fma_f32 v6, v5, v5, 1.0
	v_mul_f32_e32 v7, 0x4f800000, v6
	v_cmp_gt_f32_e32 vcc, s11, v6
	v_cndmask_b32_e32 v6, v6, v7, vcc
	v_sqrt_f32_e32 v7, v6
	v_add_u32_e32 v8, -1, v7
	v_fma_f32 v9, -v8, v7, v6
	v_cmp_ge_f32_e64 s[4:5], 0, v9
	v_add_u32_e32 v9, 1, v7
	v_cndmask_b32_e64 v8, v7, v8, s[4:5]
	v_fma_f32 v7, -v9, v7, v6
	v_cmp_lt_f32_e64 s[4:5], 0, v7
	v_cndmask_b32_e64 v7, v8, v9, s[4:5]
	v_mul_f32_e32 v8, 0x37800000, v7
	v_cndmask_b32_e32 v7, v7, v8, vcc
	v_cmp_class_f32_e32 vcc, v6, v24
	v_cndmask_b32_e32 v6, v7, v6, vcc
	v_div_scale_f32 v7, s[4:5], v6, v6, 1.0
	v_rcp_f32_e32 v8, v7
	s_mov_b64 s[4:5], 0
	v_fma_f32 v9, -v7, v8, 1.0
	v_fmac_f32_e32 v8, v9, v8
	v_div_scale_f32 v9, vcc, 1.0, v6, 1.0
	v_mul_f32_e32 v10, v9, v8
	v_fma_f32 v11, -v7, v10, v9
	v_fmac_f32_e32 v10, v11, v8
	v_fma_f32 v7, -v7, v10, v9
	v_div_fmas_f32 v7, v7, v8, v10
	v_div_fixup_f32 v6, v7, v6, 1.0
	v_mul_f32_e32 v5, v5, v6
	s_branch .LBB159_98
.LBB159_95:                             ;   in Loop: Header=BB159_11 Depth=1
	v_mov_b32_e32 v6, 1.0
	s_branch .LBB159_100
.LBB159_96:                             ;   in Loop: Header=BB159_11 Depth=1
	v_mov_b32_e32 v5, 1.0
	s_branch .LBB159_100
.LBB159_97:                             ;   in Loop: Header=BB159_11 Depth=1
	s_mov_b64 s[4:5], -1
                                        ; implicit-def: $vgpr6
                                        ; implicit-def: $vgpr5
.LBB159_98:                             ;   in Loop: Header=BB159_11 Depth=1
	s_andn2_b64 vcc, exec, s[4:5]
	s_cbranch_vccnz .LBB159_100
; %bb.99:                               ;   in Loop: Header=BB159_11 Depth=1
	v_div_scale_f32 v5, s[4:5], v4, v4, -v3
	v_rcp_f32_e32 v6, v5
	v_div_scale_f32 v7, vcc, -v3, v4, -v3
	v_fma_f32 v8, -v5, v6, 1.0
	v_fmac_f32_e32 v6, v8, v6
	v_mul_f32_e32 v8, v7, v6
	v_fma_f32 v9, -v5, v8, v7
	v_fmac_f32_e32 v8, v9, v6
	v_fma_f32 v5, -v5, v8, v7
	v_div_fmas_f32 v5, v5, v6, v8
	v_div_fixup_f32 v3, v5, v4, -v3
	v_fma_f32 v5, v3, v3, 1.0
	v_mul_f32_e32 v6, 0x4f800000, v5
	v_cmp_gt_f32_e32 vcc, s11, v5
	v_cndmask_b32_e32 v5, v5, v6, vcc
	v_sqrt_f32_e32 v6, v5
	v_add_u32_e32 v7, -1, v6
	v_fma_f32 v8, -v7, v6, v5
	v_cmp_ge_f32_e64 s[4:5], 0, v8
	v_add_u32_e32 v8, 1, v6
	v_cndmask_b32_e64 v7, v6, v7, s[4:5]
	v_fma_f32 v6, -v8, v6, v5
	v_cmp_lt_f32_e64 s[4:5], 0, v6
	v_cndmask_b32_e64 v6, v7, v8, s[4:5]
	v_mul_f32_e32 v7, 0x37800000, v6
	v_cndmask_b32_e32 v6, v6, v7, vcc
	v_cmp_class_f32_e32 vcc, v5, v24
	v_cndmask_b32_e32 v5, v6, v5, vcc
	v_div_scale_f32 v6, s[4:5], v5, v5, 1.0
	v_rcp_f32_e32 v7, v6
	v_fma_f32 v8, -v6, v7, 1.0
	v_fmac_f32_e32 v7, v8, v7
	v_div_scale_f32 v8, vcc, 1.0, v5, 1.0
	v_mul_f32_e32 v9, v8, v7
	v_fma_f32 v10, -v6, v9, v8
	v_fmac_f32_e32 v9, v10, v7
	v_fma_f32 v6, -v6, v9, v8
	v_div_fmas_f32 v6, v6, v7, v9
	v_div_fixup_f32 v5, v6, v5, 1.0
	v_mul_f32_e32 v6, v3, v5
.LBB159_100:                            ;   in Loop: Header=BB159_11 Depth=1
	s_lshl_b64 s[88:89], s[68:69], 2
	s_and_b64 s[4:5], s[26:27], s[74:75]
	s_add_u32 s19, s46, s88
	s_addc_u32 s24, s47, s89
	s_add_u32 s19, s19, 16
	s_addc_u32 s24, s24, 0
	s_sub_u32 s90, s66, s12
	s_subb_u32 s91, s67, s13
	v_mul_f32_e32 v3, v4, v6
	s_lshl_b64 s[12:13], s[90:91], 2
	v_fmac_f32_e32 v3, v2, v5
	s_add_u32 s94, s14, s12
	global_store_dword v15, v3, s[86:87] offset:-4
	s_addc_u32 s95, s15, s13
	global_load_dword v7, v15, s[94:95] offset:-4
	v_cndmask_b32_e64 v3, 0, 1, s[4:5]
	v_writelane_b32 v38, s92, 23
	v_cmp_ne_u32_e64 s[12:13], 1, v3
	s_andn2_b64 vcc, exec, s[4:5]
	v_writelane_b32 v38, s93, 24
	s_waitcnt vmcnt(0)
	v_mul_f32_e32 v3, v6, v7
	global_store_dword v15, v3, s[94:95] offset:-4
	s_cbranch_vccnz .LBB159_102
; %bb.101:                              ;   in Loop: Header=BB159_11 Depth=1
	s_add_u32 s4, s19, s82
	s_addc_u32 s5, s24, s83
	s_ashr_i32 s79, s78, 31
	s_lshl_b64 s[30:31], s[78:79], 2
	s_add_u32 s30, s4, s30
	s_addc_u32 s31, s5, s31
	global_store_dword v15, v6, s[4:5] offset:-4
	global_store_dword v15, v5, s[30:31] offset:-4
.LBB159_102:                            ;   in Loop: Header=BB159_11 Depth=1
	s_cmp_lg_u32 s66, 1
	s_cselect_b64 s[30:31], -1, 0
	s_cmp_eq_u32 s66, 1
	v_readlane_b32 s48, v38, 2
	s_cselect_b64 s[4:5], -1, 0
	v_readlane_b32 s49, v38, 3
	s_or_b64 s[92:93], s[48:49], s[4:5]
	s_and_b64 vcc, exec, s[92:93]
	s_cbranch_vccnz .LBB159_104
; %bb.103:                              ;   in Loop: Header=BB159_11 Depth=1
	s_ashr_i32 s5, s29, 31
	s_add_u32 s4, s80, s29
	s_addc_u32 s5, s81, s5
	s_lshl_b64 s[4:5], s[4:5], 2
	s_add_u32 s4, s19, s4
	s_addc_u32 s5, s24, s5
	s_ashr_i32 s79, s78, 31
	s_lshl_b64 s[48:49], s[78:79], 2
	s_add_u32 s48, s4, s48
	s_addc_u32 s49, s5, s49
	global_store_dword v15, v6, s[4:5] offset:-4
	global_store_dword v15, v5, s[48:49] offset:-4
.LBB159_104:                            ;   in Loop: Header=BB159_11 Depth=1
	v_mul_f32_e32 v3, v4, v5
	v_fma_f32 v3, v2, v6, -v3
	v_mul_f32_e64 v2, v7, -v5
	v_cmp_eq_f32_e32 vcc, 0, v2
	v_mov_b32_e32 v5, 0
	s_cbranch_vccnz .LBB159_108
; %bb.105:                              ;   in Loop: Header=BB159_11 Depth=1
	v_cmp_eq_f32_e32 vcc, 0, v3
	s_cbranch_vccnz .LBB159_109
; %bb.106:                              ;   in Loop: Header=BB159_11 Depth=1
	v_cmp_gt_f32_e64 s[4:5], |v2|, |v3|
	s_and_b64 vcc, exec, s[4:5]
	s_cbranch_vccnz .LBB159_110
; %bb.107:                              ;   in Loop: Header=BB159_11 Depth=1
	v_div_scale_f32 v4, s[4:5], v3, v3, -v2
	v_rcp_f32_e32 v5, v4
	v_div_scale_f32 v6, vcc, -v2, v3, -v2
	v_fma_f32 v7, -v4, v5, 1.0
	v_fmac_f32_e32 v5, v7, v5
	v_mul_f32_e32 v7, v6, v5
	v_fma_f32 v8, -v4, v7, v6
	v_fmac_f32_e32 v7, v8, v5
	v_fma_f32 v4, -v4, v7, v6
	v_div_fmas_f32 v4, v4, v5, v7
	v_div_fixup_f32 v5, v4, v3, -v2
	v_fma_f32 v4, v5, v5, 1.0
	v_mul_f32_e32 v6, 0x4f800000, v4
	v_cmp_gt_f32_e32 vcc, s11, v4
	v_cndmask_b32_e32 v4, v4, v6, vcc
	v_sqrt_f32_e32 v6, v4
	v_add_u32_e32 v7, -1, v6
	v_fma_f32 v9, -v7, v6, v4
	v_add_u32_e32 v8, 1, v6
	v_cmp_ge_f32_e64 s[4:5], 0, v9
	v_cndmask_b32_e64 v7, v6, v7, s[4:5]
	v_fma_f32 v6, -v8, v6, v4
	v_cmp_lt_f32_e64 s[4:5], 0, v6
	v_cndmask_b32_e64 v6, v7, v8, s[4:5]
	v_mul_f32_e32 v7, 0x37800000, v6
	v_cndmask_b32_e32 v6, v6, v7, vcc
	v_cmp_class_f32_e32 vcc, v4, v24
	v_cndmask_b32_e32 v4, v6, v4, vcc
	v_div_scale_f32 v6, s[4:5], v4, v4, 1.0
	v_rcp_f32_e32 v7, v6
	s_mov_b64 s[4:5], 0
	v_fma_f32 v8, -v6, v7, 1.0
	v_fmac_f32_e32 v7, v8, v7
	v_div_scale_f32 v8, vcc, 1.0, v4, 1.0
	v_mul_f32_e32 v9, v8, v7
	v_fma_f32 v10, -v6, v9, v8
	v_fmac_f32_e32 v9, v10, v7
	v_fma_f32 v6, -v6, v9, v8
	v_div_fmas_f32 v6, v6, v7, v9
	v_div_fixup_f32 v4, v6, v4, 1.0
	v_mul_f32_e32 v5, v5, v4
	s_branch .LBB159_111
.LBB159_108:                            ;   in Loop: Header=BB159_11 Depth=1
	v_mov_b32_e32 v4, 1.0
	s_branch .LBB159_115
.LBB159_109:                            ;   in Loop: Header=BB159_11 Depth=1
                                        ; implicit-def: $vgpr3
                                        ; implicit-def: $vgpr4
                                        ; implicit-def: $vgpr5
	s_cbranch_execnz .LBB159_114
	s_branch .LBB159_115
.LBB159_110:                            ;   in Loop: Header=BB159_11 Depth=1
	s_mov_b64 s[4:5], -1
                                        ; implicit-def: $vgpr4
                                        ; implicit-def: $vgpr5
.LBB159_111:                            ;   in Loop: Header=BB159_11 Depth=1
	s_andn2_b64 vcc, exec, s[4:5]
	s_cbranch_vccnz .LBB159_113
; %bb.112:                              ;   in Loop: Header=BB159_11 Depth=1
	v_div_scale_f32 v4, s[4:5], v2, v2, -v3
	v_rcp_f32_e32 v5, v4
	v_div_scale_f32 v6, vcc, -v3, v2, -v3
	v_fma_f32 v7, -v4, v5, 1.0
	v_fmac_f32_e32 v5, v7, v5
	v_mul_f32_e32 v7, v6, v5
	v_fma_f32 v8, -v4, v7, v6
	v_fmac_f32_e32 v7, v8, v5
	v_fma_f32 v4, -v4, v7, v6
	v_div_fmas_f32 v4, v4, v5, v7
	v_div_fixup_f32 v4, v4, v2, -v3
	v_fma_f32 v5, v4, v4, 1.0
	v_mul_f32_e32 v6, 0x4f800000, v5
	v_cmp_gt_f32_e32 vcc, s11, v5
	v_cndmask_b32_e32 v5, v5, v6, vcc
	v_sqrt_f32_e32 v6, v5
	v_add_u32_e32 v7, -1, v6
	v_fma_f32 v9, -v7, v6, v5
	v_add_u32_e32 v8, 1, v6
	v_cmp_ge_f32_e64 s[4:5], 0, v9
	v_cndmask_b32_e64 v7, v6, v7, s[4:5]
	v_fma_f32 v6, -v8, v6, v5
	v_cmp_lt_f32_e64 s[4:5], 0, v6
	v_cndmask_b32_e64 v6, v7, v8, s[4:5]
	v_mul_f32_e32 v7, 0x37800000, v6
	v_cndmask_b32_e32 v6, v6, v7, vcc
	v_cmp_class_f32_e32 vcc, v5, v24
	v_cndmask_b32_e32 v5, v6, v5, vcc
	v_div_scale_f32 v6, s[4:5], v5, v5, 1.0
	v_rcp_f32_e32 v7, v6
	v_fma_f32 v8, -v6, v7, 1.0
	v_fmac_f32_e32 v7, v8, v7
	v_div_scale_f32 v8, vcc, 1.0, v5, 1.0
	v_mul_f32_e32 v9, v8, v7
	v_fma_f32 v10, -v6, v9, v8
	v_fmac_f32_e32 v9, v10, v7
	v_fma_f32 v6, -v6, v9, v8
	v_div_fmas_f32 v6, v6, v7, v9
	v_div_fixup_f32 v5, v6, v5, 1.0
	v_mul_f32_e32 v4, v4, v5
.LBB159_113:                            ;   in Loop: Header=BB159_11 Depth=1
	v_mul_f32_e32 v6, v2, v5
	v_fma_f32 v3, v3, v4, -v6
	s_branch .LBB159_115
.LBB159_114:                            ;   in Loop: Header=BB159_11 Depth=1
	v_xor_b32_e32 v3, 0x80000000, v2
	v_mov_b32_e32 v4, 0
	v_mov_b32_e32 v5, 1.0
.LBB159_115:                            ;   in Loop: Header=BB159_11 Depth=1
	global_store_dword v15, v3, s[14:15]
	global_load_dword v6, v15, s[94:95] offset:-4
	s_nop 0
	global_load_dword v3, v15, s[86:87] offset:-4
	s_cmp_eq_u32 s78, 2
	s_waitcnt vmcnt(1)
	v_mul_f32_e32 v7, v4, v6
	s_waitcnt vmcnt(0)
	v_fmac_f32_e32 v7, v5, v3
	global_store_dword v15, v7, s[94:95] offset:-4
	s_cbranch_scc1 .LBB159_117
; %bb.116:                              ;   in Loop: Header=BB159_11 Depth=1
	s_ashr_i32 s71, s70, 31
	s_lshl_b64 s[4:5], s[70:71], 2
	s_add_u32 s4, s86, s4
	s_addc_u32 s5, s87, s5
	global_load_dword v7, v15, s[4:5] offset:-4
	s_waitcnt vmcnt(0)
	v_mul_f32_e64 v2, v7, -v5
	v_mul_f32_e32 v7, v4, v7
	global_store_dword v15, v7, s[4:5] offset:-4
.LBB159_117:                            ;   in Loop: Header=BB159_11 Depth=1
	s_and_b64 s[4:5], s[26:27], s[30:31]
	v_cndmask_b32_e64 v7, 0, 1, s[4:5]
	v_cmp_ne_u32_e64 s[14:15], 1, v7
	s_andn2_b64 vcc, exec, s[4:5]
	s_cbranch_vccnz .LBB159_119
; %bb.118:                              ;   in Loop: Header=BB159_11 Depth=1
	s_add_u32 s4, s19, s82
	s_addc_u32 s5, s24, s83
	s_ashr_i32 s79, s78, 31
	s_lshl_b64 s[30:31], s[78:79], 2
	s_add_u32 s30, s4, s30
	s_addc_u32 s31, s5, s31
	global_store_dword v15, v4, s[4:5] offset:-4
	global_store_dword v15, v5, s[30:31] offset:-4
.LBB159_119:                            ;   in Loop: Header=BB159_11 Depth=1
	v_readlane_b32 s30, v38, 2
	s_xor_b64 s[4:5], s[74:75], -1
	v_readlane_b32 s31, v38, 3
	s_or_b64 s[4:5], s[30:31], s[4:5]
	s_and_b64 vcc, exec, s[4:5]
	s_cbranch_vccnz .LBB159_121
; %bb.120:                              ;   in Loop: Header=BB159_11 Depth=1
	s_ashr_i32 s25, s29, 31
	s_add_u32 s30, s80, s29
	s_addc_u32 s31, s81, s25
	s_lshl_b64 s[30:31], s[30:31], 2
	s_add_u32 s30, s19, s30
	s_addc_u32 s31, s24, s31
	s_ashr_i32 s79, s78, 31
	s_lshl_b64 s[24:25], s[78:79], 2
	s_add_u32 s24, s30, s24
	s_addc_u32 s25, s31, s25
	global_store_dword v15, v4, s[30:31] offset:-4
	global_store_dword v15, v5, s[24:25] offset:-4
.LBB159_121:                            ;   in Loop: Header=BB159_11 Depth=1
	v_mul_f32_e32 v5, v5, v6
	v_fma_f32 v3, v4, v3, -v5
	s_cmp_eq_u32 s28, 1
	s_mov_b32 s61, 0
	s_cbranch_scc1 .LBB159_154
; %bb.122:                              ;   in Loop: Header=BB159_11 Depth=1
	s_xor_b64 s[80:81], s[92:93], -1
	s_xor_b64 s[82:83], s[4:5], -1
	s_add_i32 s4, s84, s70
	s_add_i32 s61, s28, -1
	s_sub_i32 s30, s84, s76
	s_ashr_i32 s19, s29, 31
	s_ashr_i32 s79, s78, 31
	s_lshl_b64 s[48:49], s[66:67], 3
	s_add_u32 s53, s48, s64
	s_addc_u32 s54, s49, s65
	s_ashr_i32 s5, s4, 31
	s_lshl_b64 s[4:5], s[4:5], 2
	v_writelane_b32 v38, s77, 25
	s_add_u32 s24, s53, s4
	s_addc_u32 s25, s54, s5
	v_readlane_b32 s31, v38, 10
	s_add_u32 s67, s31, s24
	v_readlane_b32 s24, v38, 11
	s_addc_u32 s71, s24, s25
	s_lshl_b32 s24, s66, 1
	s_add_i32 s24, s24, -2
	s_ashr_i32 s25, s24, 31
	s_lshl_b64 s[84:85], s[24:25], 2
	s_or_b32 s84, s84, 4
	s_add_u32 s4, s64, s4
	s_addc_u32 s5, s65, s5
	s_add_u32 s93, s22, s4
	s_addc_u32 s94, s33, s5
	;; [unrolled: 2-line block ×3, first 2 shown]
	s_ashr_i32 s31, s30, 31
	s_add_u32 s4, s4, s30
	s_addc_u32 s5, s5, s31
	s_lshl_b64 s[4:5], s[4:5], 2
	s_add_u32 s19, s4, s88
	s_addc_u32 s24, s5, s89
	s_lshl_b64 s[4:5], s[78:79], 2
	s_add_u32 s25, s19, s4
	s_addc_u32 s52, s24, s5
	v_readlane_b32 s55, v38, 13
	s_add_u32 s90, s55, s25
	v_readlane_b32 s77, v38, 14
	s_addc_u32 s91, s77, s52
	s_add_u32 s95, s55, s19
	s_addc_u32 s24, s77, s24
	s_add_u32 s19, s48, s88
	s_addc_u32 s25, s49, s89
	s_lshl_b64 s[78:79], s[30:31], 2
	s_add_u32 s19, s19, s78
	s_addc_u32 s48, s25, s79
	s_add_u32 s4, s19, s4
	s_addc_u32 s5, s48, s5
	;; [unrolled: 2-line block ×4, first 2 shown]
	v_readlane_b32 s4, v38, 0
	v_readlane_b32 s5, v38, 1
	s_add_u32 s4, s4, s62
	s_addc_u32 s5, s5, s63
	s_add_u32 s4, s4, s30
	s_addc_u32 s5, s5, s31
	s_mul_i32 s49, s66, 12
	s_lshl_b64 s[4:5], s[4:5], 2
	s_mul_hi_i32 s19, s66, 12
	s_add_u32 s30, s49, s4
	s_addc_u32 s19, s19, s5
	s_ashr_i32 s77, s76, 31
	s_lshl_b64 s[4:5], s[76:77], 2
	s_sub_u32 s4, s30, s4
	s_subb_u32 s5, s19, s5
	v_readlane_b32 s19, v38, 15
	s_add_u32 s49, s19, s4
	v_readlane_b32 s4, v38, 17
	s_addc_u32 s52, s4, s5
	s_add_u32 s4, s53, s78
	s_addc_u32 s5, s54, s79
	v_readlane_b32 s19, v38, 16
	s_add_u32 s53, s19, s4
	v_readlane_b32 s4, v38, 18
	s_addc_u32 s54, s4, s5
	s_add_u32 s4, s64, s78
	s_addc_u32 s5, s65, s79
	s_add_u32 s55, s38, s4
	s_mov_b32 s92, 1
	s_addc_u32 s19, s40, s5
	s_mov_b64 s[76:77], 0
	s_branch .LBB159_124
.LBB159_123:                            ;   in Loop: Header=BB159_124 Depth=2
	s_add_i32 s92, s92, 1
	s_add_u32 s76, s76, s84
	v_mul_f32_e32 v5, v5, v6
	s_addc_u32 s77, s77, s85
	s_cmp_eq_u32 s28, s92
	v_fma_f32 v3, v4, v3, -v5
	s_cbranch_scc1 .LBB159_155
.LBB159_124:                            ;   Parent Loop BB159_11 Depth=1
                                        ; =>  This Inner Loop Header: Depth=2
	v_cmp_eq_f32_e32 vcc, 0, v2
	v_mov_b32_e32 v4, 0
	s_cbranch_vccnz .LBB159_128
; %bb.125:                              ;   in Loop: Header=BB159_124 Depth=2
	v_cmp_neq_f32_e32 vcc, 0, v3
	s_cbranch_vccz .LBB159_129
; %bb.126:                              ;   in Loop: Header=BB159_124 Depth=2
	v_cmp_ngt_f32_e64 s[4:5], |v2|, |v3|
	s_and_b64 vcc, exec, s[4:5]
	s_cbranch_vccz .LBB159_130
; %bb.127:                              ;   in Loop: Header=BB159_124 Depth=2
	v_div_scale_f32 v4, s[4:5], v3, v3, -v2
	v_rcp_f32_e32 v5, v4
	v_div_scale_f32 v6, vcc, -v2, v3, -v2
	v_fma_f32 v7, -v4, v5, 1.0
	v_fmac_f32_e32 v5, v7, v5
	v_mul_f32_e32 v7, v6, v5
	v_fma_f32 v8, -v4, v7, v6
	v_fmac_f32_e32 v7, v8, v5
	v_fma_f32 v4, -v4, v7, v6
	v_div_fmas_f32 v4, v4, v5, v7
	v_div_fixup_f32 v4, v4, v3, -v2
	v_fma_f32 v5, v4, v4, 1.0
	v_mul_f32_e32 v6, 0x4f800000, v5
	v_cmp_gt_f32_e32 vcc, s11, v5
	v_cndmask_b32_e32 v5, v5, v6, vcc
	v_sqrt_f32_e32 v6, v5
	v_add_u32_e32 v7, -1, v6
	v_fma_f32 v9, -v7, v6, v5
	v_add_u32_e32 v8, 1, v6
	v_cmp_ge_f32_e64 s[4:5], 0, v9
	v_cndmask_b32_e64 v7, v6, v7, s[4:5]
	v_fma_f32 v6, -v8, v6, v5
	v_cmp_lt_f32_e64 s[4:5], 0, v6
	v_cndmask_b32_e64 v6, v7, v8, s[4:5]
	v_mul_f32_e32 v7, 0x37800000, v6
	v_cndmask_b32_e32 v6, v6, v7, vcc
	v_cmp_class_f32_e32 vcc, v5, v24
	v_cndmask_b32_e32 v5, v6, v5, vcc
	v_div_scale_f32 v6, s[4:5], v5, v5, 1.0
	v_rcp_f32_e32 v7, v6
	v_fma_f32 v8, -v6, v7, 1.0
	v_fmac_f32_e32 v7, v8, v7
	v_div_scale_f32 v8, vcc, 1.0, v5, 1.0
	v_mul_f32_e32 v9, v8, v7
	v_fma_f32 v10, -v6, v9, v8
	v_fmac_f32_e32 v9, v10, v7
	v_fma_f32 v6, -v6, v9, v8
	v_div_fmas_f32 v6, v6, v7, v9
	v_div_fixup_f32 v5, v6, v5, 1.0
	v_mul_f32_e32 v4, v4, v5
	s_cbranch_execz .LBB159_131
	s_branch .LBB159_132
.LBB159_128:                            ;   in Loop: Header=BB159_124 Depth=2
	v_mov_b32_e32 v5, 1.0
	s_branch .LBB159_134
.LBB159_129:                            ;   in Loop: Header=BB159_124 Depth=2
                                        ; implicit-def: $vgpr3
                                        ; implicit-def: $vgpr5
                                        ; implicit-def: $vgpr4
	s_cbranch_execnz .LBB159_133
	s_branch .LBB159_134
.LBB159_130:                            ;   in Loop: Header=BB159_124 Depth=2
                                        ; implicit-def: $vgpr5
                                        ; implicit-def: $vgpr4
.LBB159_131:                            ;   in Loop: Header=BB159_124 Depth=2
	v_div_scale_f32 v4, s[4:5], v2, v2, -v3
	v_rcp_f32_e32 v5, v4
	v_div_scale_f32 v6, vcc, -v3, v2, -v3
	v_fma_f32 v7, -v4, v5, 1.0
	v_fmac_f32_e32 v5, v7, v5
	v_mul_f32_e32 v7, v6, v5
	v_fma_f32 v8, -v4, v7, v6
	v_fmac_f32_e32 v7, v8, v5
	v_fma_f32 v4, -v4, v7, v6
	v_div_fmas_f32 v4, v4, v5, v7
	v_div_fixup_f32 v5, v4, v2, -v3
	v_fma_f32 v4, v5, v5, 1.0
	v_mul_f32_e32 v6, 0x4f800000, v4
	v_cmp_gt_f32_e32 vcc, s11, v4
	v_cndmask_b32_e32 v4, v4, v6, vcc
	v_sqrt_f32_e32 v6, v4
	v_add_u32_e32 v7, -1, v6
	v_fma_f32 v9, -v7, v6, v4
	v_add_u32_e32 v8, 1, v6
	v_cmp_ge_f32_e64 s[4:5], 0, v9
	v_cndmask_b32_e64 v7, v6, v7, s[4:5]
	v_fma_f32 v6, -v8, v6, v4
	v_cmp_lt_f32_e64 s[4:5], 0, v6
	v_cndmask_b32_e64 v6, v7, v8, s[4:5]
	v_mul_f32_e32 v7, 0x37800000, v6
	v_cndmask_b32_e32 v6, v6, v7, vcc
	v_cmp_class_f32_e32 vcc, v4, v24
	v_cndmask_b32_e32 v4, v6, v4, vcc
	v_div_scale_f32 v6, s[4:5], v4, v4, 1.0
	v_rcp_f32_e32 v7, v6
	v_fma_f32 v8, -v6, v7, 1.0
	v_fmac_f32_e32 v7, v8, v7
	v_div_scale_f32 v8, vcc, 1.0, v4, 1.0
	v_mul_f32_e32 v9, v8, v7
	v_fma_f32 v10, -v6, v9, v8
	v_fmac_f32_e32 v9, v10, v7
	v_fma_f32 v6, -v6, v9, v8
	v_div_fmas_f32 v6, v6, v7, v9
	v_div_fixup_f32 v4, v6, v4, 1.0
	v_mul_f32_e32 v5, v5, v4
.LBB159_132:                            ;   in Loop: Header=BB159_124 Depth=2
	v_mul_f32_e32 v6, v2, v4
	v_fma_f32 v3, v3, v5, -v6
	s_branch .LBB159_134
.LBB159_133:                            ;   in Loop: Header=BB159_124 Depth=2
	v_xor_b32_e32 v3, 0x80000000, v2
	v_mov_b32_e32 v5, 0
	v_mov_b32_e32 v4, 1.0
.LBB159_134:                            ;   in Loop: Header=BB159_124 Depth=2
	s_add_u32 s4, s55, s76
	s_addc_u32 s5, s19, s77
	s_add_u32 s78, s93, s76
	s_addc_u32 s79, s94, s77
	s_add_u32 s30, s53, s76
	global_store_dword v15, v3, s[4:5]
	s_addc_u32 s31, s54, s77
	global_load_dword v3, v15, s[30:31]
	global_load_dword v2, v15, s[78:79]
	s_add_u32 s86, s67, s76
	s_addc_u32 s87, s71, s77
	s_and_b64 vcc, exec, s[12:13]
	s_waitcnt vmcnt(1)
	v_mul_f32_e32 v6, v5, v3
	s_waitcnt vmcnt(0)
	v_fmac_f32_e32 v6, v4, v2
	global_store_dword v15, v6, s[30:31]
	global_load_dword v6, v15, s[86:87]
	s_waitcnt vmcnt(0)
	v_mul_f32_e32 v7, v5, v6
	global_store_dword v15, v7, s[86:87]
	s_cbranch_vccnz .LBB159_136
; %bb.135:                              ;   in Loop: Header=BB159_124 Depth=2
	s_add_u32 s4, s89, s76
	s_addc_u32 s5, s48, s77
	s_add_u32 vcc_lo, s25, s76
	s_addc_u32 vcc_hi, s88, s77
	global_store_dword v15, v5, s[4:5]
	global_store_dword v15, v4, vcc
.LBB159_136:                            ;   in Loop: Header=BB159_124 Depth=2
	s_andn2_b64 vcc, exec, s[80:81]
	s_cbranch_vccnz .LBB159_138
; %bb.137:                              ;   in Loop: Header=BB159_124 Depth=2
	s_add_u32 s4, s95, s76
	s_addc_u32 s5, s24, s77
	s_add_u32 vcc_lo, s90, s76
	s_addc_u32 vcc_hi, s91, s77
	global_store_dword v15, v5, s[4:5]
	global_store_dword v15, v4, vcc
.LBB159_138:                            ;   in Loop: Header=BB159_124 Depth=2
	v_mul_f32_e32 v3, v4, v3
	v_fma_f32 v3, v5, v2, -v3
	v_mul_f32_e64 v2, v6, -v4
	v_cmp_eq_f32_e32 vcc, 0, v2
	v_mov_b32_e32 v5, 0
	s_cbranch_vccnz .LBB159_142
; %bb.139:                              ;   in Loop: Header=BB159_124 Depth=2
	v_cmp_neq_f32_e32 vcc, 0, v3
	s_cbranch_vccz .LBB159_143
; %bb.140:                              ;   in Loop: Header=BB159_124 Depth=2
	v_cmp_ngt_f32_e64 s[4:5], |v2|, |v3|
	s_and_b64 vcc, exec, s[4:5]
	s_cbranch_vccz .LBB159_144
; %bb.141:                              ;   in Loop: Header=BB159_124 Depth=2
	v_div_scale_f32 v4, s[4:5], v3, v3, -v2
	v_rcp_f32_e32 v5, v4
	v_div_scale_f32 v6, vcc, -v2, v3, -v2
	v_fma_f32 v7, -v4, v5, 1.0
	v_fmac_f32_e32 v5, v7, v5
	v_mul_f32_e32 v7, v6, v5
	v_fma_f32 v8, -v4, v7, v6
	v_fmac_f32_e32 v7, v8, v5
	v_fma_f32 v4, -v4, v7, v6
	v_div_fmas_f32 v4, v4, v5, v7
	v_div_fixup_f32 v5, v4, v3, -v2
	v_fma_f32 v4, v5, v5, 1.0
	v_mul_f32_e32 v6, 0x4f800000, v4
	v_cmp_gt_f32_e32 vcc, s11, v4
	v_cndmask_b32_e32 v4, v4, v6, vcc
	v_sqrt_f32_e32 v6, v4
	v_add_u32_e32 v7, -1, v6
	v_fma_f32 v9, -v7, v6, v4
	v_add_u32_e32 v8, 1, v6
	v_cmp_ge_f32_e64 s[4:5], 0, v9
	v_cndmask_b32_e64 v7, v6, v7, s[4:5]
	v_fma_f32 v6, -v8, v6, v4
	v_cmp_lt_f32_e64 s[4:5], 0, v6
	v_cndmask_b32_e64 v6, v7, v8, s[4:5]
	v_mul_f32_e32 v7, 0x37800000, v6
	v_cndmask_b32_e32 v6, v6, v7, vcc
	v_cmp_class_f32_e32 vcc, v4, v24
	v_cndmask_b32_e32 v4, v6, v4, vcc
	v_div_scale_f32 v6, s[4:5], v4, v4, 1.0
	v_rcp_f32_e32 v7, v6
	v_fma_f32 v8, -v6, v7, 1.0
	v_fmac_f32_e32 v7, v8, v7
	v_div_scale_f32 v8, vcc, 1.0, v4, 1.0
	v_mul_f32_e32 v9, v8, v7
	v_fma_f32 v10, -v6, v9, v8
	v_fmac_f32_e32 v9, v10, v7
	v_fma_f32 v6, -v6, v9, v8
	v_div_fmas_f32 v6, v6, v7, v9
	v_div_fixup_f32 v4, v6, v4, 1.0
	v_mul_f32_e32 v5, v5, v4
	s_cbranch_execz .LBB159_145
	s_branch .LBB159_146
.LBB159_142:                            ;   in Loop: Header=BB159_124 Depth=2
	v_mov_b32_e32 v4, 1.0
	s_branch .LBB159_148
.LBB159_143:                            ;   in Loop: Header=BB159_124 Depth=2
                                        ; implicit-def: $vgpr3
                                        ; implicit-def: $vgpr4
                                        ; implicit-def: $vgpr5
	s_cbranch_execnz .LBB159_147
	s_branch .LBB159_148
.LBB159_144:                            ;   in Loop: Header=BB159_124 Depth=2
                                        ; implicit-def: $vgpr4
                                        ; implicit-def: $vgpr5
.LBB159_145:                            ;   in Loop: Header=BB159_124 Depth=2
	v_div_scale_f32 v4, s[4:5], v2, v2, -v3
	v_rcp_f32_e32 v5, v4
	v_div_scale_f32 v6, vcc, -v3, v2, -v3
	v_fma_f32 v7, -v4, v5, 1.0
	v_fmac_f32_e32 v5, v7, v5
	v_mul_f32_e32 v7, v6, v5
	v_fma_f32 v8, -v4, v7, v6
	v_fmac_f32_e32 v7, v8, v5
	v_fma_f32 v4, -v4, v7, v6
	v_div_fmas_f32 v4, v4, v5, v7
	v_div_fixup_f32 v4, v4, v2, -v3
	v_fma_f32 v5, v4, v4, 1.0
	v_mul_f32_e32 v6, 0x4f800000, v5
	v_cmp_gt_f32_e32 vcc, s11, v5
	v_cndmask_b32_e32 v5, v5, v6, vcc
	v_sqrt_f32_e32 v6, v5
	v_add_u32_e32 v7, -1, v6
	v_fma_f32 v9, -v7, v6, v5
	v_add_u32_e32 v8, 1, v6
	v_cmp_ge_f32_e64 s[4:5], 0, v9
	v_cndmask_b32_e64 v7, v6, v7, s[4:5]
	v_fma_f32 v6, -v8, v6, v5
	v_cmp_lt_f32_e64 s[4:5], 0, v6
	v_cndmask_b32_e64 v6, v7, v8, s[4:5]
	v_mul_f32_e32 v7, 0x37800000, v6
	v_cndmask_b32_e32 v6, v6, v7, vcc
	v_cmp_class_f32_e32 vcc, v5, v24
	v_cndmask_b32_e32 v5, v6, v5, vcc
	v_div_scale_f32 v6, s[4:5], v5, v5, 1.0
	v_rcp_f32_e32 v7, v6
	v_fma_f32 v8, -v6, v7, 1.0
	v_fmac_f32_e32 v7, v8, v7
	v_div_scale_f32 v8, vcc, 1.0, v5, 1.0
	v_mul_f32_e32 v9, v8, v7
	v_fma_f32 v10, -v6, v9, v8
	v_fmac_f32_e32 v9, v10, v7
	v_fma_f32 v6, -v6, v9, v8
	v_div_fmas_f32 v6, v6, v7, v9
	v_div_fixup_f32 v5, v6, v5, 1.0
	v_mul_f32_e32 v4, v4, v5
.LBB159_146:                            ;   in Loop: Header=BB159_124 Depth=2
	v_mul_f32_e32 v6, v2, v5
	v_fma_f32 v3, v3, v4, -v6
	s_branch .LBB159_148
.LBB159_147:                            ;   in Loop: Header=BB159_124 Depth=2
	v_xor_b32_e32 v3, 0x80000000, v2
	v_mov_b32_e32 v4, 0
	v_mov_b32_e32 v5, 1.0
.LBB159_148:                            ;   in Loop: Header=BB159_124 Depth=2
	global_store_dword v15, v3, s[78:79]
	global_load_dword v6, v15, s[86:87]
	s_nop 0
	global_load_dword v3, v15, s[30:31]
	s_cmp_ge_i32 s92, s61
	s_waitcnt vmcnt(1)
	v_mul_f32_e32 v7, v4, v6
	s_waitcnt vmcnt(0)
	v_fmac_f32_e32 v7, v5, v3
	global_store_dword v15, v7, s[86:87]
	s_cbranch_scc0 .LBB159_151
; %bb.149:                              ;   in Loop: Header=BB159_124 Depth=2
	s_and_b64 vcc, exec, s[14:15]
	s_cbranch_vccz .LBB159_152
.LBB159_150:                            ;   in Loop: Header=BB159_124 Depth=2
	s_andn2_b64 vcc, exec, s[82:83]
	s_cbranch_vccnz .LBB159_123
	s_branch .LBB159_153
.LBB159_151:                            ;   in Loop: Header=BB159_124 Depth=2
	s_add_u32 s4, s49, s76
	s_addc_u32 s5, s52, s77
	global_load_dword v7, v15, s[4:5]
	s_waitcnt vmcnt(0)
	v_mul_f32_e64 v2, v7, -v5
	v_mul_f32_e32 v7, v4, v7
	global_store_dword v15, v7, s[4:5]
	s_and_b64 vcc, exec, s[14:15]
	s_cbranch_vccnz .LBB159_150
.LBB159_152:                            ;   in Loop: Header=BB159_124 Depth=2
	s_add_u32 s4, s89, s76
	s_addc_u32 s5, s48, s77
	s_add_u32 s30, s25, s76
	s_addc_u32 s31, s88, s77
	global_store_dword v15, v4, s[4:5]
	global_store_dword v15, v5, s[30:31]
	s_andn2_b64 vcc, exec, s[82:83]
	s_cbranch_vccnz .LBB159_123
.LBB159_153:                            ;   in Loop: Header=BB159_124 Depth=2
	s_add_u32 s4, s95, s76
	s_addc_u32 s5, s24, s77
	s_add_u32 s30, s90, s76
	s_addc_u32 s31, s91, s77
	global_store_dword v15, v4, s[4:5]
	global_store_dword v15, v5, s[30:31]
	s_branch .LBB159_123
.LBB159_154:                            ;   in Loop: Header=BB159_11 Depth=1
	v_readlane_b32 s88, v38, 19
	v_readlane_b32 s89, v38, 20
	s_branch .LBB159_156
.LBB159_155:                            ;   in Loop: Header=BB159_11 Depth=1
	v_readlane_b32 s88, v38, 19
	v_readlane_b32 s89, v38, 20
	;; [unrolled: 1-line block ×3, first 2 shown]
.LBB159_156:                            ;   in Loop: Header=BB159_11 Depth=1
	v_readlane_b32 s90, v38, 21
	v_readlane_b32 s92, v38, 23
	;; [unrolled: 1-line block ×4, first 2 shown]
.LBB159_157:                            ;   in Loop: Header=BB159_11 Depth=1
	s_and_b64 s[4:5], s[74:75], exec
	s_cselect_b32 s4, s61, 0
	s_ashr_i32 s5, s4, 31
	s_lshl_b64 s[4:5], s[4:5], 2
	s_add_u32 s4, s9, s4
	s_addc_u32 s5, s10, s5
	global_store_dword v15, v3, s[4:5]
.LBB159_158:                            ;   in Loop: Header=BB159_11 Depth=1
	s_or_b64 exec, exec, s[72:73]
	s_andn2_b64 vcc, exec, s[88:89]
	s_barrier
	s_cbranch_vccnz .LBB159_166
; %bb.159:                              ;   in Loop: Header=BB159_11 Depth=1
	s_mov_b32 s54, s77
	s_and_saveexec_b64 s[12:13], s[90:91]
	s_cbranch_execz .LBB159_165
; %bb.160:                              ;   in Loop: Header=BB159_11 Depth=1
	s_lshl_b64 s[4:5], s[62:63], 3
	s_add_u32 s14, s34, s4
	s_addc_u32 s15, s35, s5
	s_load_dword s5, s[50:51], 0xc
	s_add_i32 s4, s28, -1
	s_cmp_eq_u32 s66, 0
	s_cselect_b32 s9, s28, 0
	s_cselect_b32 s4, s4, 0
	s_cmp_gt_i32 s28, 0
	s_cselect_b64 s[30:31], -1, 0
	s_waitcnt lgkmcnt(0)
	s_and_b32 s10, s5, 0xffff
	s_lshl_b32 s5, s66, 1
	s_add_i32 s48, s5, -2
	s_ashr_i32 s49, s48, 31
	s_add_i32 s5, s5, s9
	s_lshl_b64 s[72:73], s[48:49], 3
	v_add_u32_e32 v4, s5, v21
	s_ashr_i32 s5, s4, 31
	s_or_b32 s72, s72, 8
	s_not_b64 s[74:75], s[48:49]
	s_or_b32 s24, s48, 1
	s_lshl_b64 s[4:5], s[4:5], 2
	s_lshl_b64 s[52:53], s[68:69], 2
	s_add_u32 s4, s4, s52
	s_addc_u32 s5, s5, s53
	v_readlane_b32 s52, v38, 12
	s_add_u32 s76, s52, s4
	s_addc_u32 s77, s8, s5
	s_lshl_b64 s[78:79], s[48:49], 2
	s_ashr_i32 s61, s60, 31
	s_or_b32 s78, s78, 4
	s_lshl_b64 s[4:5], s[60:61], 2
	s_sub_u32 s4, s4, s64
	s_subb_u32 s5, s5, s65
	s_add_u32 s48, s4, 20
	v_add_u32_e32 v2, s9, v20
	s_mul_i32 s19, s39, s10
	s_mov_b32 s25, s49
	s_addc_u32 s49, s5, 0
	s_mov_b64 s[80:81], 0
	v_mov_b32_e32 v26, v0
	s_branch .LBB159_162
.LBB159_161:                            ;   in Loop: Header=BB159_162 Depth=2
	v_lshlrev_b64 v[8:9], 3, v[8:9]
	v_mov_b32_e32 v3, s15
	v_add_co_u32_e32 v8, vcc, s14, v8
	v_addc_co_u32_e32 v9, vcc, v3, v9, vcc
	v_add_u32_e32 v26, s10, v26
	v_cmp_le_i32_e32 vcc, s41, v26
	v_add_u32_e32 v2, s19, v2
	s_or_b64 s[80:81], vcc, s[80:81]
	v_add_u32_e32 v4, s19, v4
	s_waitcnt vmcnt(0) lgkmcnt(0)
	flat_store_dwordx2 v[8:9], v[6:7]
	s_andn2_b64 exec, exec, s[80:81]
	s_cbranch_execz .LBB159_165
.LBB159_162:                            ;   Parent Loop BB159_11 Depth=1
                                        ; =>  This Loop Header: Depth=2
                                        ;       Child Loop BB159_164 Depth 3
	v_mul_lo_u32 v3, v26, s39
	v_add_u32_e32 v8, s9, v3
	v_ashrrev_i32_e32 v9, 31, v8
	v_lshlrev_b64 v[6:7], 3, v[8:9]
	v_mov_b32_e32 v3, s15
	v_add_co_u32_e32 v6, vcc, s14, v6
	v_addc_co_u32_e32 v7, vcc, v3, v7, vcc
	flat_load_dwordx2 v[6:7], v[6:7]
	s_andn2_b64 vcc, exec, s[30:31]
	s_cbranch_vccnz .LBB159_161
; %bb.163:                              ;   in Loop: Header=BB159_162 Depth=2
	v_ashrrev_i32_e32 v3, 31, v2
	v_lshlrev_b64 v[10:11], 3, v[2:3]
	v_ashrrev_i32_e32 v5, 31, v4
	v_mov_b32_e32 v3, s75
	v_add_co_u32_e32 v8, vcc, s74, v4
	v_addc_co_u32_e32 v9, vcc, v3, v5, vcc
	v_lshlrev_b64 v[12:13], 3, v[4:5]
	s_mov_b64 s[82:83], s[76:77]
	s_mov_b64 s[84:85], s[14:15]
	s_mov_b32 s52, s28
.LBB159_164:                            ;   Parent Loop BB159_11 Depth=1
                                        ;     Parent Loop BB159_162 Depth=2
                                        ; =>    This Inner Loop Header: Depth=3
	v_mov_b32_e32 v3, s85
	v_add_co_u32_e32 v28, vcc, s84, v12
	s_add_u32 s4, s82, s48
	v_addc_co_u32_e32 v29, vcc, v3, v13, vcc
	s_addc_u32 s5, s83, s49
	flat_load_dwordx2 v[28:29], v[28:29]
	s_nop 0
	global_load_dword v30, v15, s[4:5]
	global_load_dword v32, v15, s[82:83] offset:16
	s_add_i32 s52, s52, -1
	v_add_co_u32_e64 v34, s[4:5], s84, v10
	s_add_u32 s84, s84, s72
	s_addc_u32 s85, s85, s73
	v_mov_b32_e32 v5, s25
	v_add_co_u32_e32 v8, vcc, s24, v8
	s_add_u32 s82, s82, s78
	v_addc_co_u32_e64 v35, s[4:5], v3, v11, s[4:5]
	v_addc_co_u32_e32 v9, vcc, v9, v5, vcc
	s_addc_u32 s83, s83, s79
	s_cmp_eq_u32 s52, 0
	s_waitcnt vmcnt(0) lgkmcnt(0)
	v_mul_f32_e32 v3, v28, v30
	v_mul_f32_e32 v5, v29, v30
	v_pk_mul_f32 v[30:31], v[6:7], v[30:31] op_sel_hi:[1,0]
	v_fma_f32 v36, v6, v32, -v3
	v_fma_f32 v37, v7, v32, -v5
	v_pk_fma_f32 v[6:7], v[28:29], v[32:33], v[30:31] op_sel_hi:[1,0,1]
	flat_store_dwordx2 v[34:35], v[36:37]
	s_cbranch_scc0 .LBB159_164
	s_branch .LBB159_161
.LBB159_165:                            ;   in Loop: Header=BB159_11 Depth=1
	s_or_b64 exec, exec, s[12:13]
	s_mov_b32 s77, s54
.LBB159_166:                            ;   in Loop: Header=BB159_11 Depth=1
	s_andn2_b64 vcc, exec, s[92:93]
	s_cbranch_vccnz .LBB159_174
; %bb.167:                              ;   in Loop: Header=BB159_11 Depth=1
	s_mov_b64 s[4:5], exec
	v_readlane_b32 s12, v38, 4
	v_readlane_b32 s13, v38, 5
	s_and_b64 s[12:13], s[4:5], s[12:13]
	s_mov_b64 exec, s[12:13]
	s_cbranch_execz .LBB159_173
; %bb.168:                              ;   in Loop: Header=BB159_11 Depth=1
	s_mul_i32 s12, s62, s23
	s_ashr_i32 s13, s12, 31
	s_lshl_b64 s[12:13], s[12:13], 3
	s_add_u32 s9, s44, s12
	s_addc_u32 s10, s45, s13
	s_add_i32 s12, s28, -1
	s_load_dword s15, s[50:51], 0xc
	s_cmp_eq_u32 s66, 0
	s_cselect_b32 s12, s12, 0
	s_cselect_b32 s52, s28, 0
	s_add_i32 s14, s12, s29
	s_cmp_gt_i32 s28, 0
	s_cselect_b64 s[12:13], -1, 0
	s_waitcnt lgkmcnt(0)
	s_and_b32 s24, s15, 0xffff
	s_ashr_i32 s15, s14, 31
	s_lshl_b64 s[30:31], s[68:69], 2
	s_lshl_b64 s[14:15], s[14:15], 2
	s_add_u32 s14, s30, s14
	s_addc_u32 s15, s31, s15
	v_readlane_b32 s25, v38, 12
	s_add_u32 s14, s25, s14
	s_addc_u32 s15, s8, s15
	s_lshl_b32 s53, s66, 1
	s_add_i32 s30, s53, -2
	s_ashr_i32 s31, s30, 31
	s_lshl_b64 s[30:31], s[30:31], 2
	s_ashr_i32 s61, s60, 31
	s_or_b32 s30, s30, 4
	s_lshl_b64 s[48:49], s[60:61], 2
	s_sub_u32 s25, s48, s64
	s_subb_u32 s48, s49, s65
	s_add_u32 s25, s25, 20
	s_mul_i32 s19, s52, s23
	s_addc_u32 s48, s48, 0
	s_add_i32 s52, s52, s53
	s_add_i32 s52, s52, -1
	s_mul_i32 s52, s23, s52
	v_add_u32_e32 v6, s19, v0
	s_mul_i32 s49, s23, s70
	v_add_u32_e32 v7, s52, v0
	s_mov_b64 s[70:71], 0
	v_mov_b32_e32 v8, v0
	s_branch .LBB159_170
.LBB159_169:                            ;   in Loop: Header=BB159_170 Depth=2
	v_lshlrev_b64 v[4:5], 3, v[4:5]
	v_mov_b32_e32 v9, s10
	v_add_co_u32_e32 v4, vcc, s9, v4
	v_addc_co_u32_e32 v5, vcc, v9, v5, vcc
	v_add_u32_e32 v8, s24, v8
	v_cmp_le_i32_e32 vcc, s42, v8
	v_add_u32_e32 v6, s24, v6
	s_or_b64 s[70:71], vcc, s[70:71]
	v_add_u32_e32 v7, s24, v7
	s_waitcnt vmcnt(0) lgkmcnt(0)
	flat_store_dwordx2 v[4:5], v[2:3]
	s_andn2_b64 exec, exec, s[70:71]
	s_cbranch_execz .LBB159_173
.LBB159_170:                            ;   Parent Loop BB159_11 Depth=1
                                        ; =>  This Loop Header: Depth=2
                                        ;       Child Loop BB159_172 Depth 3
	v_add_u32_e32 v4, s19, v8
	v_ashrrev_i32_e32 v5, 31, v4
	v_lshlrev_b64 v[2:3], 3, v[4:5]
	v_mov_b32_e32 v9, s10
	v_add_co_u32_e32 v2, vcc, s9, v2
	v_addc_co_u32_e32 v3, vcc, v9, v3, vcc
	flat_load_dwordx2 v[2:3], v[2:3]
	s_andn2_b64 vcc, exec, s[12:13]
	s_cbranch_vccnz .LBB159_169
; %bb.171:                              ;   in Loop: Header=BB159_170 Depth=2
	s_mov_b32 s52, 0
	s_mov_b64 s[72:73], s[14:15]
	s_mov_b32 s53, s28
.LBB159_172:                            ;   Parent Loop BB159_11 Depth=1
                                        ;     Parent Loop BB159_170 Depth=2
                                        ; =>    This Inner Loop Header: Depth=3
	v_add_u32_e32 v4, s52, v7
	v_ashrrev_i32_e32 v5, 31, v4
	v_lshlrev_b64 v[12:13], 3, v[4:5]
	v_mov_b32_e32 v9, s10
	s_add_u32 s54, s72, s25
	v_add_co_u32_e32 v12, vcc, s9, v12
	s_addc_u32 s55, s73, s48
	v_addc_co_u32_e32 v13, vcc, v9, v13, vcc
	global_load_dword v10, v15, s[72:73] offset:16
	global_load_dword v26, v15, s[54:55]
	v_add_u32_e32 v28, s52, v6
	flat_load_dwordx2 v[12:13], v[12:13]
	v_ashrrev_i32_e32 v29, 31, v28
	s_add_i32 s53, s53, -1
	v_lshlrev_b64 v[28:29], 3, v[28:29]
	s_add_u32 s72, s72, s30
	v_add_co_u32_e32 v28, vcc, s9, v28
	v_addc_co_u32_e32 v29, vcc, v9, v29, vcc
	s_addc_u32 s73, s73, s31
	s_add_i32 s52, s52, s49
	s_cmp_eq_u32 s53, 0
	s_waitcnt vmcnt(0) lgkmcnt(0)
	v_pk_mul_f32 v[30:31], v[2:3], v[26:27] op_sel_hi:[1,0]
	v_mul_f32_e32 v9, v12, v26
	v_mul_f32_e32 v11, v13, v26
	v_fma_f32 v26, v2, v10, -v9
	v_fma_f32 v27, v3, v10, -v11
	v_pk_fma_f32 v[2:3], v[12:13], v[10:11], v[30:31] op_sel_hi:[1,0,1]
	flat_store_dwordx2 v[28:29], v[26:27]
	s_cbranch_scc0 .LBB159_172
	s_branch .LBB159_169
.LBB159_173:                            ;   in Loop: Header=BB159_11 Depth=1
	s_or_b64 exec, exec, s[4:5]
.LBB159_174:                            ;   in Loop: Header=BB159_11 Depth=1
	v_readlane_b32 s4, v38, 6
	v_readlane_b32 s5, v38, 7
	s_andn2_b64 vcc, exec, s[4:5]
	s_cbranch_vccnz .LBB159_10
; %bb.175:                              ;   in Loop: Header=BB159_11 Depth=1
	s_mov_b64 s[12:13], exec
	v_readlane_b32 s4, v38, 8
	v_readlane_b32 s5, v38, 9
	s_and_b64 s[4:5], s[12:13], s[4:5]
	s_mov_b64 exec, s[4:5]
	s_cbranch_execz .LBB159_9
; %bb.176:                              ;   in Loop: Header=BB159_11 Depth=1
	s_lshl_b64 s[4:5], s[62:63], 3
	s_add_u32 s14, s36, s4
	s_addc_u32 s15, s37, s5
	s_add_i32 s4, s28, -1
	s_load_dword s5, s[50:51], 0xc
	s_cmp_eq_u32 s66, 0
	s_cselect_b32 s4, s4, 0
	s_cselect_b32 s9, s28, 0
	s_add_i32 s4, s4, s29
	s_cmp_gt_i32 s28, 0
	s_cselect_b64 s[30:31], -1, 0
	s_waitcnt lgkmcnt(0)
	s_and_b32 s10, s5, 0xffff
	s_ashr_i32 s5, s4, 31
	s_lshl_b64 s[24:25], s[68:69], 2
	s_lshl_b64 s[4:5], s[4:5], 2
	s_add_u32 s4, s24, s4
	s_addc_u32 s5, s25, s5
	v_readlane_b32 s19, v38, 12
	s_add_u32 s62, s19, s4
	s_addc_u32 s63, s8, s5
	s_lshl_b32 s25, s66, 1
	s_add_i32 s66, s25, -2
	s_ashr_i32 s67, s66, 31
	s_lshl_b64 s[68:69], s[66:67], 2
	s_ashr_i32 s61, s60, 31
	s_or_b32 s68, s68, 4
	s_lshl_b64 s[4:5], s[60:61], 2
	s_sub_u32 s4, s4, s64
	s_subb_u32 s5, s5, s65
	s_add_u32 s19, s4, 20
	s_addc_u32 s24, s5, 0
	s_add_i32 s25, s25, s9
	s_lshl_b64 s[60:61], s[66:67], 3
	v_add_u32_e32 v2, s25, v23
	s_mul_i32 s25, s21, s10
	s_or_b32 s60, s60, 8
	v_add_u32_e32 v4, s9, v22
	s_not_b64 s[64:65], s[66:67]
	s_or_b32 s66, s66, 1
	s_mov_b64 s[70:71], 0
	v_mov_b32_e32 v26, v0
	s_branch .LBB159_178
.LBB159_177:                            ;   in Loop: Header=BB159_178 Depth=2
	v_lshlrev_b64 v[8:9], 3, v[8:9]
	v_mov_b32_e32 v3, s15
	v_add_co_u32_e32 v8, vcc, s14, v8
	v_addc_co_u32_e32 v9, vcc, v3, v9, vcc
	v_add_u32_e32 v26, s10, v26
	v_cmp_le_i32_e32 vcc, s43, v26
	v_add_u32_e32 v2, s25, v2
	s_or_b64 s[70:71], vcc, s[70:71]
	v_add_u32_e32 v4, s25, v4
	s_waitcnt vmcnt(0) lgkmcnt(0)
	flat_store_dwordx2 v[8:9], v[6:7]
	s_andn2_b64 exec, exec, s[70:71]
	s_cbranch_execz .LBB159_9
.LBB159_178:                            ;   Parent Loop BB159_11 Depth=1
                                        ; =>  This Loop Header: Depth=2
                                        ;       Child Loop BB159_180 Depth 3
	v_mul_lo_u32 v3, v26, s21
	v_add_u32_e32 v8, s9, v3
	v_ashrrev_i32_e32 v9, 31, v8
	v_lshlrev_b64 v[6:7], 3, v[8:9]
	v_mov_b32_e32 v3, s15
	v_add_co_u32_e32 v6, vcc, s14, v6
	v_addc_co_u32_e32 v7, vcc, v3, v7, vcc
	flat_load_dwordx2 v[6:7], v[6:7]
	s_andn2_b64 vcc, exec, s[30:31]
	s_cbranch_vccnz .LBB159_177
; %bb.179:                              ;   in Loop: Header=BB159_178 Depth=2
	v_ashrrev_i32_e32 v5, 31, v4
	v_ashrrev_i32_e32 v3, 31, v2
	v_lshlrev_b64 v[12:13], 3, v[4:5]
	v_mov_b32_e32 v5, s65
	v_add_co_u32_e32 v8, vcc, s64, v2
	v_lshlrev_b64 v[10:11], 3, v[2:3]
	v_addc_co_u32_e32 v9, vcc, v5, v3, vcc
	s_mov_b64 s[72:73], s[14:15]
	s_mov_b64 s[74:75], s[62:63]
	s_mov_b32 s29, s28
.LBB159_180:                            ;   Parent Loop BB159_11 Depth=1
                                        ;     Parent Loop BB159_178 Depth=2
                                        ; =>    This Inner Loop Header: Depth=3
	v_mov_b32_e32 v3, s73
	s_add_u32 s4, s74, s19
	v_add_co_u32_e32 v30, vcc, s72, v10
	v_addc_co_u32_e32 v31, vcc, v3, v11, vcc
	s_addc_u32 s5, s75, s24
	global_load_dword v28, v15, s[74:75] offset:16
	global_load_dword v32, v15, s[4:5]
	s_nop 0
	flat_load_dwordx2 v[30:31], v[30:31]
	s_add_i32 s29, s29, -1
	s_add_u32 s74, s74, s68
	s_addc_u32 s75, s75, s69
	v_mov_b32_e32 v5, s67
	v_add_co_u32_e32 v8, vcc, s66, v8
	v_add_co_u32_e64 v34, s[4:5], s72, v12
	s_add_u32 s72, s72, s60
	v_addc_co_u32_e64 v35, s[4:5], v3, v13, s[4:5]
	v_addc_co_u32_e32 v9, vcc, v9, v5, vcc
	s_addc_u32 s73, s73, s61
	s_cmp_eq_u32 s29, 0
	s_waitcnt vmcnt(0) lgkmcnt(0)
	v_mul_f32_e32 v3, v30, v32
	v_mul_f32_e32 v5, v31, v32
	v_pk_mul_f32 v[32:33], v[6:7], v[32:33] op_sel_hi:[1,0]
	v_fma_f32 v36, v6, v28, -v3
	v_fma_f32 v37, v7, v28, -v5
	v_pk_fma_f32 v[6:7], v[30:31], v[28:29], v[32:33] op_sel_hi:[1,0,1]
	flat_store_dwordx2 v[34:35], v[36:37]
	s_cbranch_scc0 .LBB159_180
	s_branch .LBB159_177
.LBB159_181:
	s_endpgm
	.section	.rodata,"a",@progbits
	.p2align	6, 0x0
	.amdhsa_kernel _ZN9rocsolver6v33100L13bdsqr_computeILi256E19rocblas_complex_numIfEfPKPS3_S4_S6_EEviiiiPT1_lS8_lT2_iilT3_iilT4_iiliS7_S7_S7_S7_PiS8_ilSC_
		.amdhsa_group_segment_fixed_size 1040
		.amdhsa_private_segment_fixed_size 0
		.amdhsa_kernarg_size 440
		.amdhsa_user_sgpr_count 6
		.amdhsa_user_sgpr_private_segment_buffer 1
		.amdhsa_user_sgpr_dispatch_ptr 0
		.amdhsa_user_sgpr_queue_ptr 0
		.amdhsa_user_sgpr_kernarg_segment_ptr 1
		.amdhsa_user_sgpr_dispatch_id 0
		.amdhsa_user_sgpr_flat_scratch_init 0
		.amdhsa_user_sgpr_kernarg_preload_length 0
		.amdhsa_user_sgpr_kernarg_preload_offset 0
		.amdhsa_user_sgpr_private_segment_size 0
		.amdhsa_uses_dynamic_stack 0
		.amdhsa_system_sgpr_private_segment_wavefront_offset 0
		.amdhsa_system_sgpr_workgroup_id_x 1
		.amdhsa_system_sgpr_workgroup_id_y 1
		.amdhsa_system_sgpr_workgroup_id_z 1
		.amdhsa_system_sgpr_workgroup_info 0
		.amdhsa_system_vgpr_workitem_id 0
		.amdhsa_next_free_vgpr 39
		.amdhsa_next_free_sgpr 96
		.amdhsa_accum_offset 40
		.amdhsa_reserve_vcc 1
		.amdhsa_reserve_flat_scratch 0
		.amdhsa_float_round_mode_32 0
		.amdhsa_float_round_mode_16_64 0
		.amdhsa_float_denorm_mode_32 3
		.amdhsa_float_denorm_mode_16_64 3
		.amdhsa_dx10_clamp 1
		.amdhsa_ieee_mode 1
		.amdhsa_fp16_overflow 0
		.amdhsa_tg_split 0
		.amdhsa_exception_fp_ieee_invalid_op 0
		.amdhsa_exception_fp_denorm_src 0
		.amdhsa_exception_fp_ieee_div_zero 0
		.amdhsa_exception_fp_ieee_overflow 0
		.amdhsa_exception_fp_ieee_underflow 0
		.amdhsa_exception_fp_ieee_inexact 0
		.amdhsa_exception_int_div_zero 0
	.end_amdhsa_kernel
	.section	.text._ZN9rocsolver6v33100L13bdsqr_computeILi256E19rocblas_complex_numIfEfPKPS3_S4_S6_EEviiiiPT1_lS8_lT2_iilT3_iilT4_iiliS7_S7_S7_S7_PiS8_ilSC_,"axG",@progbits,_ZN9rocsolver6v33100L13bdsqr_computeILi256E19rocblas_complex_numIfEfPKPS3_S4_S6_EEviiiiPT1_lS8_lT2_iilT3_iilT4_iiliS7_S7_S7_S7_PiS8_ilSC_,comdat
.Lfunc_end159:
	.size	_ZN9rocsolver6v33100L13bdsqr_computeILi256E19rocblas_complex_numIfEfPKPS3_S4_S6_EEviiiiPT1_lS8_lT2_iilT3_iilT4_iiliS7_S7_S7_S7_PiS8_ilSC_, .Lfunc_end159-_ZN9rocsolver6v33100L13bdsqr_computeILi256E19rocblas_complex_numIfEfPKPS3_S4_S6_EEviiiiPT1_lS8_lT2_iilT3_iilT4_iiliS7_S7_S7_S7_PiS8_ilSC_
                                        ; -- End function
	.section	.AMDGPU.csdata,"",@progbits
; Kernel info:
; codeLenInByte = 8656
; NumSgprs: 100
; NumVgprs: 39
; NumAgprs: 0
; TotalNumVgprs: 39
; ScratchSize: 0
; MemoryBound: 0
; FloatMode: 240
; IeeeMode: 1
; LDSByteSize: 1040 bytes/workgroup (compile time only)
; SGPRBlocks: 12
; VGPRBlocks: 4
; NumSGPRsForWavesPerEU: 100
; NumVGPRsForWavesPerEU: 39
; AccumOffset: 40
; Occupancy: 8
; WaveLimiterHint : 1
; COMPUTE_PGM_RSRC2:SCRATCH_EN: 0
; COMPUTE_PGM_RSRC2:USER_SGPR: 6
; COMPUTE_PGM_RSRC2:TRAP_HANDLER: 0
; COMPUTE_PGM_RSRC2:TGID_X_EN: 1
; COMPUTE_PGM_RSRC2:TGID_Y_EN: 1
; COMPUTE_PGM_RSRC2:TGID_Z_EN: 1
; COMPUTE_PGM_RSRC2:TIDIG_COMP_CNT: 0
; COMPUTE_PGM_RSRC3_GFX90A:ACCUM_OFFSET: 9
; COMPUTE_PGM_RSRC3_GFX90A:TG_SPLIT: 0
	.section	.text._ZN9rocsolver6v33100L12bdsqr_rotateI19rocblas_complex_numIfEfPKPS3_S4_S6_EEviiiiT1_iilT2_iilT3_iiliPiPT0_ilSA_,"axG",@progbits,_ZN9rocsolver6v33100L12bdsqr_rotateI19rocblas_complex_numIfEfPKPS3_S4_S6_EEviiiiT1_iilT2_iilT3_iiliPiPT0_ilSA_,comdat
	.globl	_ZN9rocsolver6v33100L12bdsqr_rotateI19rocblas_complex_numIfEfPKPS3_S4_S6_EEviiiiT1_iilT2_iilT3_iiliPiPT0_ilSA_ ; -- Begin function _ZN9rocsolver6v33100L12bdsqr_rotateI19rocblas_complex_numIfEfPKPS3_S4_S6_EEviiiiT1_iilT2_iilT3_iiliPiPT0_ilSA_
	.p2align	8
	.type	_ZN9rocsolver6v33100L12bdsqr_rotateI19rocblas_complex_numIfEfPKPS3_S4_S6_EEviiiiT1_iilT2_iilT3_iiliPiPT0_ilSA_,@function
_ZN9rocsolver6v33100L12bdsqr_rotateI19rocblas_complex_numIfEfPKPS3_S4_S6_EEviiiiT1_iilT2_iilT3_iiliPiPT0_ilSA_: ; @_ZN9rocsolver6v33100L12bdsqr_rotateI19rocblas_complex_numIfEfPKPS3_S4_S6_EEviiiiT1_iilT2_iilT3_iiliPiPT0_ilSA_
; %bb.0:
	s_load_dwordx4 s[20:23], s[4:5], 0x78
	s_ashr_i32 s9, s8, 31
	s_lshl_b64 s[0:1], s[8:9], 2
	s_waitcnt lgkmcnt(0)
	s_add_u32 s0, s22, s0
	s_addc_u32 s1, s23, s1
	s_load_dword s0, s[0:1], 0x8
	s_waitcnt lgkmcnt(0)
	s_cmp_lg_u32 s0, 0
	s_cbranch_scc1 .LBB160_25
; %bb.1:
	s_load_dwordx4 s[0:3], s[4:5], 0x10
	s_add_u32 s24, s4, 0x88
	s_addc_u32 s25, s5, 0
	s_mov_b64 s[22:23], 0
	s_mov_b64 s[10:11], 0
	s_waitcnt lgkmcnt(0)
	s_cmp_eq_u64 s[0:1], 0
	s_cbranch_scc1 .LBB160_3
; %bb.2:
	s_lshl_b64 s[10:11], s[8:9], 3
	s_add_u32 s0, s0, s10
	s_addc_u32 s1, s1, s11
	s_load_dwordx2 s[0:1], s[0:1], 0x0
	s_ashr_i32 s11, s2, 31
	s_mov_b32 s10, s2
	s_lshl_b64 s[10:11], s[10:11], 3
	s_waitcnt lgkmcnt(0)
	s_add_u32 s10, s0, s10
	s_addc_u32 s11, s1, s11
.LBB160_3:
	s_load_dwordx8 s[12:19], s[4:5], 0x28
	s_waitcnt lgkmcnt(0)
	s_cmp_eq_u64 s[12:13], 0
	s_cbranch_scc1 .LBB160_5
; %bb.4:
	s_ashr_i32 s1, s14, 31
	s_mov_b32 s0, s14
	s_mul_i32 s2, s8, s17
	s_mul_hi_u32 s14, s8, s16
	s_add_i32 s2, s14, s2
	s_mul_i32 s14, s9, s16
	s_add_i32 s17, s2, s14
	s_mul_i32 s16, s8, s16
	s_lshl_b64 s[16:17], s[16:17], 3
	s_add_u32 s2, s12, s16
	s_addc_u32 s12, s13, s17
	s_lshl_b64 s[0:1], s[0:1], 3
	s_add_u32 s22, s2, s0
	s_addc_u32 s23, s12, s1
.LBB160_5:
	s_load_dwordx2 s[26:27], s[4:5], 0x48
	s_cmp_eq_u64 s[18:19], 0
	s_mov_b64 s[0:1], 0
	s_cbranch_scc1 .LBB160_7
; %bb.6:
	s_lshl_b64 s[0:1], s[8:9], 3
	s_add_u32 s0, s18, s0
	s_addc_u32 s1, s19, s1
	s_load_dwordx2 s[0:1], s[0:1], 0x0
	s_waitcnt lgkmcnt(0)
	s_ashr_i32 s13, s26, 31
	s_mov_b32 s12, s26
	s_lshl_b64 s[12:13], s[12:13], 3
	s_add_u32 s0, s0, s12
	s_addc_u32 s1, s1, s13
.LBB160_7:
	s_load_dwordx4 s[16:19], s[4:5], 0x60
	s_mul_i32 s2, s8, s21
	s_mul_hi_u32 s12, s8, s20
	s_add_i32 s2, s12, s2
	s_mul_i32 s9, s9, s20
	s_add_i32 s13, s2, s9
	s_mul_i32 s12, s8, s20
	s_lshl_b64 s[20:21], s[12:13], 2
	s_waitcnt lgkmcnt(0)
	s_add_u32 s12, s18, s20
	s_addc_u32 s13, s19, s21
	s_load_dword s2, s[12:13], 0x8
	s_waitcnt lgkmcnt(0)
	v_cvt_i32_f32_e32 v6, s2
	v_cmp_ge_i32_e32 vcc, s7, v6
	s_cbranch_vccnz .LBB160_25
; %bb.8:
	s_load_dwordx4 s[28:31], s[4:5], 0x0
	s_load_dword s14, s[4:5], 0x58
	s_load_dword s2, s[4:5], 0x94
	s_load_dword s33, s[4:5], 0x70
	v_mov_b32_e32 v10, 0
	s_waitcnt lgkmcnt(0)
	s_mul_i32 s4, s8, s28
	s_lshl_b32 s4, s4, 1
	s_ashr_i32 s5, s4, 31
	s_lshl_b64 s[4:5], s[4:5], 2
	s_add_u32 s40, s16, s4
	s_addc_u32 s41, s17, s5
	s_and_b32 s2, 0xffff, s2
	s_mul_i32 s6, s6, s2
	s_cmp_eq_u32 s29, 0
	v_add_u32_e32 v7, s6, v0
	s_cselect_b64 s[4:5], -1, 0
	s_cmp_lg_u64 s[10:11], 0
	s_cselect_b64 s[8:9], -1, 0
	v_cmp_gt_i32_e32 vcc, s29, v7
	s_and_b64 s[8:9], vcc, s[8:9]
	s_cmp_lg_u64 s[22:23], 0
	v_mul_lo_u32 v8, v7, s3
	s_cselect_b64 s[2:3], -1, 0
	v_cmp_gt_i32_e32 vcc, s30, v7
	s_and_b64 s[2:3], vcc, s[2:3]
	s_cmp_lg_u64 s[0:1], 0
	s_load_dword s6, s[24:25], 0x4
	s_cselect_b64 s[12:13], -1, 0
	v_cmp_gt_i32_e32 vcc, s31, v7
	s_and_b64 s[12:13], vcc, s[12:13]
	s_add_u32 s42, s18, s20
	v_mul_lo_u32 v9, v7, s27
	s_addc_u32 s43, s19, s21
	s_branch .LBB160_12
.LBB160_9:                              ;   in Loop: Header=BB160_12 Depth=1
	v_mov_b32_e32 v2, s27
	v_subrev_co_u32_e32 v3, vcc, s26, v4
	v_subb_co_u32_e32 v4, vcc, v5, v2, vcc
	v_mov_b32_e32 v5, s19
	v_add_co_u32_e32 v2, vcc, s18, v3
	v_addc_co_u32_e32 v3, vcc, v5, v4, vcc
	flat_store_dwordx2 v[2:3], v[0:1]
.LBB160_10:                             ;   in Loop: Header=BB160_12 Depth=1
	s_or_b64 exec, exec, s[28:29]
.LBB160_11:                             ;   in Loop: Header=BB160_12 Depth=1
	s_add_i32 s7, s6, s7
	v_cmp_lt_i32_e32 vcc, s7, v6
	s_cbranch_vccz .LBB160_25
.LBB160_12:                             ; =>This Loop Header: Depth=1
                                        ;     Child Loop BB160_16 Depth 2
                                        ;     Child Loop BB160_20 Depth 2
	;; [unrolled: 1-line block ×3, first 2 shown]
	s_lshl_b32 s16, s7, 2
	s_ashr_i32 s17, s16, 31
	s_lshl_b64 s[16:17], s[16:17], 2
	s_add_u32 s16, s40, s16
	s_addc_u32 s17, s41, s17
	s_load_dwordx2 s[18:19], s[16:17], 0x0
	s_load_dword s24, s[16:17], 0x8
	s_waitcnt lgkmcnt(0)
	s_cmp_le_i32 s24, s19
	s_cbranch_scc1 .LBB160_11
; %bb.13:                               ;   in Loop: Header=BB160_12 Depth=1
	s_load_dword s16, s[16:17], 0xc
	s_waitcnt lgkmcnt(0)
	s_cmp_lt_i32 s16, s14
	s_cselect_b64 s[16:17], -1, 0
	s_cmp_lg_u32 s18, 0
	s_cselect_b64 s[20:21], -1, 0
	s_and_b64 s[16:17], s[16:17], s[20:21]
	s_andn2_b64 vcc, exec, s[16:17]
	s_cbranch_vccnz .LBB160_11
; %bb.14:                               ;   in Loop: Header=BB160_12 Depth=1
	s_mul_i32 s20, s19, s33
	s_ashr_i32 s21, s20, 31
	s_cmp_gt_i32 s18, 0
	s_cselect_b64 s[26:27], -1, 0
	s_sub_i32 s16, s24, s19
	s_and_saveexec_b64 s[28:29], s[8:9]
	s_cbranch_execz .LBB160_18
; %bb.15:                               ;   in Loop: Header=BB160_12 Depth=1
	s_and_b64 s[30:31], s[26:27], exec
	s_cselect_b32 s17, s19, s24
	v_add_u32_e32 v4, s17, v8
	v_ashrrev_i32_e32 v5, 31, v4
	v_lshlrev_b64 v[2:3], 3, v[4:5]
	v_mov_b32_e32 v1, s11
	v_add_co_u32_e32 v0, vcc, s10, v2
	v_addc_co_u32_e32 v1, vcc, v1, v3, vcc
	flat_load_dwordx2 v[0:1], v[0:1]
	s_add_i32 s17, s16, -1
	s_and_b64 s[30:31], s[26:27], exec
	s_cselect_b32 s34, 0, s17
	s_ashr_i32 s37, s18, 31
	s_mov_b32 s36, s18
	s_ashr_i32 s35, s34, 31
	s_lshl_b64 s[30:31], s[36:37], 3
	s_lshl_b64 s[34:35], s[34:35], 2
	s_lshl_b64 s[38:39], s[20:21], 2
	s_add_u32 s17, s34, s38
	s_addc_u32 s25, s35, s39
	s_add_u32 s34, s42, s17
	s_addc_u32 s35, s43, s25
	s_ashr_i32 s25, s24, 31
	s_ashr_i32 s45, s19, 31
	s_mov_b32 s44, s19
	s_lshl_b64 s[36:37], s[36:37], 2
	s_lshl_b64 s[38:39], s[24:25], 2
	;; [unrolled: 1-line block ×3, first 2 shown]
	s_sub_u32 s17, s38, s44
	v_add_u32_e32 v4, s18, v4
	s_subb_u32 s25, s39, s45
	v_ashrrev_i32_e32 v5, 31, v4
	s_add_u32 s17, s17, 20
	v_lshlrev_b64 v[4:5], 3, v[4:5]
	s_addc_u32 s25, s25, 0
	s_mov_b32 s44, s16
	s_mov_b64 s[38:39], s[10:11]
.LBB160_16:                             ;   Parent Loop BB160_12 Depth=1
                                        ; =>  This Inner Loop Header: Depth=2
	v_mov_b32_e32 v11, s39
	s_add_u32 s46, s34, s17
	v_add_co_u32_e32 v14, vcc, s38, v4
	v_addc_co_u32_e32 v15, vcc, v11, v5, vcc
	s_addc_u32 s47, s35, s25
	global_load_dword v12, v10, s[34:35] offset:16
	global_load_dword v16, v10, s[46:47]
	s_nop 0
	flat_load_dwordx2 v[14:15], v[14:15]
	v_add_co_u32_e32 v18, vcc, s38, v2
	s_add_u32 s38, s38, s30
	s_addc_u32 s39, s39, s31
	s_add_u32 s34, s34, s36
	v_addc_co_u32_e32 v19, vcc, v11, v3, vcc
	s_addc_u32 s35, s35, s37
	s_add_i32 s44, s44, -1
	s_cmp_eq_u32 s44, 0
	s_waitcnt vmcnt(0) lgkmcnt(0)
	v_mul_f32_e32 v11, v14, v16
	v_mul_f32_e32 v13, v15, v16
	v_pk_mul_f32 v[16:17], v[0:1], v[16:17] op_sel_hi:[1,0]
	v_fma_f32 v20, v0, v12, -v11
	v_fma_f32 v21, v1, v12, -v13
	v_pk_fma_f32 v[0:1], v[14:15], v[12:13], v[16:17] op_sel_hi:[1,0,1]
	flat_store_dwordx2 v[18:19], v[20:21]
	s_cbranch_scc0 .LBB160_16
; %bb.17:                               ;   in Loop: Header=BB160_12 Depth=1
	v_mov_b32_e32 v2, s31
	v_subrev_co_u32_e32 v3, vcc, s30, v4
	v_subb_co_u32_e32 v4, vcc, v5, v2, vcc
	v_mov_b32_e32 v5, s39
	v_add_co_u32_e32 v2, vcc, s38, v3
	v_addc_co_u32_e32 v3, vcc, v5, v4, vcc
	flat_store_dwordx2 v[2:3], v[0:1]
.LBB160_18:                             ;   in Loop: Header=BB160_12 Depth=1
	s_or_b64 exec, exec, s[28:29]
	s_lshl_b32 s17, s16, 1
	s_add_i32 s17, s17, 2
	s_and_b64 s[28:29], s[4:5], exec
	s_cselect_b32 s25, 0, s17
	s_and_saveexec_b64 s[28:29], s[2:3]
	s_cbranch_execz .LBB160_22
; %bb.19:                               ;   in Loop: Header=BB160_12 Depth=1
	s_and_b64 s[30:31], s[26:27], exec
	s_cselect_b32 s34, s19, s24
	s_mul_i32 s36, s34, s15
	v_add_u32_e32 v0, s36, v7
	v_ashrrev_i32_e32 v1, 31, v0
	v_lshlrev_b64 v[0:1], 3, v[0:1]
	v_mov_b32_e32 v2, s23
	v_add_co_u32_e32 v0, vcc, s22, v0
	v_addc_co_u32_e32 v1, vcc, v2, v1, vcc
	flat_load_dwordx2 v[0:1], v[0:1]
	s_add_i32 s17, s16, -1
	s_and_b64 s[30:31], s[26:27], exec
	s_cselect_b32 s17, 0, s17
	s_add_i32 s30, s25, s17
	s_add_i32 s34, s34, s18
	s_ashr_i32 s31, s30, 31
	s_ashr_i32 s17, s16, 31
	s_mul_i32 s37, s15, s34
	s_lshl_b64 s[34:35], s[20:21], 2
	s_lshl_b64 s[30:31], s[30:31], 2
	s_add_u32 s30, s34, s30
	s_addc_u32 s31, s35, s31
	s_add_u32 s30, s42, s30
	s_addc_u32 s31, s43, s31
	s_ashr_i32 s35, s18, 31
	s_mov_b32 s34, s18
	s_lshl_b64 s[34:35], s[34:35], 2
	s_lshl_b64 s[44:45], s[16:17], 2
	s_add_u32 s17, s44, 20
	s_mul_i32 s38, s15, s18
	s_addc_u32 s39, s45, 0
	s_mov_b32 s44, s16
	v_mov_b32_e32 v4, v7
.LBB160_20:                             ;   Parent Loop BB160_12 Depth=1
                                        ; =>  This Inner Loop Header: Depth=2
	v_add_u32_e32 v2, s37, v4
	v_ashrrev_i32_e32 v3, 31, v2
	v_lshlrev_b64 v[2:3], 3, v[2:3]
	v_mov_b32_e32 v5, s23
	s_add_u32 s46, s30, s17
	v_add_co_u32_e32 v2, vcc, s22, v2
	s_addc_u32 s47, s31, s39
	v_addc_co_u32_e32 v3, vcc, v5, v3, vcc
	global_load_dword v12, v10, s[30:31] offset:16
	global_load_dword v14, v10, s[46:47]
	flat_load_dwordx2 v[16:17], v[2:3]
	v_add_u32_e32 v18, s36, v4
	v_ashrrev_i32_e32 v19, 31, v18
	v_lshlrev_b64 v[18:19], 3, v[18:19]
	s_add_u32 s30, s30, s34
	v_add_co_u32_e32 v18, vcc, s22, v18
	v_addc_co_u32_e32 v19, vcc, v5, v19, vcc
	s_addc_u32 s31, s31, s35
	s_add_i32 s44, s44, -1
	v_add_u32_e32 v4, s38, v4
	s_cmp_eq_u32 s44, 0
	s_waitcnt vmcnt(0) lgkmcnt(0)
	v_pk_mul_f32 v[20:21], v[0:1], v[14:15] op_sel_hi:[1,0]
	v_mul_f32_e32 v5, v16, v14
	v_mul_f32_e32 v11, v17, v14
	v_fma_f32 v14, v0, v12, -v5
	v_fma_f32 v15, v1, v12, -v11
	v_pk_fma_f32 v[0:1], v[16:17], v[12:13], v[20:21] op_sel_hi:[1,0,1]
	flat_store_dwordx2 v[18:19], v[14:15]
	s_cbranch_scc0 .LBB160_20
; %bb.21:                               ;   in Loop: Header=BB160_12 Depth=1
	flat_store_dwordx2 v[2:3], v[0:1]
.LBB160_22:                             ;   in Loop: Header=BB160_12 Depth=1
	s_or_b64 exec, exec, s[28:29]
	s_and_saveexec_b64 s[28:29], s[12:13]
	s_cbranch_execz .LBB160_10
; %bb.23:                               ;   in Loop: Header=BB160_12 Depth=1
	s_and_b64 s[30:31], s[26:27], exec
	s_cselect_b32 s17, s19, s24
	v_add_u32_e32 v4, s17, v9
	v_ashrrev_i32_e32 v5, 31, v4
	v_lshlrev_b64 v[2:3], 3, v[4:5]
	v_mov_b32_e32 v1, s1
	v_add_co_u32_e32 v0, vcc, s0, v2
	v_addc_co_u32_e32 v1, vcc, v1, v3, vcc
	flat_load_dwordx2 v[0:1], v[0:1]
	s_add_i32 s17, s16, -1
	s_and_b64 s[26:27], s[26:27], exec
	s_cselect_b32 s17, 0, s17
	s_add_i32 s24, s25, s17
	s_ashr_i32 s25, s24, 31
	s_ashr_i32 s17, s16, 31
	s_lshl_b64 s[20:21], s[20:21], 2
	s_lshl_b64 s[24:25], s[24:25], 2
	s_add_u32 s19, s20, s24
	s_addc_u32 s21, s21, s25
	s_add_u32 s20, s42, s19
	s_addc_u32 s21, s43, s21
	s_ashr_i32 s19, s18, 31
	s_lshl_b64 s[24:25], s[18:19], 2
	s_lshl_b64 s[26:27], s[16:17], 2
	v_add_u32_e32 v4, s18, v4
	s_add_u32 s17, s26, 20
	v_ashrrev_i32_e32 v5, 31, v4
	s_addc_u32 s30, s27, 0
	v_lshlrev_b64 v[4:5], 3, v[4:5]
	s_lshl_b64 s[26:27], s[18:19], 3
	s_mov_b64 s[18:19], s[0:1]
.LBB160_24:                             ;   Parent Loop BB160_12 Depth=1
                                        ; =>  This Inner Loop Header: Depth=2
	s_add_u32 s34, s20, s17
	v_mov_b32_e32 v11, s19
	v_add_co_u32_e32 v14, vcc, s18, v4
	s_addc_u32 s35, s21, s30
	global_load_dword v12, v10, s[20:21] offset:16
	v_addc_co_u32_e32 v15, vcc, v11, v5, vcc
	global_load_dword v16, v10, s[34:35]
	flat_load_dwordx2 v[18:19], v[14:15]
	s_add_i32 s16, s16, -1
	s_add_u32 s20, s20, s24
	s_addc_u32 s21, s21, s25
	v_add_co_u32_e32 v14, vcc, s18, v2
	s_add_u32 s18, s18, s26
	v_addc_co_u32_e32 v15, vcc, v11, v3, vcc
	s_addc_u32 s19, s19, s27
	s_cmp_eq_u32 s16, 0
	s_waitcnt vmcnt(0) lgkmcnt(0)
	v_mul_f32_e32 v11, v18, v16
	v_mul_f32_e32 v13, v19, v16
	v_pk_mul_f32 v[16:17], v[0:1], v[16:17] op_sel_hi:[1,0]
	v_fma_f32 v20, v0, v12, -v11
	v_fma_f32 v21, v1, v12, -v13
	v_pk_fma_f32 v[0:1], v[18:19], v[12:13], v[16:17] op_sel_hi:[1,0,1]
	flat_store_dwordx2 v[14:15], v[20:21]
	s_cbranch_scc0 .LBB160_24
	s_branch .LBB160_9
.LBB160_25:
	s_endpgm
	.section	.rodata,"a",@progbits
	.p2align	6, 0x0
	.amdhsa_kernel _ZN9rocsolver6v33100L12bdsqr_rotateI19rocblas_complex_numIfEfPKPS3_S4_S6_EEviiiiT1_iilT2_iilT3_iiliPiPT0_ilSA_
		.amdhsa_group_segment_fixed_size 0
		.amdhsa_private_segment_fixed_size 0
		.amdhsa_kernarg_size 392
		.amdhsa_user_sgpr_count 6
		.amdhsa_user_sgpr_private_segment_buffer 1
		.amdhsa_user_sgpr_dispatch_ptr 0
		.amdhsa_user_sgpr_queue_ptr 0
		.amdhsa_user_sgpr_kernarg_segment_ptr 1
		.amdhsa_user_sgpr_dispatch_id 0
		.amdhsa_user_sgpr_flat_scratch_init 0
		.amdhsa_user_sgpr_kernarg_preload_length 0
		.amdhsa_user_sgpr_kernarg_preload_offset 0
		.amdhsa_user_sgpr_private_segment_size 0
		.amdhsa_uses_dynamic_stack 0
		.amdhsa_system_sgpr_private_segment_wavefront_offset 0
		.amdhsa_system_sgpr_workgroup_id_x 1
		.amdhsa_system_sgpr_workgroup_id_y 1
		.amdhsa_system_sgpr_workgroup_id_z 1
		.amdhsa_system_sgpr_workgroup_info 0
		.amdhsa_system_vgpr_workitem_id 0
		.amdhsa_next_free_vgpr 22
		.amdhsa_next_free_sgpr 48
		.amdhsa_accum_offset 24
		.amdhsa_reserve_vcc 1
		.amdhsa_reserve_flat_scratch 0
		.amdhsa_float_round_mode_32 0
		.amdhsa_float_round_mode_16_64 0
		.amdhsa_float_denorm_mode_32 3
		.amdhsa_float_denorm_mode_16_64 3
		.amdhsa_dx10_clamp 1
		.amdhsa_ieee_mode 1
		.amdhsa_fp16_overflow 0
		.amdhsa_tg_split 0
		.amdhsa_exception_fp_ieee_invalid_op 0
		.amdhsa_exception_fp_denorm_src 0
		.amdhsa_exception_fp_ieee_div_zero 0
		.amdhsa_exception_fp_ieee_overflow 0
		.amdhsa_exception_fp_ieee_underflow 0
		.amdhsa_exception_fp_ieee_inexact 0
		.amdhsa_exception_int_div_zero 0
	.end_amdhsa_kernel
	.section	.text._ZN9rocsolver6v33100L12bdsqr_rotateI19rocblas_complex_numIfEfPKPS3_S4_S6_EEviiiiT1_iilT2_iilT3_iiliPiPT0_ilSA_,"axG",@progbits,_ZN9rocsolver6v33100L12bdsqr_rotateI19rocblas_complex_numIfEfPKPS3_S4_S6_EEviiiiT1_iilT2_iilT3_iiliPiPT0_ilSA_,comdat
.Lfunc_end160:
	.size	_ZN9rocsolver6v33100L12bdsqr_rotateI19rocblas_complex_numIfEfPKPS3_S4_S6_EEviiiiT1_iilT2_iilT3_iiliPiPT0_ilSA_, .Lfunc_end160-_ZN9rocsolver6v33100L12bdsqr_rotateI19rocblas_complex_numIfEfPKPS3_S4_S6_EEviiiiT1_iilT2_iilT3_iiliPiPT0_ilSA_
                                        ; -- End function
	.section	.AMDGPU.csdata,"",@progbits
; Kernel info:
; codeLenInByte = 1632
; NumSgprs: 52
; NumVgprs: 22
; NumAgprs: 0
; TotalNumVgprs: 22
; ScratchSize: 0
; MemoryBound: 0
; FloatMode: 240
; IeeeMode: 1
; LDSByteSize: 0 bytes/workgroup (compile time only)
; SGPRBlocks: 6
; VGPRBlocks: 2
; NumSGPRsForWavesPerEU: 52
; NumVGPRsForWavesPerEU: 22
; AccumOffset: 24
; Occupancy: 8
; WaveLimiterHint : 1
; COMPUTE_PGM_RSRC2:SCRATCH_EN: 0
; COMPUTE_PGM_RSRC2:USER_SGPR: 6
; COMPUTE_PGM_RSRC2:TRAP_HANDLER: 0
; COMPUTE_PGM_RSRC2:TGID_X_EN: 1
; COMPUTE_PGM_RSRC2:TGID_Y_EN: 1
; COMPUTE_PGM_RSRC2:TGID_Z_EN: 1
; COMPUTE_PGM_RSRC2:TIDIG_COMP_CNT: 0
; COMPUTE_PGM_RSRC3_GFX90A:ACCUM_OFFSET: 5
; COMPUTE_PGM_RSRC3_GFX90A:TG_SPLIT: 0
	.section	.text._ZN9rocsolver6v33100L22bdsqr_update_endpointsI19rocblas_complex_numIfEfEEviPT0_lPiS5_lS6_,"axG",@progbits,_ZN9rocsolver6v33100L22bdsqr_update_endpointsI19rocblas_complex_numIfEfEEviPT0_lPiS5_lS6_,comdat
	.globl	_ZN9rocsolver6v33100L22bdsqr_update_endpointsI19rocblas_complex_numIfEfEEviPT0_lPiS5_lS6_ ; -- Begin function _ZN9rocsolver6v33100L22bdsqr_update_endpointsI19rocblas_complex_numIfEfEEviPT0_lPiS5_lS6_
	.p2align	8
	.type	_ZN9rocsolver6v33100L22bdsqr_update_endpointsI19rocblas_complex_numIfEfEEviPT0_lPiS5_lS6_,@function
_ZN9rocsolver6v33100L22bdsqr_update_endpointsI19rocblas_complex_numIfEfEEviPT0_lPiS5_lS6_: ; @_ZN9rocsolver6v33100L22bdsqr_update_endpointsI19rocblas_complex_numIfEfEEviPT0_lPiS5_lS6_
; %bb.0:
	s_load_dwordx4 s[0:3], s[4:5], 0x28
	s_ashr_i32 s9, s8, 31
	s_lshl_b64 s[10:11], s[8:9], 2
	s_waitcnt lgkmcnt(0)
	s_add_u32 s2, s2, s10
	s_addc_u32 s3, s3, s11
	s_load_dword s2, s[2:3], 0x8
	s_waitcnt lgkmcnt(0)
	s_cmp_lg_u32 s2, 0
	s_cbranch_scc1 .LBB161_31
; %bb.1:
	s_load_dwordx8 s[12:19], s[4:5], 0x8
	s_mul_i32 s1, s8, s1
	s_mul_hi_u32 s2, s8, s0
	s_add_i32 s1, s2, s1
	s_mul_i32 s2, s9, s0
	s_add_i32 s1, s1, s2
	s_mul_i32 s0, s8, s0
	s_lshl_b64 s[0:1], s[0:1], 2
	s_waitcnt lgkmcnt(0)
	s_add_u32 s2, s18, s0
	s_addc_u32 s3, s19, s1
	s_load_dwordx2 s[10:11], s[2:3], 0x4
	s_waitcnt lgkmcnt(0)
	v_cvt_i32_f32_e32 v4, s11
	v_cmp_ge_i32_e32 vcc, s7, v4
	s_cbranch_vccnz .LBB161_31
; %bb.2:
	s_mul_i32 s0, s8, s15
	s_mul_hi_u32 s1, s8, s14
	s_add_i32 s0, s1, s0
	s_mul_i32 s1, s9, s14
	s_load_dword s9, s[4:5], 0x0
	s_load_dword s18, s[4:5], 0x3c
	s_add_i32 s1, s0, s1
	s_mul_i32 s0, s8, s14
	s_lshl_b64 s[0:1], s[0:1], 2
	s_add_u32 s6, s12, s0
	s_waitcnt lgkmcnt(0)
	s_mul_i32 s0, s8, s9
	s_addc_u32 s11, s13, s1
	s_lshl_b32 s0, s0, 1
	s_ashr_i32 s1, s0, 31
	s_lshl_b64 s[0:1], s[0:1], 2
	s_add_u32 s19, s16, s0
	v_cvt_f32_i32_e32 v5, v4
	s_addc_u32 s20, s17, s1
	s_add_u32 s21, s6, -4
	s_addc_u32 s22, s11, -1
	v_mov_b32_e32 v6, 0
	s_branch .LBB161_4
.LBB161_3:                              ;   in Loop: Header=BB161_4 Depth=1
	s_add_i32 s7, s18, s7
	v_cmp_lt_i32_e32 vcc, s7, v4
	v_mov_b32_e32 v0, s23
	v_mov_b32_e32 v1, s16
	global_store_dwordx2 v6, v[0:1], s[4:5] offset:4
	s_cbranch_vccz .LBB161_31
.LBB161_4:                              ; =>This Loop Header: Depth=1
                                        ;     Child Loop BB161_9 Depth 2
                                        ;     Child Loop BB161_14 Depth 2
	;; [unrolled: 1-line block ×3, first 2 shown]
                                        ;       Child Loop BB161_26 Depth 3
	s_lshl_b32 s0, s7, 2
	s_ashr_i32 s1, s0, 31
	s_lshl_b64 s[0:1], s[0:1], 2
	s_add_u32 s4, s19, s0
	s_addc_u32 s5, s20, s1
	global_load_dwordx4 v[0:3], v6, s[4:5]
	s_waitcnt vmcnt(0)
	v_readfirstlane_b32 s0, v0
	s_cmp_eq_u32 s0, 0
	s_cselect_b64 s[0:1], -1, 0
	v_readfirstlane_b32 s12, v1
	v_readfirstlane_b32 s8, v2
	s_and_b64 vcc, exec, s[0:1]
	v_mov_b32_e32 v2, v3
	s_cbranch_vccnz .LBB161_6
; %bb.5:                                ;   in Loop: Header=BB161_4 Depth=1
	s_sub_i32 s9, s8, s12
	v_add_u32_e32 v2, s9, v3
	global_store_dword v6, v2, s[4:5] offset:12
.LBB161_6:                              ;   in Loop: Header=BB161_4 Depth=1
	s_cmp_le_i32 s8, s12
	s_cbranch_scc1 .LBB161_16
; %bb.7:                                ;   in Loop: Header=BB161_4 Depth=1
	s_ashr_i32 s13, s12, 31
	s_lshl_b64 s[14:15], s[12:13], 2
	s_add_u32 s14, s6, s14
	s_addc_u32 s15, s11, s15
	s_branch .LBB161_9
.LBB161_8:                              ;   in Loop: Header=BB161_9 Depth=2
	s_add_i32 s12, s12, 1
	global_store_dword v6, v6, s[14:15]
	s_add_u32 s14, s14, 4
	s_addc_u32 s15, s15, 0
	s_cmp_ge_i32 s12, s8
	s_cselect_b64 s[16:17], -1, 0
	s_mov_b32 s23, s8
	s_andn2_b64 vcc, exec, s[16:17]
	s_cbranch_vccz .LBB161_11
.LBB161_9:                              ;   Parent Loop BB161_4 Depth=1
                                        ; =>  This Inner Loop Header: Depth=2
	global_load_dword v0, v6, s[14:15]
	s_mov_b64 s[16:17], -1
	s_waitcnt vmcnt(0)
	v_cmp_nlt_f32_e64 s[24:25], |v0|, s10
	s_and_b64 vcc, exec, s[24:25]
	s_cbranch_vccz .LBB161_8
; %bb.10:                               ;   in Loop: Header=BB161_9 Depth=2
	s_mov_b32 s23, s12
                                        ; implicit-def: $sgpr12
                                        ; implicit-def: $sgpr14_sgpr15
	s_andn2_b64 vcc, exec, s[16:17]
	s_cbranch_vccnz .LBB161_9
.LBB161_11:                             ;   in Loop: Header=BB161_4 Depth=1
	s_cmp_le_i32 s8, s23
	s_cbranch_scc1 .LBB161_17
.LBB161_12:                             ;   in Loop: Header=BB161_4 Depth=1
	s_ashr_i32 s9, s8, 31
	s_lshl_b64 s[12:13], s[8:9], 2
	s_add_u32 s12, s21, s12
	s_addc_u32 s13, s22, s13
	s_branch .LBB161_14
.LBB161_13:                             ;   in Loop: Header=BB161_14 Depth=2
	s_add_i32 s8, s8, -1
	global_store_dword v6, v6, s[12:13]
	s_add_u32 s12, s12, -4
	s_addc_u32 s13, s13, -1
	s_cmp_le_i32 s8, s23
	s_cselect_b64 s[14:15], -1, 0
	s_mov_b32 s16, s23
	s_andn2_b64 vcc, exec, s[14:15]
	s_cbranch_vccz .LBB161_18
.LBB161_14:                             ;   Parent Loop BB161_4 Depth=1
                                        ; =>  This Inner Loop Header: Depth=2
	global_load_dword v0, v6, s[12:13]
	s_mov_b64 s[14:15], -1
	s_waitcnt vmcnt(0)
	v_cmp_nlt_f32_e64 s[16:17], |v0|, s10
	s_and_b64 vcc, exec, s[16:17]
	s_cbranch_vccz .LBB161_13
; %bb.15:                               ;   in Loop: Header=BB161_14 Depth=2
	s_mov_b32 s16, s8
                                        ; implicit-def: $sgpr8
                                        ; implicit-def: $sgpr12_sgpr13
	s_andn2_b64 vcc, exec, s[14:15]
	s_cbranch_vccnz .LBB161_14
	s_branch .LBB161_18
.LBB161_16:                             ;   in Loop: Header=BB161_4 Depth=1
	s_mov_b32 s23, s12
	s_cmp_le_i32 s8, s23
	s_cbranch_scc0 .LBB161_12
.LBB161_17:                             ;   in Loop: Header=BB161_4 Depth=1
	s_mov_b32 s16, s8
.LBB161_18:                             ;   in Loop: Header=BB161_4 Depth=1
	s_cmp_lt_i32 s23, s16
	s_cselect_b64 s[8:9], -1, 0
	s_and_b64 s[0:1], s[0:1], s[8:9]
	s_andn2_b64 vcc, exec, s[0:1]
	s_mov_b32 s8, s23
	s_cbranch_vccnz .LBB161_3
.LBB161_19:                             ;   Parent Loop BB161_4 Depth=1
                                        ; =>  This Loop Header: Depth=2
                                        ;       Child Loop BB161_26 Depth 3
	s_ashr_i32 s9, s8, 31
	s_lshl_b64 s[0:1], s[8:9], 2
	s_add_u32 s0, s6, s0
	s_addc_u32 s1, s11, s1
	global_load_dword v0, v6, s[0:1]
	s_mov_b64 s[12:13], -1
                                        ; implicit-def: $sgpr9
	s_waitcnt vmcnt(0)
	v_cmp_lt_f32_e64 s[14:15], |v0|, s10
	s_and_b64 vcc, exec, s[14:15]
	s_cbranch_vccz .LBB161_22
; %bb.20:                               ;   in Loop: Header=BB161_19 Depth=2
	s_andn2_b64 vcc, exec, s[12:13]
	s_cbranch_vccz .LBB161_23
.LBB161_21:                             ;   in Loop: Header=BB161_19 Depth=2
	s_cmp_lt_i32 s9, s16
	s_cbranch_scc1 .LBB161_30
	s_branch .LBB161_3
.LBB161_22:                             ;   in Loop: Header=BB161_19 Depth=2
	s_add_i32 s9, s8, 1
	s_cbranch_execnz .LBB161_21
.LBB161_23:                             ;   in Loop: Header=BB161_19 Depth=2
	s_cmp_ge_i32 s23, s8
	global_store_dword v6, v6, s[0:1]
	s_cbranch_scc1 .LBB161_29
; %bb.24:                               ;   in Loop: Header=BB161_19 Depth=2
	s_mov_b64 s[0:1], exec
	v_mbcnt_lo_u32_b32 v0, s0, 0
	v_mbcnt_hi_u32_b32 v0, s1, v0
	v_cmp_eq_u32_e32 vcc, 0, v0
                                        ; implicit-def: $vgpr1
	s_and_saveexec_b64 s[12:13], vcc
	s_cbranch_execz .LBB161_28
; %bb.25:                               ;   in Loop: Header=BB161_19 Depth=2
	global_load_dword v1, v6, s[2:3] offset:12
	s_bcnt1_i32_b64 s0, s[0:1]
	v_cvt_f32_ubyte0_e32 v3, s0
	s_mov_b64 s[14:15], 0
.LBB161_26:                             ;   Parent Loop BB161_4 Depth=1
                                        ;     Parent Loop BB161_19 Depth=2
                                        ; =>    This Inner Loop Header: Depth=3
	s_waitcnt vmcnt(0)
	v_mov_b32_e32 v9, v1
	v_add_f32_e32 v8, v9, v3
	global_atomic_cmpswap v1, v6, v[8:9], s[2:3] offset:12 glc
	s_waitcnt vmcnt(0)
	v_cmp_eq_u32_e64 s[0:1], v1, v9
	s_or_b64 s[14:15], s[0:1], s[14:15]
	s_andn2_b64 exec, exec, s[14:15]
	s_cbranch_execnz .LBB161_26
; %bb.27:                               ;   in Loop: Header=BB161_19 Depth=2
	s_or_b64 exec, exec, s[14:15]
.LBB161_28:                             ;   in Loop: Header=BB161_19 Depth=2
	s_or_b64 exec, exec, s[12:13]
	v_readfirstlane_b32 s0, v1
	v_cvt_f32_ubyte0_e32 v0, v0
	v_add_f32_e32 v0, s0, v0
	v_mov_b32_e32 v1, s0
	v_cndmask_b32_e32 v0, v0, v1, vcc
	v_add_f32_e32 v0, v0, v5
	v_cvt_i32_f32_e32 v0, v0
	v_mov_b32_e32 v3, s20
	v_lshlrev_b32_e32 v0, 2, v0
	v_ashrrev_i32_e32 v1, 31, v0
	v_lshlrev_b64 v[0:1], 2, v[0:1]
	v_add_co_u32_e32 v8, vcc, s19, v0
	v_addc_co_u32_e32 v9, vcc, v3, v1, vcc
	v_mov_b32_e32 v0, s23
	v_mov_b32_e32 v1, s8
	global_store_dwordx3 v[8:9], v[0:2], off offset:4
.LBB161_29:                             ;   in Loop: Header=BB161_19 Depth=2
	s_add_i32 s9, s8, 1
	s_mov_b32 s23, s9
	s_cmp_lt_i32 s9, s16
	s_cbranch_scc0 .LBB161_3
.LBB161_30:                             ;   in Loop: Header=BB161_19 Depth=2
	s_mov_b32 s8, s9
	s_branch .LBB161_19
.LBB161_31:
	s_endpgm
	.section	.rodata,"a",@progbits
	.p2align	6, 0x0
	.amdhsa_kernel _ZN9rocsolver6v33100L22bdsqr_update_endpointsI19rocblas_complex_numIfEfEEviPT0_lPiS5_lS6_
		.amdhsa_group_segment_fixed_size 0
		.amdhsa_private_segment_fixed_size 0
		.amdhsa_kernarg_size 312
		.amdhsa_user_sgpr_count 6
		.amdhsa_user_sgpr_private_segment_buffer 1
		.amdhsa_user_sgpr_dispatch_ptr 0
		.amdhsa_user_sgpr_queue_ptr 0
		.amdhsa_user_sgpr_kernarg_segment_ptr 1
		.amdhsa_user_sgpr_dispatch_id 0
		.amdhsa_user_sgpr_flat_scratch_init 0
		.amdhsa_user_sgpr_kernarg_preload_length 0
		.amdhsa_user_sgpr_kernarg_preload_offset 0
		.amdhsa_user_sgpr_private_segment_size 0
		.amdhsa_uses_dynamic_stack 0
		.amdhsa_system_sgpr_private_segment_wavefront_offset 0
		.amdhsa_system_sgpr_workgroup_id_x 1
		.amdhsa_system_sgpr_workgroup_id_y 1
		.amdhsa_system_sgpr_workgroup_id_z 1
		.amdhsa_system_sgpr_workgroup_info 0
		.amdhsa_system_vgpr_workitem_id 0
		.amdhsa_next_free_vgpr 10
		.amdhsa_next_free_sgpr 26
		.amdhsa_accum_offset 12
		.amdhsa_reserve_vcc 1
		.amdhsa_reserve_flat_scratch 0
		.amdhsa_float_round_mode_32 0
		.amdhsa_float_round_mode_16_64 0
		.amdhsa_float_denorm_mode_32 3
		.amdhsa_float_denorm_mode_16_64 3
		.amdhsa_dx10_clamp 1
		.amdhsa_ieee_mode 1
		.amdhsa_fp16_overflow 0
		.amdhsa_tg_split 0
		.amdhsa_exception_fp_ieee_invalid_op 0
		.amdhsa_exception_fp_denorm_src 0
		.amdhsa_exception_fp_ieee_div_zero 0
		.amdhsa_exception_fp_ieee_overflow 0
		.amdhsa_exception_fp_ieee_underflow 0
		.amdhsa_exception_fp_ieee_inexact 0
		.amdhsa_exception_int_div_zero 0
	.end_amdhsa_kernel
	.section	.text._ZN9rocsolver6v33100L22bdsqr_update_endpointsI19rocblas_complex_numIfEfEEviPT0_lPiS5_lS6_,"axG",@progbits,_ZN9rocsolver6v33100L22bdsqr_update_endpointsI19rocblas_complex_numIfEfEEviPT0_lPiS5_lS6_,comdat
.Lfunc_end161:
	.size	_ZN9rocsolver6v33100L22bdsqr_update_endpointsI19rocblas_complex_numIfEfEEviPT0_lPiS5_lS6_, .Lfunc_end161-_ZN9rocsolver6v33100L22bdsqr_update_endpointsI19rocblas_complex_numIfEfEEviPT0_lPiS5_lS6_
                                        ; -- End function
	.section	.AMDGPU.csdata,"",@progbits
; Kernel info:
; codeLenInByte = 892
; NumSgprs: 30
; NumVgprs: 10
; NumAgprs: 0
; TotalNumVgprs: 10
; ScratchSize: 0
; MemoryBound: 0
; FloatMode: 240
; IeeeMode: 1
; LDSByteSize: 0 bytes/workgroup (compile time only)
; SGPRBlocks: 3
; VGPRBlocks: 1
; NumSGPRsForWavesPerEU: 30
; NumVGPRsForWavesPerEU: 10
; AccumOffset: 12
; Occupancy: 8
; WaveLimiterHint : 1
; COMPUTE_PGM_RSRC2:SCRATCH_EN: 0
; COMPUTE_PGM_RSRC2:USER_SGPR: 6
; COMPUTE_PGM_RSRC2:TRAP_HANDLER: 0
; COMPUTE_PGM_RSRC2:TGID_X_EN: 1
; COMPUTE_PGM_RSRC2:TGID_Y_EN: 1
; COMPUTE_PGM_RSRC2:TGID_Z_EN: 1
; COMPUTE_PGM_RSRC2:TIDIG_COMP_CNT: 0
; COMPUTE_PGM_RSRC3_GFX90A:ACCUM_OFFSET: 2
; COMPUTE_PGM_RSRC3_GFX90A:TG_SPLIT: 0
	.section	.text._ZN9rocsolver6v33100L19bdsqr_chk_completedI19rocblas_complex_numIfEfEEviiPiPT0_lS4_,"axG",@progbits,_ZN9rocsolver6v33100L19bdsqr_chk_completedI19rocblas_complex_numIfEfEEviiPiPT0_lS4_,comdat
	.globl	_ZN9rocsolver6v33100L19bdsqr_chk_completedI19rocblas_complex_numIfEfEEviiPiPT0_lS4_ ; -- Begin function _ZN9rocsolver6v33100L19bdsqr_chk_completedI19rocblas_complex_numIfEfEEviiPiPT0_lS4_
	.p2align	8
	.type	_ZN9rocsolver6v33100L19bdsqr_chk_completedI19rocblas_complex_numIfEfEEviiPiPT0_lS4_,@function
_ZN9rocsolver6v33100L19bdsqr_chk_completedI19rocblas_complex_numIfEfEEviiPiPT0_lS4_: ; @_ZN9rocsolver6v33100L19bdsqr_chk_completedI19rocblas_complex_numIfEfEEviiPiPT0_lS4_
; %bb.0:
	s_load_dwordx8 s[8:15], s[4:5], 0x8
	s_mov_b32 s2, s7
	s_ashr_i32 s3, s7, 31
	s_lshl_b64 s[0:1], s[2:3], 2
	s_waitcnt lgkmcnt(0)
	s_add_u32 s0, s14, s0
	s_addc_u32 s1, s15, s1
	s_load_dword s6, s[0:1], 0x8
	s_waitcnt lgkmcnt(0)
	s_cmp_lg_u32 s6, 0
	s_cbranch_scc0 .LBB162_2
.LBB162_1:
	s_endpgm
.LBB162_2:
	s_mul_i32 s6, s2, s13
	s_mul_hi_u32 s7, s2, s12
	s_add_i32 s6, s7, s6
	s_mul_i32 s3, s3, s12
	s_add_i32 s7, s6, s3
	s_mul_i32 s6, s2, s12
	s_lshl_b64 s[6:7], s[6:7], 2
	s_add_u32 s6, s10, s6
	s_addc_u32 s7, s11, s7
	s_load_dwordx2 s[10:11], s[6:7], 0x8
	s_load_dword s3, s[14:15], 0x4
	v_mov_b32_e32 v3, 0
	s_waitcnt lgkmcnt(0)
	v_mov_b32_e32 v0, s11
	v_add_f32_e32 v0, s10, v0
	v_cvt_i32_f32_e32 v0, v0
	v_cvt_f32_i32_e32 v2, v0
	v_cmp_ge_i32_e32 vcc, s3, v0
	global_store_dwordx2 v3, v[2:3], s[6:7] offset:8
	s_cbranch_vccnz .LBB162_6
; %bb.3:
	s_mov_b64 s[6:7], 0
	v_mov_b32_e32 v1, s3
.LBB162_4:                              ; =>This Inner Loop Header: Depth=1
	global_atomic_cmpswap v1, v3, v[0:1], s[14:15] offset:4 glc
	s_waitcnt vmcnt(0)
	v_cmp_ge_i32_e32 vcc, v1, v0
	s_or_b64 s[6:7], vcc, s[6:7]
	s_andn2_b64 exec, exec, s[6:7]
	s_cbranch_execnz .LBB162_4
; %bb.5:
	s_or_b64 exec, exec, s[6:7]
.LBB162_6:
	v_cmp_gt_i32_e32 vcc, 1, v0
	s_cbranch_vccnz .LBB162_14
; %bb.7:
	s_load_dwordx2 s[4:5], s[4:5], 0x0
	v_mov_b32_e32 v1, 0
	s_waitcnt lgkmcnt(0)
	s_mul_i32 s2, s2, s4
	s_lshl_b32 s2, s2, 1
	s_ashr_i32 s3, s2, 31
	s_lshl_b64 s[2:3], s[2:3], 2
	s_add_u32 s2, s2, s8
	s_addc_u32 s3, s3, s9
	s_add_u32 s2, s2, 12
	s_addc_u32 s3, s3, 0
	s_branch .LBB162_9
.LBB162_8:                              ;   in Loop: Header=BB162_9 Depth=1
	v_add_u32_e32 v0, -1, v0
	s_add_u32 s2, s2, 16
	s_addc_u32 s3, s3, 0
	s_mov_b64 s[6:7], 0
	v_cmp_eq_u32_e64 s[8:9], 0, v0
	s_andn2_b64 vcc, exec, s[8:9]
	s_cbranch_vccz .LBB162_13
.LBB162_9:                              ; =>This Inner Loop Header: Depth=1
	global_load_dwordx2 v[2:3], v1, s[2:3] offset:-8
	s_mov_b64 s[8:9], -1
                                        ; implicit-def: $sgpr6_sgpr7
	s_waitcnt vmcnt(0)
	v_cmp_ge_i32_e32 vcc, v2, v3
	s_cbranch_vccnz .LBB162_11
; %bb.10:                               ;   in Loop: Header=BB162_9 Depth=1
	global_load_dword v2, v1, s[2:3]
	s_mov_b64 s[6:7], -1
	s_waitcnt vmcnt(0)
	v_cmp_le_i32_e64 s[8:9], s5, v2
.LBB162_11:                             ;   in Loop: Header=BB162_9 Depth=1
	s_andn2_b64 vcc, exec, s[8:9]
	s_cbranch_vccz .LBB162_8
; %bb.12:
                                        ; implicit-def: $vgpr0
                                        ; implicit-def: $sgpr2_sgpr3
.LBB162_13:
	s_xor_b64 s[2:3], s[6:7], -1
	s_and_b64 vcc, exec, s[2:3]
	s_cbranch_vccz .LBB162_1
	s_branch .LBB162_15
.LBB162_14:
	s_cbranch_execz .LBB162_1
.LBB162_15:
	s_mov_b64 s[2:3], exec
	v_mov_b32_e32 v0, 0
	v_mov_b32_e32 v1, 1
	global_store_dword v0, v1, s[0:1] offset:8
	v_mbcnt_lo_u32_b32 v1, s2, 0
	v_mbcnt_hi_u32_b32 v1, s3, v1
	v_cmp_eq_u32_e32 vcc, 0, v1
	s_and_saveexec_b64 s[0:1], vcc
	s_cbranch_execz .LBB162_1
; %bb.16:
	s_bcnt1_i32_b64 s0, s[2:3]
	v_mov_b32_e32 v1, s0
	global_atomic_add v0, v1, s[14:15]
	s_endpgm
	.section	.rodata,"a",@progbits
	.p2align	6, 0x0
	.amdhsa_kernel _ZN9rocsolver6v33100L19bdsqr_chk_completedI19rocblas_complex_numIfEfEEviiPiPT0_lS4_
		.amdhsa_group_segment_fixed_size 0
		.amdhsa_private_segment_fixed_size 0
		.amdhsa_kernarg_size 40
		.amdhsa_user_sgpr_count 6
		.amdhsa_user_sgpr_private_segment_buffer 1
		.amdhsa_user_sgpr_dispatch_ptr 0
		.amdhsa_user_sgpr_queue_ptr 0
		.amdhsa_user_sgpr_kernarg_segment_ptr 1
		.amdhsa_user_sgpr_dispatch_id 0
		.amdhsa_user_sgpr_flat_scratch_init 0
		.amdhsa_user_sgpr_kernarg_preload_length 0
		.amdhsa_user_sgpr_kernarg_preload_offset 0
		.amdhsa_user_sgpr_private_segment_size 0
		.amdhsa_uses_dynamic_stack 0
		.amdhsa_system_sgpr_private_segment_wavefront_offset 0
		.amdhsa_system_sgpr_workgroup_id_x 1
		.amdhsa_system_sgpr_workgroup_id_y 1
		.amdhsa_system_sgpr_workgroup_id_z 0
		.amdhsa_system_sgpr_workgroup_info 0
		.amdhsa_system_vgpr_workitem_id 0
		.amdhsa_next_free_vgpr 4
		.amdhsa_next_free_sgpr 16
		.amdhsa_accum_offset 4
		.amdhsa_reserve_vcc 1
		.amdhsa_reserve_flat_scratch 0
		.amdhsa_float_round_mode_32 0
		.amdhsa_float_round_mode_16_64 0
		.amdhsa_float_denorm_mode_32 3
		.amdhsa_float_denorm_mode_16_64 3
		.amdhsa_dx10_clamp 1
		.amdhsa_ieee_mode 1
		.amdhsa_fp16_overflow 0
		.amdhsa_tg_split 0
		.amdhsa_exception_fp_ieee_invalid_op 0
		.amdhsa_exception_fp_denorm_src 0
		.amdhsa_exception_fp_ieee_div_zero 0
		.amdhsa_exception_fp_ieee_overflow 0
		.amdhsa_exception_fp_ieee_underflow 0
		.amdhsa_exception_fp_ieee_inexact 0
		.amdhsa_exception_int_div_zero 0
	.end_amdhsa_kernel
	.section	.text._ZN9rocsolver6v33100L19bdsqr_chk_completedI19rocblas_complex_numIfEfEEviiPiPT0_lS4_,"axG",@progbits,_ZN9rocsolver6v33100L19bdsqr_chk_completedI19rocblas_complex_numIfEfEEviiPiPT0_lS4_,comdat
.Lfunc_end162:
	.size	_ZN9rocsolver6v33100L19bdsqr_chk_completedI19rocblas_complex_numIfEfEEviiPiPT0_lS4_, .Lfunc_end162-_ZN9rocsolver6v33100L19bdsqr_chk_completedI19rocblas_complex_numIfEfEEviiPiPT0_lS4_
                                        ; -- End function
	.section	.AMDGPU.csdata,"",@progbits
; Kernel info:
; codeLenInByte = 424
; NumSgprs: 20
; NumVgprs: 4
; NumAgprs: 0
; TotalNumVgprs: 4
; ScratchSize: 0
; MemoryBound: 0
; FloatMode: 240
; IeeeMode: 1
; LDSByteSize: 0 bytes/workgroup (compile time only)
; SGPRBlocks: 2
; VGPRBlocks: 0
; NumSGPRsForWavesPerEU: 20
; NumVGPRsForWavesPerEU: 4
; AccumOffset: 4
; Occupancy: 8
; WaveLimiterHint : 0
; COMPUTE_PGM_RSRC2:SCRATCH_EN: 0
; COMPUTE_PGM_RSRC2:USER_SGPR: 6
; COMPUTE_PGM_RSRC2:TRAP_HANDLER: 0
; COMPUTE_PGM_RSRC2:TGID_X_EN: 1
; COMPUTE_PGM_RSRC2:TGID_Y_EN: 1
; COMPUTE_PGM_RSRC2:TGID_Z_EN: 0
; COMPUTE_PGM_RSRC2:TIDIG_COMP_CNT: 0
; COMPUTE_PGM_RSRC3_GFX90A:ACCUM_OFFSET: 0
; COMPUTE_PGM_RSRC3_GFX90A:TG_SPLIT: 0
	.section	.text._ZN9rocsolver6v33100L14bdsqr_finalizeI19rocblas_complex_numIfEfPKPS3_S4_S6_EEviiiiPT0_lS8_lT1_iilT2_iilT3_iilPiSC_SC_,"axG",@progbits,_ZN9rocsolver6v33100L14bdsqr_finalizeI19rocblas_complex_numIfEfPKPS3_S4_S6_EEviiiiPT0_lS8_lT1_iilT2_iilT3_iilPiSC_SC_,comdat
	.globl	_ZN9rocsolver6v33100L14bdsqr_finalizeI19rocblas_complex_numIfEfPKPS3_S4_S6_EEviiiiPT0_lS8_lT1_iilT2_iilT3_iilPiSC_SC_ ; -- Begin function _ZN9rocsolver6v33100L14bdsqr_finalizeI19rocblas_complex_numIfEfPKPS3_S4_S6_EEviiiiPT0_lS8_lT1_iilT2_iilT3_iilPiSC_SC_
	.p2align	8
	.type	_ZN9rocsolver6v33100L14bdsqr_finalizeI19rocblas_complex_numIfEfPKPS3_S4_S6_EEviiiiPT0_lS8_lT1_iilT2_iilT3_iilPiSC_SC_,@function
_ZN9rocsolver6v33100L14bdsqr_finalizeI19rocblas_complex_numIfEfPKPS3_S4_S6_EEviiiiPT0_lS8_lT1_iilT2_iilT3_iilPiSC_SC_: ; @_ZN9rocsolver6v33100L14bdsqr_finalizeI19rocblas_complex_numIfEfPKPS3_S4_S6_EEviiiiPT0_lS8_lT1_iilT2_iilT3_iilPiSC_SC_
; %bb.0:
	s_add_u32 flat_scratch_lo, s6, s10
	s_addc_u32 flat_scratch_hi, s7, 0
	s_load_dwordx2 s[6:7], s[4:5], 0x88
	s_add_u32 s0, s0, s10
	s_addc_u32 s1, s1, 0
	s_mov_b32 s12, s9
	s_ashr_i32 s13, s9, 31
	s_lshl_b64 s[26:27], s[12:13], 2
	s_waitcnt lgkmcnt(0)
	s_add_u32 s6, s6, s26
	s_addc_u32 s7, s7, s27
	s_load_dword s6, s[6:7], 0x8
	s_mov_b32 s32, 0
	s_waitcnt lgkmcnt(0)
	s_cmp_gt_i32 s6, 1
	s_cbranch_scc1 .LBB163_264
; %bb.1:
	s_load_dwordx2 s[6:7], s[4:5], 0x9c
	s_load_dwordx4 s[56:59], s[4:5], 0x30
	s_load_dwordx8 s[44:51], s[4:5], 0x10
	s_mov_b64 s[34:35], 0
	s_mov_b64 s[28:29], 0
	s_waitcnt lgkmcnt(0)
	s_and_b32 s7, s7, 0xffff
	s_cmp_eq_u64 s[56:57], 0
	s_cbranch_scc1 .LBB163_3
; %bb.2:
	s_lshl_b64 s[8:9], s[12:13], 3
	s_add_u32 s8, s56, s8
	s_addc_u32 s9, s57, s9
	s_load_dwordx2 s[8:9], s[8:9], 0x0
	s_ashr_i32 s11, s58, 31
	s_mov_b32 s10, s58
	s_lshl_b64 s[10:11], s[10:11], 3
	s_waitcnt lgkmcnt(0)
	s_add_u32 s28, s8, s10
	s_addc_u32 s29, s9, s11
.LBB163_3:
	s_load_dwordx8 s[36:43], s[4:5], 0x48
	s_waitcnt lgkmcnt(0)
	s_cmp_eq_u64 s[36:37], 0
	s_cbranch_scc1 .LBB163_5
; %bb.4:
	s_mul_i32 s10, s12, s41
	s_mul_hi_u32 s11, s12, s40
	s_add_i32 s10, s11, s10
	s_mul_i32 s11, s13, s40
	s_add_i32 s11, s10, s11
	s_mul_i32 s10, s12, s40
	s_ashr_i32 s9, s38, 31
	s_lshl_b64 s[10:11], s[10:11], 3
	s_mov_b32 s8, s38
	s_add_u32 s10, s36, s10
	s_addc_u32 s11, s37, s11
	s_lshl_b64 s[8:9], s[8:9], 3
	s_add_u32 s34, s10, s8
	s_addc_u32 s35, s11, s9
.LBB163_5:
	s_load_dwordx4 s[52:55], s[4:5], 0x78
	s_load_dwordx2 s[56:57], s[4:5], 0x68
	s_cmp_eq_u64 s[42:43], 0
	s_mov_b64 s[36:37], 0
	s_cbranch_scc1 .LBB163_7
; %bb.6:
	s_lshl_b64 s[8:9], s[12:13], 3
	s_add_u32 s8, s42, s8
	s_addc_u32 s9, s43, s9
	s_load_dwordx2 s[8:9], s[8:9], 0x0
	s_waitcnt lgkmcnt(0)
	s_ashr_i32 s11, s56, 31
	s_mov_b32 s10, s56
	s_lshl_b64 s[10:11], s[10:11], 3
	s_add_u32 s36, s8, s10
	s_addc_u32 s37, s9, s11
.LBB163_7:
	s_mul_i32 s8, s12, s47
	s_mul_hi_u32 s9, s12, s46
	s_add_i32 s8, s9, s8
	s_mul_i32 s9, s13, s46
	s_add_i32 s9, s8, s9
	s_mul_i32 s8, s12, s46
	s_lshl_b64 s[60:61], s[8:9], 2
	s_add_u32 s46, s44, s60
	s_load_dwordx4 s[40:43], s[4:5], 0x0
	s_addc_u32 s47, s45, s61
	s_lshr_b32 s8, s6, 16
	s_and_b32 s38, s6, 0xffff
	v_bfe_u32 v43, v0, 10, 10
	v_bfe_u32 v44, v0, 20, 10
	s_mul_i32 s58, s8, s38
	v_and_b32_e32 v42, 0x3ff, v0
	v_mul_u32_u24_e32 v1, s38, v43
	v_mul_lo_u32 v0, s58, v44
	v_add3_u32 v41, v1, v42, v0
	s_and_b32 s6, s7, 0xffff
	s_mul_i32 s58, s58, s6
	s_waitcnt lgkmcnt(0)
	s_cmp_lt_i32 s40, 1
	v_cmp_eq_u32_e64 s[6:7], 0, v41
	s_cbranch_scc1 .LBB163_22
; %bb.8:
	s_mul_i32 s8, s12, s51
	s_mul_hi_u32 s9, s12, s50
	s_add_i32 s8, s9, s8
	s_mul_i32 s9, s13, s50
	s_add_i32 s9, s8, s9
	s_mul_i32 s8, s12, s50
	s_lshl_b64 s[8:9], s[8:9], 2
	s_add_u32 s13, s48, s8
	s_addc_u32 s22, s49, s9
	s_add_i32 s23, s40, -1
	s_cmp_lg_u32 s41, 0
	s_cselect_b64 s[10:11], -1, 0
	s_mov_b32 s15, 0
	v_cndmask_b32_e64 v0, 0, 1, s[10:11]
	v_cmp_gt_u32_e64 s[8:9], s41, v41
	s_ashr_i32 s24, s59, 31
	s_mov_b32 s25, s59
	v_mov_b32_e32 v2, 0
	v_cmp_ne_u32_e64 s[10:11], 1, v0
	v_mov_b32_e32 v3, s29
	s_mov_b32 s14, s15
	s_mov_b32 s56, s15
	s_branch .LBB163_11
.LBB163_9:                              ;   in Loop: Header=BB163_11 Depth=1
	s_or_b64 exec, exec, s[18:19]
.LBB163_10:                             ;   in Loop: Header=BB163_11 Depth=1
	s_add_i32 s14, s14, 1
	s_cmp_eq_u32 s14, s40
	s_cbranch_scc1 .LBB163_23
.LBB163_11:                             ; =>This Loop Header: Depth=1
                                        ;     Child Loop BB163_18 Depth 2
	s_cmp_ge_i32 s14, s23
	s_cbranch_scc1 .LBB163_14
; %bb.12:                               ;   in Loop: Header=BB163_11 Depth=1
	s_lshl_b64 s[16:17], s[14:15], 2
	s_add_u32 s16, s13, s16
	s_addc_u32 s17, s22, s17
	global_load_dword v0, v2, s[16:17]
	s_waitcnt vmcnt(0)
	v_cmp_eq_f32_e32 vcc, 0, v0
	s_cbranch_vccnz .LBB163_14
; %bb.13:                               ;   in Loop: Header=BB163_11 Depth=1
	s_add_i32 s56, s56, 1
.LBB163_14:                             ;   in Loop: Header=BB163_11 Depth=1
	s_lshl_b64 s[16:17], s[14:15], 2
	s_add_u32 s16, s46, s16
	s_addc_u32 s17, s47, s17
	global_load_dword v0, v2, s[16:17]
	s_waitcnt vmcnt(0)
	v_cmp_ngt_f32_e32 vcc, 0, v0
	s_cbranch_vccnz .LBB163_10
; %bb.15:                               ;   in Loop: Header=BB163_11 Depth=1
	s_and_b64 vcc, exec, s[10:11]
	s_cbranch_vccnz .LBB163_20
; %bb.16:                               ;   in Loop: Header=BB163_11 Depth=1
	s_and_saveexec_b64 s[18:19], s[8:9]
	s_cbranch_execz .LBB163_19
; %bb.17:                               ;   in Loop: Header=BB163_11 Depth=1
	s_mov_b64 s[20:21], 0
	v_pk_mov_b32 v[0:1], s[14:15], s[14:15] op_sel:[0,1]
	v_mov_b32_e32 v4, v41
.LBB163_18:                             ;   Parent Loop BB163_11 Depth=1
                                        ; =>  This Inner Loop Header: Depth=2
	v_mad_u64_u32 v[6:7], s[30:31], v4, s25, v[0:1]
	v_mov_b32_e32 v8, v7
	v_mad_u64_u32 v[8:9], s[30:31], v4, s24, v[8:9]
	v_mov_b32_e32 v7, v8
	v_lshlrev_b64 v[6:7], 3, v[6:7]
	v_add_co_u32_e32 v6, vcc, s28, v6
	v_addc_co_u32_e32 v7, vcc, v3, v7, vcc
	flat_load_dwordx2 v[8:9], v[6:7]
	v_add_u32_e32 v4, s58, v4
	v_cmp_le_u32_e32 vcc, s41, v4
	s_or_b64 s[20:21], vcc, s[20:21]
	s_waitcnt vmcnt(0) lgkmcnt(0)
	v_pk_add_f32 v[8:9], v[8:9], 0 neg_lo:[1,1] neg_hi:[1,1]
	flat_store_dwordx2 v[6:7], v[8:9]
	s_andn2_b64 exec, exec, s[20:21]
	s_cbranch_execnz .LBB163_18
.LBB163_19:                             ;   in Loop: Header=BB163_11 Depth=1
	s_or_b64 exec, exec, s[18:19]
	s_waitcnt lgkmcnt(0)
	s_barrier
.LBB163_20:                             ;   in Loop: Header=BB163_11 Depth=1
	s_and_saveexec_b64 s[18:19], s[6:7]
	s_cbranch_execz .LBB163_9
; %bb.21:                               ;   in Loop: Header=BB163_11 Depth=1
	global_load_dword v0, v2, s[16:17]
	s_waitcnt vmcnt(0)
	v_xor_b32_e32 v0, 0x80000000, v0
	global_store_dword v2, v0, s[16:17]
	s_branch .LBB163_9
.LBB163_22:
	s_mov_b32 s56, 0
.LBB163_23:
	s_cmp_lt_i32 s56, 1
	s_mov_b64 s[6:7], -1
	s_cbranch_scc0 .LBB163_261
; %bb.24:
	s_mul_i32 s6, s12, s40
	s_lshl_b32 s6, s6, 1
	s_ashr_i32 s7, s6, 31
	s_lshl_b64 s[6:7], s[6:7], 2
	s_add_u32 s6, s54, s6
	s_addc_u32 s7, s55, s7
	s_cmp_lg_u64 s[54:55], 0
	s_cselect_b32 s51, s7, 0
	s_cselect_b32 s50, s6, 0
	s_mov_b64 s[62:63], 0
	s_cmp_lg_u64 s[50:51], 0
	s_barrier
	s_cbranch_scc0 .LBB163_40
; %bb.25:
	s_or_b32 s6, s42, s41
	s_or_b32 s8, s6, s43
	s_cmp_gt_i32 s40, 0
	s_cselect_b64 s[64:65], -1, 0
	s_cmp_lg_u64 s[44:45], 0
	s_cselect_b64 s[6:7], -1, 0
	s_and_b64 s[48:49], s[64:65], s[6:7]
	s_cmp_eq_u32 s8, 0
	s_cbranch_scc1 .LBB163_41
; %bb.26:
	s_mov_b64 s[66:67], -1
	s_mov_b64 s[54:55], 0
	s_and_b64 vcc, exec, s[48:49]
	s_cbranch_vccz .LBB163_119
; %bb.27:
	v_cmp_gt_u32_e32 vcc, s40, v41
	s_barrier
	s_and_saveexec_b64 s[6:7], vcc
	s_cbranch_execz .LBB163_30
; %bb.28:
	s_mov_b64 s[8:9], 0
	v_mov_b32_e32 v1, 0
	v_mov_b32_e32 v2, s51
	v_mov_b32_e32 v0, v41
.LBB163_29:                             ; =>This Inner Loop Header: Depth=1
	v_lshlrev_b64 v[4:5], 2, v[0:1]
	v_add_co_u32_e32 v4, vcc, s50, v4
	v_addc_co_u32_e32 v5, vcc, v2, v5, vcc
	global_store_dword v[4:5], v0, off
	v_add_u32_e32 v0, s58, v0
	v_cmp_le_u32_e32 vcc, s40, v0
	s_or_b64 s[8:9], vcc, s[8:9]
	s_andn2_b64 exec, exec, s[8:9]
	s_cbranch_execnz .LBB163_29
.LBB163_30:
	s_or_b64 exec, exec, s[6:7]
	v_or3_b32 v0, v43, v44, v42
	v_cmp_eq_u32_e32 vcc, 0, v0
	s_barrier
	s_and_saveexec_b64 s[6:7], vcc
	s_cbranch_execz .LBB163_103
; %bb.31:
	s_cmpk_lt_i32 s40, 0x2be
	s_cbranch_scc1 .LBB163_42
; %bb.32:
	s_add_u32 s8, s50, 0xaf4
	s_addc_u32 s9, s51, 0
	s_mov_b64 s[10:11], 0x2bd
	v_mov_b32_e32 v0, 0
	s_mov_b64 s[12:13], s[46:47]
	s_branch .LBB163_34
.LBB163_33:                             ;   in Loop: Header=BB163_34 Depth=1
	s_lshl_b64 s[14:15], s[14:15], 2
	s_add_u32 s16, s46, s14
	s_addc_u32 s17, s47, s15
	s_add_u32 s14, s50, s14
	s_addc_u32 s15, s51, s15
	;; [unrolled: 2-line block ×5, first 2 shown]
	s_cmp_eq_u32 s10, s40
	global_store_dword v0, v2, s[16:17]
	global_store_dword v0, v1, s[14:15]
	s_cbranch_scc1 .LBB163_42
.LBB163_34:                             ; =>This Loop Header: Depth=1
                                        ;     Child Loop BB163_36 Depth 2
	s_lshl_b64 s[14:15], s[10:11], 2
	s_and_b32 s15, s15, 3
	s_add_u32 s16, s46, s14
	s_addc_u32 s17, s47, s15
	s_add_u32 s14, s50, s14
	s_addc_u32 s15, s51, s15
	global_load_dword v2, v0, s[16:17]
	global_load_dword v1, v0, s[14:15]
	s_mov_b64 s[16:17], s[12:13]
	s_mov_b64 s[18:19], s[8:9]
	;; [unrolled: 1-line block ×3, first 2 shown]
	s_branch .LBB163_36
.LBB163_35:                             ;   in Loop: Header=BB163_36 Depth=2
	global_load_dword v4, v0, s[18:19] offset:-2804
	s_add_u32 s30, s18, 0xfffff50c
	s_addc_u32 s31, s19, -1
	s_add_u32 s22, s14, 0xfffffd43
	s_addc_u32 s23, s15, -1
	global_store_dword v0, v3, s[16:17] offset:2804
	s_add_u32 s16, s16, 0xfffff50c
	s_addc_u32 s17, s17, -1
	s_cmpk_lt_i32 s14, 0x57a
	s_mov_b64 s[20:21], 0
	s_mov_b64 s[14:15], s[22:23]
	s_cselect_b64 s[24:25], -1, 0
	s_waitcnt vmcnt(1)
	global_store_dword v0, v4, s[18:19]
	s_mov_b64 s[18:19], s[30:31]
	s_andn2_b64 vcc, exec, s[24:25]
	s_cbranch_vccz .LBB163_38
.LBB163_36:                             ;   Parent Loop BB163_34 Depth=1
                                        ; =>  This Inner Loop Header: Depth=2
	global_load_dword v3, v0, s[16:17]
	s_mov_b64 s[20:21], -1
	s_waitcnt vmcnt(0)
	v_cmp_nlt_f32_e32 vcc, v3, v2
	s_cbranch_vccz .LBB163_35
; %bb.37:                               ;   in Loop: Header=BB163_34 Depth=1
                                        ; implicit-def: $sgpr18_sgpr19
                                        ; implicit-def: $sgpr16_sgpr17
                                        ; implicit-def: $sgpr22_sgpr23
.LBB163_38:                             ;   in Loop: Header=BB163_34 Depth=1
	s_andn2_b64 vcc, exec, s[20:21]
	s_cbranch_vccz .LBB163_33
; %bb.39:                               ;   in Loop: Header=BB163_34 Depth=1
	s_bfe_i64 s[14:15], s[22:23], 0x200000
	s_branch .LBB163_33
.LBB163_40:
	s_branch .LBB163_237
.LBB163_41:
	s_mov_b64 s[54:55], 0
	s_cbranch_execnz .LBB163_144
	s_branch .LBB163_232
.LBB163_42:
	s_cmpk_lt_i32 s40, 0x12e
	s_cbranch_scc1 .LBB163_51
; %bb.43:
	s_add_u32 s8, s50, 0x4b4
	s_addc_u32 s9, s51, 0
	s_mov_b64 s[10:11], 0x12d
	v_mov_b32_e32 v0, 0
	s_mov_b64 s[12:13], s[46:47]
	s_branch .LBB163_45
.LBB163_44:                             ;   in Loop: Header=BB163_45 Depth=1
	s_lshl_b64 s[14:15], s[14:15], 2
	s_add_u32 s16, s46, s14
	s_addc_u32 s17, s47, s15
	s_add_u32 s14, s50, s14
	s_addc_u32 s15, s51, s15
	;; [unrolled: 2-line block ×5, first 2 shown]
	s_cmp_lg_u32 s10, s40
	global_store_dword v0, v2, s[16:17]
	global_store_dword v0, v1, s[14:15]
	s_cbranch_scc0 .LBB163_51
.LBB163_45:                             ; =>This Loop Header: Depth=1
                                        ;     Child Loop BB163_47 Depth 2
	s_lshl_b64 s[14:15], s[10:11], 2
	s_and_b32 s15, s15, 3
	s_add_u32 s16, s46, s14
	s_addc_u32 s17, s47, s15
	s_add_u32 s14, s50, s14
	s_addc_u32 s15, s51, s15
	global_load_dword v2, v0, s[16:17]
	global_load_dword v1, v0, s[14:15]
	s_mov_b64 s[16:17], s[12:13]
	s_mov_b64 s[18:19], s[8:9]
	;; [unrolled: 1-line block ×3, first 2 shown]
	s_branch .LBB163_47
.LBB163_46:                             ;   in Loop: Header=BB163_47 Depth=2
	global_load_dword v4, v0, s[18:19] offset:-1204
	s_add_u32 s30, s18, 0xfffffb4c
	s_addc_u32 s31, s19, -1
	s_add_u32 s22, s14, 0xfffffed3
	s_addc_u32 s23, s15, -1
	global_store_dword v0, v3, s[16:17] offset:1204
	s_add_u32 s16, s16, 0xfffffb4c
	s_addc_u32 s17, s17, -1
	s_cmpk_lt_i32 s14, 0x25a
	s_mov_b64 s[20:21], 0
	s_mov_b64 s[14:15], s[22:23]
	s_cselect_b64 s[24:25], -1, 0
	s_waitcnt vmcnt(1)
	global_store_dword v0, v4, s[18:19]
	s_mov_b64 s[18:19], s[30:31]
	s_andn2_b64 vcc, exec, s[24:25]
	s_cbranch_vccz .LBB163_49
.LBB163_47:                             ;   Parent Loop BB163_45 Depth=1
                                        ; =>  This Inner Loop Header: Depth=2
	global_load_dword v3, v0, s[16:17]
	s_mov_b64 s[20:21], -1
	s_waitcnt vmcnt(0)
	v_cmp_nlt_f32_e32 vcc, v3, v2
	s_cbranch_vccz .LBB163_46
; %bb.48:                               ;   in Loop: Header=BB163_45 Depth=1
                                        ; implicit-def: $sgpr18_sgpr19
                                        ; implicit-def: $sgpr16_sgpr17
                                        ; implicit-def: $sgpr22_sgpr23
.LBB163_49:                             ;   in Loop: Header=BB163_45 Depth=1
	s_andn2_b64 vcc, exec, s[20:21]
	s_cbranch_vccz .LBB163_44
; %bb.50:                               ;   in Loop: Header=BB163_45 Depth=1
	s_bfe_i64 s[14:15], s[22:23], 0x200000
	s_branch .LBB163_44
.LBB163_51:
	s_cmpk_lt_i32 s40, 0x85
	s_cbranch_scc1 .LBB163_60
; %bb.52:
	s_add_u32 s8, s50, 0x210
	s_addc_u32 s9, s51, 0
	s_mov_b64 s[10:11], 0x84
	v_mov_b32_e32 v0, 0
	s_mov_b64 s[12:13], s[46:47]
	s_branch .LBB163_54
.LBB163_53:                             ;   in Loop: Header=BB163_54 Depth=1
	s_lshl_b64 s[14:15], s[14:15], 2
	s_add_u32 s16, s46, s14
	s_addc_u32 s17, s47, s15
	s_add_u32 s14, s50, s14
	s_addc_u32 s15, s51, s15
	;; [unrolled: 2-line block ×5, first 2 shown]
	s_cmp_lg_u32 s10, s40
	global_store_dword v0, v2, s[16:17]
	global_store_dword v0, v1, s[14:15]
	s_cbranch_scc0 .LBB163_60
.LBB163_54:                             ; =>This Loop Header: Depth=1
                                        ;     Child Loop BB163_56 Depth 2
	s_lshl_b64 s[14:15], s[10:11], 2
	s_and_b32 s15, s15, 3
	s_add_u32 s16, s46, s14
	s_addc_u32 s17, s47, s15
	s_add_u32 s14, s50, s14
	s_addc_u32 s15, s51, s15
	global_load_dword v2, v0, s[16:17]
	global_load_dword v1, v0, s[14:15]
	s_mov_b64 s[16:17], s[12:13]
	s_mov_b64 s[18:19], s[8:9]
	;; [unrolled: 1-line block ×3, first 2 shown]
	s_branch .LBB163_56
.LBB163_55:                             ;   in Loop: Header=BB163_56 Depth=2
	global_load_dword v4, v0, s[18:19] offset:-528
	s_add_u32 s30, s18, 0xfffffdf0
	s_addc_u32 s31, s19, -1
	s_add_u32 s22, s14, 0xffffff7c
	s_addc_u32 s23, s15, -1
	global_store_dword v0, v3, s[16:17] offset:528
	s_add_u32 s16, s16, 0xfffffdf0
	s_addc_u32 s17, s17, -1
	s_cmpk_lt_i32 s14, 0x108
	s_mov_b64 s[20:21], 0
	s_mov_b64 s[14:15], s[22:23]
	s_cselect_b64 s[24:25], -1, 0
	s_waitcnt vmcnt(1)
	global_store_dword v0, v4, s[18:19]
	s_mov_b64 s[18:19], s[30:31]
	s_andn2_b64 vcc, exec, s[24:25]
	s_cbranch_vccz .LBB163_58
.LBB163_56:                             ;   Parent Loop BB163_54 Depth=1
                                        ; =>  This Inner Loop Header: Depth=2
	global_load_dword v3, v0, s[16:17]
	s_mov_b64 s[20:21], -1
	s_waitcnt vmcnt(0)
	v_cmp_nlt_f32_e32 vcc, v3, v2
	s_cbranch_vccz .LBB163_55
; %bb.57:                               ;   in Loop: Header=BB163_54 Depth=1
                                        ; implicit-def: $sgpr18_sgpr19
                                        ; implicit-def: $sgpr16_sgpr17
                                        ; implicit-def: $sgpr22_sgpr23
.LBB163_58:                             ;   in Loop: Header=BB163_54 Depth=1
	s_andn2_b64 vcc, exec, s[20:21]
	s_cbranch_vccz .LBB163_53
; %bb.59:                               ;   in Loop: Header=BB163_54 Depth=1
	s_bfe_i64 s[14:15], s[22:23], 0x200000
	s_branch .LBB163_53
.LBB163_60:
	s_cmp_lt_i32 s40, 58
	s_cbranch_scc1 .LBB163_69
; %bb.61:
	s_add_u32 s8, s50, 0xe4
	s_addc_u32 s9, s51, 0
	s_mov_b64 s[10:11], 57
	v_mov_b32_e32 v0, 0
	s_mov_b64 s[12:13], s[46:47]
	s_branch .LBB163_63
.LBB163_62:                             ;   in Loop: Header=BB163_63 Depth=1
	s_lshl_b64 s[14:15], s[14:15], 2
	s_add_u32 s16, s46, s14
	s_addc_u32 s17, s47, s15
	s_add_u32 s14, s50, s14
	s_addc_u32 s15, s51, s15
	;; [unrolled: 2-line block ×5, first 2 shown]
	s_cmp_lg_u32 s10, s40
	global_store_dword v0, v2, s[16:17]
	global_store_dword v0, v1, s[14:15]
	s_cbranch_scc0 .LBB163_69
.LBB163_63:                             ; =>This Loop Header: Depth=1
                                        ;     Child Loop BB163_65 Depth 2
	s_lshl_b64 s[14:15], s[10:11], 2
	s_and_b32 s15, s15, 3
	s_add_u32 s16, s46, s14
	s_addc_u32 s17, s47, s15
	s_add_u32 s14, s50, s14
	s_addc_u32 s15, s51, s15
	global_load_dword v2, v0, s[16:17]
	global_load_dword v1, v0, s[14:15]
	s_mov_b64 s[16:17], s[12:13]
	s_mov_b64 s[18:19], s[8:9]
	;; [unrolled: 1-line block ×3, first 2 shown]
	s_branch .LBB163_65
.LBB163_64:                             ;   in Loop: Header=BB163_65 Depth=2
	global_load_dword v4, v0, s[18:19] offset:-228
	s_add_u32 s30, s18, 0xffffff1c
	s_addc_u32 s31, s19, -1
	s_add_u32 s22, s14, 0xffffffc7
	s_addc_u32 s23, s15, -1
	global_store_dword v0, v3, s[16:17] offset:228
	s_add_u32 s16, s16, 0xffffff1c
	s_addc_u32 s17, s17, -1
	s_cmpk_lt_i32 s14, 0x72
	s_mov_b64 s[20:21], 0
	s_mov_b64 s[14:15], s[22:23]
	s_cselect_b64 s[24:25], -1, 0
	s_waitcnt vmcnt(1)
	global_store_dword v0, v4, s[18:19]
	s_mov_b64 s[18:19], s[30:31]
	s_andn2_b64 vcc, exec, s[24:25]
	s_cbranch_vccz .LBB163_67
.LBB163_65:                             ;   Parent Loop BB163_63 Depth=1
                                        ; =>  This Inner Loop Header: Depth=2
	global_load_dword v3, v0, s[16:17]
	s_mov_b64 s[20:21], -1
	s_waitcnt vmcnt(0)
	v_cmp_nlt_f32_e32 vcc, v3, v2
	s_cbranch_vccz .LBB163_64
; %bb.66:                               ;   in Loop: Header=BB163_63 Depth=1
                                        ; implicit-def: $sgpr18_sgpr19
                                        ; implicit-def: $sgpr16_sgpr17
                                        ; implicit-def: $sgpr22_sgpr23
.LBB163_67:                             ;   in Loop: Header=BB163_63 Depth=1
	s_andn2_b64 vcc, exec, s[20:21]
	s_cbranch_vccz .LBB163_62
; %bb.68:                               ;   in Loop: Header=BB163_63 Depth=1
	s_bfe_i64 s[14:15], s[22:23], 0x200000
	s_branch .LBB163_62
.LBB163_69:
	s_cmp_lt_i32 s40, 24
	s_cbranch_scc1 .LBB163_78
; %bb.70:
	s_add_u32 s8, s50, 0x5c
	s_addc_u32 s9, s51, 0
	s_mov_b64 s[10:11], 23
	v_mov_b32_e32 v0, 0
	s_mov_b64 s[12:13], s[46:47]
	s_branch .LBB163_72
.LBB163_71:                             ;   in Loop: Header=BB163_72 Depth=1
	s_lshl_b64 s[14:15], s[14:15], 2
	s_add_u32 s16, s46, s14
	s_addc_u32 s17, s47, s15
	s_add_u32 s14, s50, s14
	s_addc_u32 s15, s51, s15
	;; [unrolled: 2-line block ×5, first 2 shown]
	s_cmp_lg_u32 s10, s40
	global_store_dword v0, v2, s[16:17]
	global_store_dword v0, v1, s[14:15]
	s_cbranch_scc0 .LBB163_78
.LBB163_72:                             ; =>This Loop Header: Depth=1
                                        ;     Child Loop BB163_74 Depth 2
	s_lshl_b64 s[14:15], s[10:11], 2
	s_and_b32 s15, s15, 3
	s_add_u32 s16, s46, s14
	s_addc_u32 s17, s47, s15
	s_add_u32 s14, s50, s14
	s_addc_u32 s15, s51, s15
	global_load_dword v2, v0, s[16:17]
	global_load_dword v1, v0, s[14:15]
	s_mov_b64 s[16:17], s[12:13]
	s_mov_b64 s[18:19], s[8:9]
	;; [unrolled: 1-line block ×3, first 2 shown]
	s_branch .LBB163_74
.LBB163_73:                             ;   in Loop: Header=BB163_74 Depth=2
	global_load_dword v4, v0, s[18:19] offset:-92
	s_add_u32 s30, s18, 0xffffffa4
	s_addc_u32 s31, s19, -1
	s_add_u32 s22, s14, 0xffffffe9
	s_addc_u32 s23, s15, -1
	global_store_dword v0, v3, s[16:17] offset:92
	s_add_u32 s16, s16, 0xffffffa4
	s_addc_u32 s17, s17, -1
	s_cmp_lt_i32 s14, 46
	s_mov_b64 s[20:21], 0
	s_mov_b64 s[14:15], s[22:23]
	s_cselect_b64 s[24:25], -1, 0
	s_waitcnt vmcnt(1)
	global_store_dword v0, v4, s[18:19]
	s_mov_b64 s[18:19], s[30:31]
	s_andn2_b64 vcc, exec, s[24:25]
	s_cbranch_vccz .LBB163_76
.LBB163_74:                             ;   Parent Loop BB163_72 Depth=1
                                        ; =>  This Inner Loop Header: Depth=2
	global_load_dword v3, v0, s[16:17]
	s_mov_b64 s[20:21], -1
	s_waitcnt vmcnt(0)
	v_cmp_nlt_f32_e32 vcc, v3, v2
	s_cbranch_vccz .LBB163_73
; %bb.75:                               ;   in Loop: Header=BB163_72 Depth=1
                                        ; implicit-def: $sgpr18_sgpr19
                                        ; implicit-def: $sgpr16_sgpr17
                                        ; implicit-def: $sgpr22_sgpr23
.LBB163_76:                             ;   in Loop: Header=BB163_72 Depth=1
	s_andn2_b64 vcc, exec, s[20:21]
	s_cbranch_vccz .LBB163_71
; %bb.77:                               ;   in Loop: Header=BB163_72 Depth=1
	s_bfe_i64 s[14:15], s[22:23], 0x200000
	s_branch .LBB163_71
.LBB163_78:
	s_cmp_lt_i32 s40, 11
	s_cbranch_scc1 .LBB163_87
; %bb.79:
	s_add_u32 s8, s50, 40
	s_addc_u32 s9, s51, 0
	s_mov_b64 s[10:11], 10
	v_mov_b32_e32 v0, 0
	s_mov_b64 s[12:13], s[46:47]
	s_branch .LBB163_81
.LBB163_80:                             ;   in Loop: Header=BB163_81 Depth=1
	s_lshl_b64 s[14:15], s[14:15], 2
	s_add_u32 s16, s46, s14
	s_addc_u32 s17, s47, s15
	s_add_u32 s14, s50, s14
	s_addc_u32 s15, s51, s15
	;; [unrolled: 2-line block ×5, first 2 shown]
	s_cmp_lg_u32 s10, s40
	global_store_dword v0, v2, s[16:17]
	global_store_dword v0, v1, s[14:15]
	s_cbranch_scc0 .LBB163_87
.LBB163_81:                             ; =>This Loop Header: Depth=1
                                        ;     Child Loop BB163_83 Depth 2
	s_lshl_b64 s[14:15], s[10:11], 2
	s_and_b32 s15, s15, 3
	s_add_u32 s16, s46, s14
	s_addc_u32 s17, s47, s15
	s_add_u32 s14, s50, s14
	s_addc_u32 s15, s51, s15
	global_load_dword v2, v0, s[16:17]
	global_load_dword v1, v0, s[14:15]
	s_mov_b64 s[16:17], s[12:13]
	s_mov_b64 s[18:19], s[8:9]
	s_mov_b64 s[14:15], s[10:11]
	s_branch .LBB163_83
.LBB163_82:                             ;   in Loop: Header=BB163_83 Depth=2
	global_load_dword v4, v0, s[18:19] offset:-40
	s_add_u32 s30, s18, 0xffffffd8
	s_addc_u32 s31, s19, -1
	s_add_u32 s22, s14, -10
	s_addc_u32 s23, s15, -1
	global_store_dword v0, v3, s[16:17] offset:40
	s_add_u32 s16, s16, 0xffffffd8
	s_addc_u32 s17, s17, -1
	s_cmp_lt_i32 s14, 20
	s_mov_b64 s[20:21], 0
	s_mov_b64 s[14:15], s[22:23]
	s_cselect_b64 s[24:25], -1, 0
	s_waitcnt vmcnt(1)
	global_store_dword v0, v4, s[18:19]
	s_mov_b64 s[18:19], s[30:31]
	s_andn2_b64 vcc, exec, s[24:25]
	s_cbranch_vccz .LBB163_85
.LBB163_83:                             ;   Parent Loop BB163_81 Depth=1
                                        ; =>  This Inner Loop Header: Depth=2
	global_load_dword v3, v0, s[16:17]
	s_mov_b64 s[20:21], -1
	s_waitcnt vmcnt(0)
	v_cmp_nlt_f32_e32 vcc, v3, v2
	s_cbranch_vccz .LBB163_82
; %bb.84:                               ;   in Loop: Header=BB163_81 Depth=1
                                        ; implicit-def: $sgpr18_sgpr19
                                        ; implicit-def: $sgpr16_sgpr17
                                        ; implicit-def: $sgpr22_sgpr23
.LBB163_85:                             ;   in Loop: Header=BB163_81 Depth=1
	s_andn2_b64 vcc, exec, s[20:21]
	s_cbranch_vccz .LBB163_80
; %bb.86:                               ;   in Loop: Header=BB163_81 Depth=1
	s_bfe_i64 s[14:15], s[22:23], 0x200000
	s_branch .LBB163_80
.LBB163_87:
	s_cmp_lt_i32 s40, 5
	s_cbranch_scc1 .LBB163_96
; %bb.88:
	s_add_u32 s8, s50, 16
	s_addc_u32 s9, s51, 0
	s_add_u32 s10, s60, s44
	s_addc_u32 s11, s61, s45
	;; [unrolled: 2-line block ×3, first 2 shown]
	s_mov_b64 s[12:13], 4
	v_mov_b32_e32 v0, 0
	s_branch .LBB163_90
.LBB163_89:                             ;   in Loop: Header=BB163_90 Depth=1
	s_lshl_b64 s[14:15], s[14:15], 2
	s_add_u32 s16, s46, s14
	s_addc_u32 s17, s47, s15
	s_add_u32 s14, s50, s14
	s_addc_u32 s15, s51, s15
	s_add_u32 s12, s12, 1
	s_addc_u32 s13, s13, 0
	s_add_u32 s8, s8, 4
	s_addc_u32 s9, s9, 0
	s_add_u32 s10, s10, 4
	s_addc_u32 s11, s11, 0
	s_cmp_lg_u32 s12, s40
	global_store_dword v0, v2, s[16:17]
	global_store_dword v0, v1, s[14:15]
	s_cbranch_scc0 .LBB163_96
.LBB163_90:                             ; =>This Loop Header: Depth=1
                                        ;     Child Loop BB163_92 Depth 2
	s_lshl_b64 s[14:15], s[12:13], 2
	s_and_b32 s15, s15, 3
	s_add_u32 s16, s46, s14
	s_addc_u32 s17, s47, s15
	s_add_u32 s14, s50, s14
	s_addc_u32 s15, s51, s15
	global_load_dword v2, v0, s[16:17]
	global_load_dword v1, v0, s[14:15]
	s_mov_b64 s[18:19], s[10:11]
	s_mov_b64 s[16:17], s[8:9]
	;; [unrolled: 1-line block ×3, first 2 shown]
	s_branch .LBB163_92
.LBB163_91:                             ;   in Loop: Header=BB163_92 Depth=2
	global_load_dword v4, v0, s[16:17] offset:-16
	s_mov_b64 s[20:21], 0
	global_store_dword v0, v3, s[18:19]
	s_add_u32 s18, s16, -16
	s_addc_u32 s19, s17, -1
	s_add_u32 s22, s14, -4
	s_addc_u32 s23, s15, -1
	s_cmp_lt_i32 s14, 8
	s_mov_b64 s[14:15], s[22:23]
	s_cselect_b64 s[30:31], -1, 0
	s_waitcnt vmcnt(1)
	global_store_dword v0, v4, s[16:17]
	s_mov_b64 s[16:17], s[18:19]
	s_mov_b64 s[18:19], s[24:25]
	s_andn2_b64 vcc, exec, s[30:31]
	s_cbranch_vccz .LBB163_94
.LBB163_92:                             ;   Parent Loop BB163_90 Depth=1
                                        ; =>  This Inner Loop Header: Depth=2
	global_load_dword v3, v0, s[18:19] offset:-16
	s_add_u32 s24, s18, -16
	s_addc_u32 s25, s19, -1
	s_mov_b64 s[20:21], -1
	s_waitcnt vmcnt(0)
	v_cmp_nlt_f32_e32 vcc, v3, v2
	s_cbranch_vccz .LBB163_91
; %bb.93:                               ;   in Loop: Header=BB163_90 Depth=1
                                        ; implicit-def: $sgpr16_sgpr17
                                        ; implicit-def: $sgpr18_sgpr19
                                        ; implicit-def: $sgpr22_sgpr23
.LBB163_94:                             ;   in Loop: Header=BB163_90 Depth=1
	s_andn2_b64 vcc, exec, s[20:21]
	s_cbranch_vccz .LBB163_89
; %bb.95:                               ;   in Loop: Header=BB163_90 Depth=1
	s_bfe_i64 s[14:15], s[22:23], 0x200000
	s_branch .LBB163_89
.LBB163_96:
	s_cmp_lt_i32 s40, 2
	s_cbranch_scc1 .LBB163_103
; %bb.97:
	s_add_u32 s8, s50, 4
	s_addc_u32 s9, s51, 0
	s_add_u32 s10, s60, s44
	s_addc_u32 s11, s61, s45
	;; [unrolled: 2-line block ×3, first 2 shown]
	s_mov_b64 s[12:13], 1
	v_mov_b32_e32 v0, 0
	s_branch .LBB163_99
.LBB163_98:                             ;   in Loop: Header=BB163_99 Depth=1
	s_lshl_b64 s[14:15], s[22:23], 2
	s_add_u32 s16, s46, s14
	s_addc_u32 s17, s47, s15
	s_add_u32 s14, s50, s14
	s_addc_u32 s15, s51, s15
	;; [unrolled: 2-line block ×5, first 2 shown]
	s_cmp_eq_u32 s12, s40
	global_store_dword v0, v2, s[16:17]
	global_store_dword v0, v1, s[14:15]
	s_cbranch_scc1 .LBB163_103
.LBB163_99:                             ; =>This Loop Header: Depth=1
                                        ;     Child Loop BB163_101 Depth 2
	s_lshl_b64 s[14:15], s[12:13], 2
	s_and_b32 s15, s15, 3
	s_add_u32 s16, s46, s14
	s_addc_u32 s17, s47, s15
	s_add_u32 s14, s50, s14
	s_addc_u32 s15, s51, s15
	global_load_dword v2, v0, s[16:17]
	global_load_dword v1, v0, s[14:15]
	s_mov_b64 s[18:19], s[10:11]
	s_mov_b64 s[14:15], s[8:9]
	s_mov_b64 s[16:17], s[12:13]
	s_branch .LBB163_101
.LBB163_100:                            ;   in Loop: Header=BB163_101 Depth=2
	global_load_dword v4, v0, s[14:15] offset:-4
	s_mov_b64 s[22:23], 0
	global_store_dword v0, v3, s[18:19]
	s_add_u32 s18, s14, -4
	s_addc_u32 s19, s15, -1
	s_add_u32 s24, s16, -1
	s_addc_u32 s25, s17, -1
	s_cmp_lt_i32 s16, 2
	s_mov_b64 s[16:17], s[24:25]
	s_cselect_b64 s[24:25], -1, 0
	s_waitcnt vmcnt(1)
	global_store_dword v0, v4, s[14:15]
	s_mov_b64 s[14:15], s[18:19]
	s_mov_b64 s[18:19], s[20:21]
	s_andn2_b64 vcc, exec, s[24:25]
	s_cbranch_vccz .LBB163_98
.LBB163_101:                            ;   Parent Loop BB163_99 Depth=1
                                        ; =>  This Inner Loop Header: Depth=2
	global_load_dword v3, v0, s[18:19] offset:-4
	s_add_u32 s20, s18, -4
	s_addc_u32 s21, s19, -1
	s_mov_b64 s[24:25], -1
	s_waitcnt vmcnt(0)
	v_cmp_nlt_f32_e32 vcc, v3, v2
	s_cbranch_vccz .LBB163_100
; %bb.102:                              ;   in Loop: Header=BB163_101 Depth=2
                                        ; implicit-def: $sgpr14_sgpr15
                                        ; implicit-def: $sgpr18_sgpr19
	s_mov_b64 s[22:23], s[16:17]
	s_andn2_b64 vcc, exec, s[24:25]
	s_cbranch_vccnz .LBB163_101
	s_branch .LBB163_98
.LBB163_103:
	s_or_b64 exec, exec, s[6:7]
	s_cmp_lt_i32 s40, 2
	s_cselect_b64 s[10:11], -1, 0
	s_mov_b64 s[66:67], 0
	s_and_b64 vcc, exec, s[10:11]
	s_barrier
	s_cbranch_vccnz .LBB163_111
; %bb.104:
	s_add_i32 s20, s40, -1
	v_cmp_gt_u32_e32 vcc, s20, v41
	s_mov_b64 s[10:11], -1
	s_mov_b64 s[6:7], 0
	s_and_saveexec_b64 s[8:9], vcc
	s_cbranch_execz .LBB163_113
; %bb.105:
	s_add_u32 s21, s46, 4
	s_addc_u32 s22, s47, 0
	s_mov_b64 s[10:11], 0
	v_mov_b32_e32 v1, 0
	v_mov_b32_e32 v2, s47
	v_mov_b32_e32 v0, v41
                                        ; implicit-def: $sgpr12_sgpr13
	s_branch .LBB163_107
.LBB163_106:                            ;   in Loop: Header=BB163_107 Depth=1
	s_or_b64 exec, exec, s[18:19]
	s_xor_b64 s[14:15], s[14:15], -1
	s_and_b64 s[6:7], exec, s[6:7]
	s_or_b64 s[10:11], s[6:7], s[10:11]
	s_andn2_b64 s[6:7], s[12:13], exec
	s_and_b64 s[12:13], s[14:15], exec
	s_or_b64 s[12:13], s[6:7], s[12:13]
	s_andn2_b64 exec, exec, s[10:11]
	s_cbranch_execz .LBB163_112
.LBB163_107:                            ; =>This Inner Loop Header: Depth=1
	v_lshlrev_b64 v[4:5], 2, v[0:1]
	v_add_co_u32_e32 v4, vcc, s46, v4
	v_addc_co_u32_e32 v5, vcc, v2, v5, vcc
	global_load_dword v3, v[4:5], off
                                        ; implicit-def: $sgpr14_sgpr15
	s_waitcnt vmcnt(0)
	v_cmp_u_f32_e64 s[16:17], v3, v3
	v_cmp_o_f32_e32 vcc, v3, v3
	s_and_saveexec_b64 s[18:19], vcc
	s_cbranch_execz .LBB163_109
; %bb.108:                              ;   in Loop: Header=BB163_107 Depth=1
	v_ashrrev_i32_e32 v5, 31, v0
	v_mov_b32_e32 v4, v0
	v_lshlrev_b64 v[4:5], 2, v[4:5]
	v_mov_b32_e32 v6, s22
	v_add_co_u32_e32 v4, vcc, s21, v4
	v_addc_co_u32_e32 v5, vcc, v6, v5, vcc
	global_load_dword v4, v[4:5], off
	s_andn2_b64 s[16:17], s[16:17], exec
	s_mov_b64 s[14:15], -1
	s_waitcnt vmcnt(0)
	v_cmp_u_f32_e32 vcc, v4, v4
	v_cmp_ge_f32_e64 s[6:7], v3, v4
	s_or_b64 s[6:7], vcc, s[6:7]
	s_and_b64 s[6:7], s[6:7], exec
	s_or_b64 s[16:17], s[16:17], s[6:7]
.LBB163_109:                            ;   in Loop: Header=BB163_107 Depth=1
	s_or_b64 exec, exec, s[18:19]
	s_mov_b64 s[6:7], -1
	s_and_saveexec_b64 s[18:19], s[16:17]
	s_cbranch_execz .LBB163_106
; %bb.110:                              ;   in Loop: Header=BB163_107 Depth=1
	v_add_u32_e32 v0, s58, v0
	v_cmp_le_u32_e32 vcc, s20, v0
	s_andn2_b64 s[14:15], s[14:15], exec
	s_orn2_b64 s[6:7], vcc, exec
	s_branch .LBB163_106
.LBB163_111:
	s_mov_b64 s[6:7], 0
	s_branch .LBB163_114
.LBB163_112:
	s_or_b64 exec, exec, s[10:11]
	s_mov_b64 s[6:7], exec
	s_orn2_b64 s[10:11], s[12:13], exec
.LBB163_113:
	s_or_b64 exec, exec, s[8:9]
.LBB163_114:
	s_and_saveexec_b64 s[8:9], s[10:11]
	s_cbranch_execz .LBB163_116
; %bb.115:
	s_mov_b64 s[66:67], exec
	s_barrier
	s_andn2_b64 s[6:7], s[6:7], exec
.LBB163_116:
	s_or_b64 exec, exec, s[8:9]
	s_mov_b64 s[62:63], 0
	s_and_saveexec_b64 s[68:69], s[6:7]
	s_cbranch_execz .LBB163_118
; %bb.117:
	s_add_u32 s8, s4, 0x90
	s_addc_u32 s9, s5, 0
	s_getpc_b64 s[6:7]
	s_add_u32 s6, s6, __PRETTY_FUNCTION__._ZN9rocsolver6v33100L21shell_sort_descendingIfiEEvT0_PT_PS2_@rel32@lo+4
	s_addc_u32 s7, s7, __PRETTY_FUNCTION__._ZN9rocsolver6v33100L21shell_sort_descendingIfiEEvT0_PT_PS2_@rel32@hi+12
	v_mov_b32_e32 v0, s6
	v_mov_b32_e32 v1, s7
	s_getpc_b64 s[10:11]
	s_add_u32 s10, s10, __assert_fail@rel32@lo+4
	s_addc_u32 s11, s11, __assert_fail@rel32@hi+12
	s_mov_b64 s[62:63], s[4:5]
	s_swappc_b64 s[30:31], s[10:11]
	s_mov_b64 s[4:5], s[62:63]
	s_mov_b64 s[62:63], exec
.LBB163_118:
	s_or_b64 exec, exec, s[68:69]
.LBB163_119:
	s_and_saveexec_b64 s[20:21], s[66:67]
	s_cbranch_execz .LBB163_143
; %bb.120:
	s_andn2_b64 vcc, exec, s[64:65]
	s_barrier
	s_cbranch_vccnz .LBB163_142
; %bb.121:
	s_cmp_gt_i32 s41, 0
	s_cselect_b64 s[14:15], -1, 0
	s_ashr_i32 s33, s59, 31
	s_cmp_gt_i32 s42, 0
	s_cselect_b64 s[16:17], -1, 0
	s_cmp_gt_i32 s43, 0
	v_cndmask_b32_e64 v0, 0, 1, s[14:15]
	s_cselect_b64 s[18:19], -1, 0
	v_cmp_ne_u32_e64 s[14:15], 1, v0
	v_cndmask_b32_e64 v0, 0, 1, s[16:17]
	s_mov_b32 s23, 0
	v_cmp_ne_u32_e64 s[16:17], 1, v0
	v_cndmask_b32_e64 v0, 0, 1, s[18:19]
	v_cmp_eq_u32_e64 s[6:7], 0, v41
	v_cmp_gt_u32_e64 s[8:9], s41, v41
	s_mov_b32 s72, s59
	v_cmp_gt_u32_e64 s[10:11], s42, v41
	s_mov_b32 s73, s39
	v_cmp_gt_u32_e64 s[12:13], s43, v41
	s_ashr_i32 s74, s57, 31
	s_mov_b32 s75, s57
	v_mov_b32_e32 v1, 0
	v_cmp_ne_u32_e64 s[18:19], 1, v0
	s_mov_b32 s22, s23
	s_branch .LBB163_123
.LBB163_122:                            ;   in Loop: Header=BB163_123 Depth=1
	s_add_i32 s22, s22, 1
	s_cmp_eq_u32 s22, s40
	s_cbranch_scc1 .LBB163_142
.LBB163_123:                            ; =>This Loop Header: Depth=1
                                        ;     Child Loop BB163_126 Depth 2
                                        ;       Child Loop BB163_131 Depth 3
                                        ;       Child Loop BB163_136 Depth 3
	;; [unrolled: 1-line block ×3, first 2 shown]
	s_lshl_b64 s[24:25], s[22:23], 2
	s_add_u32 s24, s50, s24
	s_addc_u32 s25, s51, s25
	global_load_dword v0, v1, s[24:25]
	s_waitcnt vmcnt(0)
	v_cmp_eq_u32_e32 vcc, s22, v0
	v_readfirstlane_b32 s30, v0
	s_cbranch_vccz .LBB163_126
	s_branch .LBB163_122
.LBB163_124:                            ;   in Loop: Header=BB163_126 Depth=2
	s_or_b64 exec, exec, s[64:65]
	s_waitcnt lgkmcnt(0)
	s_barrier
.LBB163_125:                            ;   in Loop: Header=BB163_126 Depth=2
	global_load_dword v0, v1, s[24:25]
	s_waitcnt vmcnt(0)
	v_cmp_ne_u32_e32 vcc, s22, v0
	v_readfirstlane_b32 s30, v0
	s_cbranch_vccz .LBB163_122
.LBB163_126:                            ;   Parent Loop BB163_123 Depth=1
                                        ; =>  This Loop Header: Depth=2
                                        ;       Child Loop BB163_131 Depth 3
                                        ;       Child Loop BB163_136 Depth 3
                                        ;       Child Loop BB163_141 Depth 3
	s_ashr_i32 s31, s30, 31
	s_lshl_b64 s[54:55], s[30:31], 2
	s_add_u32 s64, s50, s54
	s_addc_u32 s65, s51, s55
	global_load_dword v0, v1, s[64:65]
	s_barrier
	s_waitcnt vmcnt(0)
	v_readfirstlane_b32 s54, v0
	s_and_saveexec_b64 s[66:67], s[6:7]
	s_cbranch_execz .LBB163_128
; %bb.127:                              ;   in Loop: Header=BB163_126 Depth=2
	v_mov_b32_e32 v0, s30
	global_store_dword v1, v0, s[64:65]
	v_mov_b32_e32 v0, s54
	global_store_dword v1, v0, s[24:25]
.LBB163_128:                            ;   in Loop: Header=BB163_126 Depth=2
	s_or_b64 exec, exec, s[66:67]
	s_and_b64 vcc, exec, s[14:15]
	s_barrier
	s_cbranch_vccnz .LBB163_133
; %bb.129:                              ;   in Loop: Header=BB163_126 Depth=2
	s_and_saveexec_b64 s[64:65], s[8:9]
	s_cbranch_execz .LBB163_132
; %bb.130:                              ;   in Loop: Header=BB163_126 Depth=2
	s_ashr_i32 s55, s54, 31
	s_mov_b64 s[66:67], 0
	s_lshl_b64 s[68:69], s[30:31], 3
	s_lshl_b64 s[70:71], s[54:55], 3
	v_mov_b32_e32 v0, v41
.LBB163_131:                            ;   Parent Loop BB163_123 Depth=1
                                        ;     Parent Loop BB163_126 Depth=2
                                        ; =>    This Inner Loop Header: Depth=3
	v_mad_u64_u32 v[2:3], s[76:77], v0, s72, 0
	v_mov_b32_e32 v4, v3
	v_mad_u64_u32 v[4:5], s[76:77], v0, s33, v[4:5]
	v_mov_b32_e32 v3, v4
	v_lshlrev_b64 v[2:3], 3, v[2:3]
	v_mov_b32_e32 v6, s29
	v_add_co_u32_e32 v4, vcc, s28, v2
	v_addc_co_u32_e32 v5, vcc, v6, v3, vcc
	v_mov_b32_e32 v7, s69
	v_add_co_u32_e32 v2, vcc, s68, v4
	v_addc_co_u32_e32 v3, vcc, v5, v7, vcc
	;; [unrolled: 3-line block ×3, first 2 shown]
	flat_load_dwordx2 v[6:7], v[4:5]
	flat_load_dwordx2 v[8:9], v[2:3]
	v_add_u32_e32 v0, s58, v0
	v_cmp_le_u32_e32 vcc, s41, v0
	s_or_b64 s[66:67], vcc, s[66:67]
	s_waitcnt vmcnt(0) lgkmcnt(0)
	flat_store_dwordx2 v[2:3], v[6:7]
	flat_store_dwordx2 v[4:5], v[8:9]
	s_andn2_b64 exec, exec, s[66:67]
	s_cbranch_execnz .LBB163_131
.LBB163_132:                            ;   in Loop: Header=BB163_126 Depth=2
	s_or_b64 exec, exec, s[64:65]
	s_waitcnt lgkmcnt(0)
	s_barrier
.LBB163_133:                            ;   in Loop: Header=BB163_126 Depth=2
	s_and_b64 vcc, exec, s[16:17]
	s_cbranch_vccnz .LBB163_138
; %bb.134:                              ;   in Loop: Header=BB163_126 Depth=2
	s_and_saveexec_b64 s[64:65], s[10:11]
	s_cbranch_execz .LBB163_137
; %bb.135:                              ;   in Loop: Header=BB163_126 Depth=2
	s_mul_hi_i32 s67, s30, s73
	s_mul_i32 s66, s30, s73
	s_lshl_b64 s[66:67], s[66:67], 3
	s_add_u32 s55, s34, s66
	s_addc_u32 s69, s35, s67
	s_mul_hi_i32 s67, s54, s73
	s_mul_i32 s66, s54, s73
	s_lshl_b64 s[66:67], s[66:67], 3
	s_add_u32 s68, s34, s66
	s_addc_u32 s70, s35, s67
	s_mov_b64 s[66:67], 0
	v_mov_b32_e32 v2, s69
	v_mov_b32_e32 v3, s70
	;; [unrolled: 1-line block ×3, first 2 shown]
.LBB163_136:                            ;   Parent Loop BB163_123 Depth=1
                                        ;     Parent Loop BB163_126 Depth=2
                                        ; =>    This Inner Loop Header: Depth=3
	v_lshlrev_b64 v[4:5], 3, v[0:1]
	v_add_co_u32_e32 v6, vcc, s55, v4
	v_addc_co_u32_e32 v7, vcc, v2, v5, vcc
	v_add_co_u32_e32 v4, vcc, s68, v4
	v_addc_co_u32_e32 v5, vcc, v3, v5, vcc
	flat_load_dwordx2 v[8:9], v[4:5]
	flat_load_dwordx2 v[10:11], v[6:7]
	v_add_u32_e32 v0, s58, v0
	v_cmp_le_u32_e32 vcc, s42, v0
	s_or_b64 s[66:67], vcc, s[66:67]
	s_waitcnt vmcnt(0) lgkmcnt(0)
	flat_store_dwordx2 v[6:7], v[8:9]
	flat_store_dwordx2 v[4:5], v[10:11]
	s_andn2_b64 exec, exec, s[66:67]
	s_cbranch_execnz .LBB163_136
.LBB163_137:                            ;   in Loop: Header=BB163_126 Depth=2
	s_or_b64 exec, exec, s[64:65]
	s_waitcnt lgkmcnt(0)
	s_barrier
.LBB163_138:                            ;   in Loop: Header=BB163_126 Depth=2
	s_and_b64 vcc, exec, s[18:19]
	s_cbranch_vccnz .LBB163_125
; %bb.139:                              ;   in Loop: Header=BB163_126 Depth=2
	s_and_saveexec_b64 s[64:65], s[12:13]
	s_cbranch_execz .LBB163_124
; %bb.140:                              ;   in Loop: Header=BB163_126 Depth=2
	s_ashr_i32 s55, s54, 31
	s_mov_b64 s[66:67], 0
	s_lshl_b64 s[54:55], s[54:55], 3
	v_mov_b32_e32 v0, v41
.LBB163_141:                            ;   Parent Loop BB163_123 Depth=1
                                        ;     Parent Loop BB163_126 Depth=2
                                        ; =>    This Inner Loop Header: Depth=3
	v_mad_u64_u32 v[2:3], s[68:69], v0, s75, 0
	v_mov_b32_e32 v4, v3
	v_mad_u64_u32 v[4:5], s[70:71], v0, s74, v[4:5]
	v_mov_b32_e32 v3, v4
	v_lshlrev_b64 v[2:3], 3, v[2:3]
	v_mov_b32_e32 v6, s37
	v_add_co_u32_e32 v4, vcc, s36, v2
	s_lshl_b64 s[68:69], s[30:31], 3
	v_addc_co_u32_e32 v5, vcc, v6, v3, vcc
	v_mov_b32_e32 v8, s69
	v_add_co_u32_e32 v2, vcc, s68, v4
	v_addc_co_u32_e32 v3, vcc, v5, v8, vcc
	v_mov_b32_e32 v7, s55
	v_add_co_u32_e32 v4, vcc, s54, v4
	v_addc_co_u32_e32 v5, vcc, v5, v7, vcc
	flat_load_dwordx2 v[6:7], v[4:5]
	flat_load_dwordx2 v[8:9], v[2:3]
	v_add_u32_e32 v0, s58, v0
	v_cmp_le_u32_e32 vcc, s43, v0
	s_or_b64 s[66:67], vcc, s[66:67]
	s_waitcnt vmcnt(0) lgkmcnt(0)
	flat_store_dwordx2 v[2:3], v[6:7]
	flat_store_dwordx2 v[4:5], v[8:9]
	s_andn2_b64 exec, exec, s[66:67]
	s_cbranch_execnz .LBB163_141
	s_branch .LBB163_124
.LBB163_142:
	s_mov_b64 s[54:55], exec
.LBB163_143:
	s_or_b64 exec, exec, s[20:21]
	s_branch .LBB163_232
.LBB163_144:
	s_mov_b64 s[54:55], -1
	s_and_b64 vcc, exec, s[48:49]
	s_cbranch_vccz .LBB163_232
; %bb.145:
	v_or3_b32 v0, v43, v44, v42
	v_cmp_eq_u32_e32 vcc, 0, v0
	s_barrier
	s_barrier
	s_and_saveexec_b64 s[6:7], vcc
	s_cbranch_execz .LBB163_216
; %bb.146:
	s_cmpk_lt_u32 s40, 0x2be
	s_cbranch_scc1 .LBB163_155
; %bb.147:
	s_mov_b64 s[8:9], 0x2bd
	s_mov_b32 s11, 0
	v_mov_b32_e32 v0, 0
	s_mov_b64 s[12:13], s[46:47]
	s_branch .LBB163_149
.LBB163_148:                            ;   in Loop: Header=BB163_149 Depth=1
	s_lshl_b64 s[14:15], s[14:15], 2
	s_add_u32 s14, s46, s14
	s_addc_u32 s15, s47, s15
	s_add_u32 s8, s8, 1
	s_addc_u32 s9, s9, 0
	s_add_u32 s12, s12, 4
	s_addc_u32 s13, s13, 0
	s_cmp_eq_u32 s8, s40
	global_store_dword v0, v1, s[14:15]
	s_cbranch_scc1 .LBB163_155
.LBB163_149:                            ; =>This Loop Header: Depth=1
                                        ;     Child Loop BB163_151 Depth 2
	s_mov_b32 s10, s8
	s_lshl_b64 s[14:15], s[10:11], 2
	s_add_u32 s14, s46, s14
	s_addc_u32 s15, s47, s15
	global_load_dword v1, v0, s[14:15]
	s_mov_b64 s[16:17], s[12:13]
	s_mov_b64 s[14:15], s[8:9]
	s_branch .LBB163_151
.LBB163_150:                            ;   in Loop: Header=BB163_151 Depth=2
	s_add_u32 s18, s14, 0xfffffd43
	s_addc_u32 s19, s15, -1
	global_store_dword v0, v2, s[16:17] offset:2804
	s_add_u32 s16, s16, 0xfffff50c
	s_addc_u32 s17, s17, -1
	s_cmpk_lt_i32 s14, 0x57a
	s_mov_b64 s[20:21], 0
	s_cselect_b64 s[22:23], -1, 0
	s_mov_b64 s[14:15], s[18:19]
	s_andn2_b64 vcc, exec, s[22:23]
	s_cbranch_vccz .LBB163_153
.LBB163_151:                            ;   Parent Loop BB163_149 Depth=1
                                        ; =>  This Inner Loop Header: Depth=2
	global_load_dword v2, v0, s[16:17]
	s_mov_b64 s[20:21], -1
	s_waitcnt vmcnt(0)
	v_cmp_nlt_f32_e32 vcc, v2, v1
	s_cbranch_vccz .LBB163_150
; %bb.152:                              ;   in Loop: Header=BB163_149 Depth=1
                                        ; implicit-def: $sgpr16_sgpr17
                                        ; implicit-def: $sgpr18_sgpr19
.LBB163_153:                            ;   in Loop: Header=BB163_149 Depth=1
	s_andn2_b64 vcc, exec, s[20:21]
	s_cbranch_vccz .LBB163_148
; %bb.154:                              ;   in Loop: Header=BB163_149 Depth=1
	s_bfe_i64 s[14:15], s[18:19], 0x200000
	s_branch .LBB163_148
.LBB163_155:
	s_cmpk_lt_i32 s40, 0x12e
	s_cbranch_scc1 .LBB163_164
; %bb.156:
	s_mov_b64 s[8:9], 0x12d
	s_mov_b32 s11, 0
	v_mov_b32_e32 v0, 0
	s_mov_b64 s[12:13], s[46:47]
	s_branch .LBB163_158
.LBB163_157:                            ;   in Loop: Header=BB163_158 Depth=1
	s_lshl_b64 s[14:15], s[14:15], 2
	s_add_u32 s14, s46, s14
	s_addc_u32 s15, s47, s15
	s_add_u32 s8, s8, 1
	s_addc_u32 s9, s9, 0
	;; [unrolled: 2-line block ×3, first 2 shown]
	s_cmp_lg_u32 s8, s40
	global_store_dword v0, v1, s[14:15]
	s_cbranch_scc0 .LBB163_164
.LBB163_158:                            ; =>This Loop Header: Depth=1
                                        ;     Child Loop BB163_160 Depth 2
	s_mov_b32 s10, s8
	s_lshl_b64 s[14:15], s[10:11], 2
	s_add_u32 s14, s46, s14
	s_addc_u32 s15, s47, s15
	global_load_dword v1, v0, s[14:15]
	s_mov_b64 s[16:17], s[12:13]
	s_mov_b64 s[14:15], s[8:9]
	s_branch .LBB163_160
.LBB163_159:                            ;   in Loop: Header=BB163_160 Depth=2
	s_add_u32 s18, s14, 0xfffffed3
	s_addc_u32 s19, s15, -1
	global_store_dword v0, v2, s[16:17] offset:1204
	s_add_u32 s16, s16, 0xfffffb4c
	s_addc_u32 s17, s17, -1
	s_cmpk_lt_i32 s14, 0x25a
	s_mov_b64 s[20:21], 0
	s_cselect_b64 s[22:23], -1, 0
	s_mov_b64 s[14:15], s[18:19]
	s_andn2_b64 vcc, exec, s[22:23]
	s_cbranch_vccz .LBB163_162
.LBB163_160:                            ;   Parent Loop BB163_158 Depth=1
                                        ; =>  This Inner Loop Header: Depth=2
	global_load_dword v2, v0, s[16:17]
	s_mov_b64 s[20:21], -1
	s_waitcnt vmcnt(0)
	v_cmp_nlt_f32_e32 vcc, v2, v1
	s_cbranch_vccz .LBB163_159
; %bb.161:                              ;   in Loop: Header=BB163_158 Depth=1
                                        ; implicit-def: $sgpr16_sgpr17
                                        ; implicit-def: $sgpr18_sgpr19
.LBB163_162:                            ;   in Loop: Header=BB163_158 Depth=1
	s_andn2_b64 vcc, exec, s[20:21]
	s_cbranch_vccz .LBB163_157
; %bb.163:                              ;   in Loop: Header=BB163_158 Depth=1
	s_bfe_i64 s[14:15], s[18:19], 0x200000
	s_branch .LBB163_157
.LBB163_164:
	s_cmpk_lt_i32 s40, 0x85
	s_cbranch_scc1 .LBB163_173
; %bb.165:
	s_mov_b64 s[8:9], 0x84
	s_mov_b32 s11, 0
	v_mov_b32_e32 v0, 0
	s_mov_b64 s[12:13], s[46:47]
	s_branch .LBB163_167
.LBB163_166:                            ;   in Loop: Header=BB163_167 Depth=1
	s_lshl_b64 s[14:15], s[14:15], 2
	s_add_u32 s14, s46, s14
	s_addc_u32 s15, s47, s15
	s_add_u32 s8, s8, 1
	s_addc_u32 s9, s9, 0
	;; [unrolled: 2-line block ×3, first 2 shown]
	s_cmp_lg_u32 s8, s40
	global_store_dword v0, v1, s[14:15]
	s_cbranch_scc0 .LBB163_173
.LBB163_167:                            ; =>This Loop Header: Depth=1
                                        ;     Child Loop BB163_169 Depth 2
	s_mov_b32 s10, s8
	s_lshl_b64 s[14:15], s[10:11], 2
	s_add_u32 s14, s46, s14
	s_addc_u32 s15, s47, s15
	global_load_dword v1, v0, s[14:15]
	s_mov_b64 s[16:17], s[12:13]
	s_mov_b64 s[14:15], s[8:9]
	s_branch .LBB163_169
.LBB163_168:                            ;   in Loop: Header=BB163_169 Depth=2
	s_add_u32 s18, s14, 0xffffff7c
	s_addc_u32 s19, s15, -1
	global_store_dword v0, v2, s[16:17] offset:528
	s_add_u32 s16, s16, 0xfffffdf0
	s_addc_u32 s17, s17, -1
	s_cmpk_lt_i32 s14, 0x108
	s_mov_b64 s[20:21], 0
	s_cselect_b64 s[22:23], -1, 0
	s_mov_b64 s[14:15], s[18:19]
	s_andn2_b64 vcc, exec, s[22:23]
	s_cbranch_vccz .LBB163_171
.LBB163_169:                            ;   Parent Loop BB163_167 Depth=1
                                        ; =>  This Inner Loop Header: Depth=2
	global_load_dword v2, v0, s[16:17]
	s_mov_b64 s[20:21], -1
	s_waitcnt vmcnt(0)
	v_cmp_nlt_f32_e32 vcc, v2, v1
	s_cbranch_vccz .LBB163_168
; %bb.170:                              ;   in Loop: Header=BB163_167 Depth=1
                                        ; implicit-def: $sgpr16_sgpr17
                                        ; implicit-def: $sgpr18_sgpr19
.LBB163_171:                            ;   in Loop: Header=BB163_167 Depth=1
	s_andn2_b64 vcc, exec, s[20:21]
	s_cbranch_vccz .LBB163_166
; %bb.172:                              ;   in Loop: Header=BB163_167 Depth=1
	s_bfe_i64 s[14:15], s[18:19], 0x200000
	s_branch .LBB163_166
.LBB163_173:
	s_cmp_lt_i32 s40, 58
	s_cbranch_scc1 .LBB163_182
; %bb.174:
	s_mov_b64 s[8:9], 57
	s_mov_b32 s11, 0
	v_mov_b32_e32 v0, 0
	s_mov_b64 s[12:13], s[46:47]
	s_branch .LBB163_176
.LBB163_175:                            ;   in Loop: Header=BB163_176 Depth=1
	s_lshl_b64 s[14:15], s[14:15], 2
	s_add_u32 s14, s46, s14
	s_addc_u32 s15, s47, s15
	s_add_u32 s8, s8, 1
	s_addc_u32 s9, s9, 0
	;; [unrolled: 2-line block ×3, first 2 shown]
	s_cmp_lg_u32 s8, s40
	global_store_dword v0, v1, s[14:15]
	s_cbranch_scc0 .LBB163_182
.LBB163_176:                            ; =>This Loop Header: Depth=1
                                        ;     Child Loop BB163_178 Depth 2
	s_mov_b32 s10, s8
	s_lshl_b64 s[14:15], s[10:11], 2
	s_add_u32 s14, s46, s14
	s_addc_u32 s15, s47, s15
	global_load_dword v1, v0, s[14:15]
	s_mov_b64 s[16:17], s[12:13]
	s_mov_b64 s[14:15], s[8:9]
	s_branch .LBB163_178
.LBB163_177:                            ;   in Loop: Header=BB163_178 Depth=2
	s_add_u32 s18, s14, 0xffffffc7
	s_addc_u32 s19, s15, -1
	global_store_dword v0, v2, s[16:17] offset:228
	s_add_u32 s16, s16, 0xffffff1c
	s_addc_u32 s17, s17, -1
	s_cmpk_lt_i32 s14, 0x72
	s_mov_b64 s[20:21], 0
	s_cselect_b64 s[22:23], -1, 0
	s_mov_b64 s[14:15], s[18:19]
	s_andn2_b64 vcc, exec, s[22:23]
	s_cbranch_vccz .LBB163_180
.LBB163_178:                            ;   Parent Loop BB163_176 Depth=1
                                        ; =>  This Inner Loop Header: Depth=2
	global_load_dword v2, v0, s[16:17]
	s_mov_b64 s[20:21], -1
	s_waitcnt vmcnt(0)
	v_cmp_nlt_f32_e32 vcc, v2, v1
	s_cbranch_vccz .LBB163_177
; %bb.179:                              ;   in Loop: Header=BB163_176 Depth=1
                                        ; implicit-def: $sgpr16_sgpr17
                                        ; implicit-def: $sgpr18_sgpr19
.LBB163_180:                            ;   in Loop: Header=BB163_176 Depth=1
	s_andn2_b64 vcc, exec, s[20:21]
	s_cbranch_vccz .LBB163_175
; %bb.181:                              ;   in Loop: Header=BB163_176 Depth=1
	s_bfe_i64 s[14:15], s[18:19], 0x200000
	s_branch .LBB163_175
.LBB163_182:
	s_cmp_lt_i32 s40, 24
	s_cbranch_scc1 .LBB163_191
; %bb.183:
	s_mov_b64 s[8:9], 23
	s_mov_b32 s11, 0
	v_mov_b32_e32 v0, 0
	s_mov_b64 s[12:13], s[46:47]
	s_branch .LBB163_185
.LBB163_184:                            ;   in Loop: Header=BB163_185 Depth=1
	s_lshl_b64 s[14:15], s[14:15], 2
	s_add_u32 s14, s46, s14
	s_addc_u32 s15, s47, s15
	s_add_u32 s8, s8, 1
	s_addc_u32 s9, s9, 0
	;; [unrolled: 2-line block ×3, first 2 shown]
	s_cmp_lg_u32 s8, s40
	global_store_dword v0, v1, s[14:15]
	s_cbranch_scc0 .LBB163_191
.LBB163_185:                            ; =>This Loop Header: Depth=1
                                        ;     Child Loop BB163_187 Depth 2
	s_mov_b32 s10, s8
	s_lshl_b64 s[14:15], s[10:11], 2
	s_add_u32 s14, s46, s14
	s_addc_u32 s15, s47, s15
	global_load_dword v1, v0, s[14:15]
	s_mov_b64 s[16:17], s[12:13]
	s_mov_b64 s[14:15], s[8:9]
	s_branch .LBB163_187
.LBB163_186:                            ;   in Loop: Header=BB163_187 Depth=2
	s_add_u32 s18, s14, 0xffffffe9
	s_addc_u32 s19, s15, -1
	global_store_dword v0, v2, s[16:17] offset:92
	s_add_u32 s16, s16, 0xffffffa4
	s_addc_u32 s17, s17, -1
	s_cmp_lt_i32 s14, 46
	s_mov_b64 s[20:21], 0
	s_cselect_b64 s[22:23], -1, 0
	s_mov_b64 s[14:15], s[18:19]
	s_andn2_b64 vcc, exec, s[22:23]
	s_cbranch_vccz .LBB163_189
.LBB163_187:                            ;   Parent Loop BB163_185 Depth=1
                                        ; =>  This Inner Loop Header: Depth=2
	global_load_dword v2, v0, s[16:17]
	s_mov_b64 s[20:21], -1
	s_waitcnt vmcnt(0)
	v_cmp_nlt_f32_e32 vcc, v2, v1
	s_cbranch_vccz .LBB163_186
; %bb.188:                              ;   in Loop: Header=BB163_185 Depth=1
                                        ; implicit-def: $sgpr16_sgpr17
                                        ; implicit-def: $sgpr18_sgpr19
.LBB163_189:                            ;   in Loop: Header=BB163_185 Depth=1
	s_andn2_b64 vcc, exec, s[20:21]
	s_cbranch_vccz .LBB163_184
; %bb.190:                              ;   in Loop: Header=BB163_185 Depth=1
	s_bfe_i64 s[14:15], s[18:19], 0x200000
	s_branch .LBB163_184
.LBB163_191:
	s_cmp_lt_i32 s40, 11
	s_cbranch_scc1 .LBB163_200
; %bb.192:
	s_mov_b64 s[8:9], 10
	s_mov_b32 s11, 0
	v_mov_b32_e32 v0, 0
	s_mov_b64 s[12:13], s[46:47]
	s_branch .LBB163_194
.LBB163_193:                            ;   in Loop: Header=BB163_194 Depth=1
	s_lshl_b64 s[14:15], s[14:15], 2
	s_add_u32 s14, s46, s14
	s_addc_u32 s15, s47, s15
	s_add_u32 s8, s8, 1
	s_addc_u32 s9, s9, 0
	;; [unrolled: 2-line block ×3, first 2 shown]
	s_cmp_lg_u32 s8, s40
	global_store_dword v0, v1, s[14:15]
	s_cbranch_scc0 .LBB163_200
.LBB163_194:                            ; =>This Loop Header: Depth=1
                                        ;     Child Loop BB163_196 Depth 2
	s_mov_b32 s10, s8
	s_lshl_b64 s[14:15], s[10:11], 2
	s_add_u32 s14, s46, s14
	s_addc_u32 s15, s47, s15
	global_load_dword v1, v0, s[14:15]
	s_mov_b64 s[16:17], s[12:13]
	s_mov_b64 s[14:15], s[8:9]
	s_branch .LBB163_196
.LBB163_195:                            ;   in Loop: Header=BB163_196 Depth=2
	s_add_u32 s18, s14, -10
	s_addc_u32 s19, s15, -1
	global_store_dword v0, v2, s[16:17] offset:40
	s_add_u32 s16, s16, 0xffffffd8
	s_addc_u32 s17, s17, -1
	s_cmp_lt_i32 s14, 20
	s_mov_b64 s[20:21], 0
	s_cselect_b64 s[22:23], -1, 0
	s_mov_b64 s[14:15], s[18:19]
	s_andn2_b64 vcc, exec, s[22:23]
	s_cbranch_vccz .LBB163_198
.LBB163_196:                            ;   Parent Loop BB163_194 Depth=1
                                        ; =>  This Inner Loop Header: Depth=2
	global_load_dword v2, v0, s[16:17]
	s_mov_b64 s[20:21], -1
	s_waitcnt vmcnt(0)
	v_cmp_nlt_f32_e32 vcc, v2, v1
	s_cbranch_vccz .LBB163_195
; %bb.197:                              ;   in Loop: Header=BB163_194 Depth=1
                                        ; implicit-def: $sgpr16_sgpr17
                                        ; implicit-def: $sgpr18_sgpr19
.LBB163_198:                            ;   in Loop: Header=BB163_194 Depth=1
	s_andn2_b64 vcc, exec, s[20:21]
	s_cbranch_vccz .LBB163_193
; %bb.199:                              ;   in Loop: Header=BB163_194 Depth=1
	s_bfe_i64 s[14:15], s[18:19], 0x200000
	s_branch .LBB163_193
.LBB163_200:
	s_cmp_lt_i32 s40, 5
	s_cbranch_scc1 .LBB163_209
; %bb.201:
	s_add_u32 s8, s60, s44
	s_addc_u32 s9, s61, s45
	s_add_u32 s8, s8, 16
	s_addc_u32 s9, s9, 0
	s_mov_b64 s[10:11], 4
	s_mov_b32 s13, 0
	v_mov_b32_e32 v0, 0
	s_branch .LBB163_203
.LBB163_202:                            ;   in Loop: Header=BB163_203 Depth=1
	s_lshl_b64 s[14:15], s[14:15], 2
	s_add_u32 s14, s46, s14
	s_addc_u32 s15, s47, s15
	s_add_u32 s10, s10, 1
	s_addc_u32 s11, s11, 0
	;; [unrolled: 2-line block ×3, first 2 shown]
	s_cmp_lg_u32 s10, s40
	global_store_dword v0, v1, s[14:15]
	s_cbranch_scc0 .LBB163_209
.LBB163_203:                            ; =>This Loop Header: Depth=1
                                        ;     Child Loop BB163_205 Depth 2
	s_mov_b32 s12, s10
	s_lshl_b64 s[14:15], s[12:13], 2
	s_add_u32 s14, s46, s14
	s_addc_u32 s15, s47, s15
	global_load_dword v1, v0, s[14:15]
	s_mov_b64 s[16:17], s[8:9]
	s_mov_b64 s[14:15], s[10:11]
	s_branch .LBB163_205
.LBB163_204:                            ;   in Loop: Header=BB163_205 Depth=2
	s_add_u32 s20, s14, -4
	s_addc_u32 s21, s15, -1
	s_cmp_lt_i32 s14, 8
	global_store_dword v0, v2, s[16:17]
	s_mov_b64 s[18:19], 0
	s_cselect_b64 s[24:25], -1, 0
	s_mov_b64 s[14:15], s[20:21]
	s_mov_b64 s[16:17], s[22:23]
	s_andn2_b64 vcc, exec, s[24:25]
	s_cbranch_vccz .LBB163_207
.LBB163_205:                            ;   Parent Loop BB163_203 Depth=1
                                        ; =>  This Inner Loop Header: Depth=2
	global_load_dword v2, v0, s[16:17] offset:-16
	s_add_u32 s22, s16, -16
	s_addc_u32 s23, s17, -1
	s_mov_b64 s[18:19], -1
	s_waitcnt vmcnt(0)
	v_cmp_nlt_f32_e32 vcc, v2, v1
	s_cbranch_vccz .LBB163_204
; %bb.206:                              ;   in Loop: Header=BB163_203 Depth=1
                                        ; implicit-def: $sgpr16_sgpr17
                                        ; implicit-def: $sgpr20_sgpr21
.LBB163_207:                            ;   in Loop: Header=BB163_203 Depth=1
	s_andn2_b64 vcc, exec, s[18:19]
	s_cbranch_vccz .LBB163_202
; %bb.208:                              ;   in Loop: Header=BB163_203 Depth=1
	s_bfe_i64 s[14:15], s[20:21], 0x200000
	s_branch .LBB163_202
.LBB163_209:
	s_cmp_lt_i32 s40, 2
	s_cbranch_scc1 .LBB163_216
; %bb.210:
	s_add_u32 s8, s60, s44
	s_addc_u32 s9, s61, s45
	s_add_u32 s8, s8, 4
	s_addc_u32 s9, s9, 0
	s_mov_b64 s[10:11], 1
	s_mov_b32 s13, 0
	v_mov_b32_e32 v0, 0
	s_branch .LBB163_212
.LBB163_211:                            ;   in Loop: Header=BB163_212 Depth=1
	s_lshl_b64 s[14:15], s[18:19], 2
	s_add_u32 s14, s46, s14
	s_addc_u32 s15, s47, s15
	s_add_u32 s10, s10, 1
	s_addc_u32 s11, s11, 0
	;; [unrolled: 2-line block ×3, first 2 shown]
	s_cmp_eq_u32 s10, s40
	global_store_dword v0, v1, s[14:15]
	s_cbranch_scc1 .LBB163_216
.LBB163_212:                            ; =>This Loop Header: Depth=1
                                        ;     Child Loop BB163_214 Depth 2
	s_mov_b32 s12, s10
	s_lshl_b64 s[14:15], s[12:13], 2
	s_add_u32 s14, s46, s14
	s_addc_u32 s15, s47, s15
	global_load_dword v1, v0, s[14:15]
	s_mov_b64 s[16:17], s[8:9]
	s_mov_b64 s[14:15], s[10:11]
	s_branch .LBB163_214
.LBB163_213:                            ;   in Loop: Header=BB163_214 Depth=2
	global_store_dword v0, v2, s[16:17]
	s_add_u32 s16, s14, -1
	s_addc_u32 s17, s15, -1
	s_cmp_lt_i32 s14, 2
	s_mov_b64 s[18:19], 0
	s_cselect_b64 s[20:21], -1, 0
	s_mov_b64 s[14:15], s[16:17]
	s_mov_b64 s[16:17], s[22:23]
	s_andn2_b64 vcc, exec, s[20:21]
	s_cbranch_vccz .LBB163_211
.LBB163_214:                            ;   Parent Loop BB163_212 Depth=1
                                        ; =>  This Inner Loop Header: Depth=2
	global_load_dword v2, v0, s[16:17] offset:-4
	s_add_u32 s22, s16, -4
	s_addc_u32 s23, s17, -1
	s_mov_b64 s[20:21], -1
	s_waitcnt vmcnt(0)
	v_cmp_nlt_f32_e32 vcc, v2, v1
	s_cbranch_vccz .LBB163_213
; %bb.215:                              ;   in Loop: Header=BB163_214 Depth=2
                                        ; implicit-def: $sgpr16_sgpr17
	s_mov_b64 s[18:19], s[14:15]
	s_andn2_b64 vcc, exec, s[20:21]
	s_cbranch_vccnz .LBB163_214
	s_branch .LBB163_211
.LBB163_216:
	s_or_b64 exec, exec, s[6:7]
	s_cmp_lt_i32 s40, 2
	s_cselect_b64 s[10:11], -1, 0
	s_mov_b64 s[54:55], 0
	s_and_b64 vcc, exec, s[10:11]
	s_barrier
	s_cbranch_vccnz .LBB163_224
; %bb.217:
	s_add_i32 s20, s40, -1
	v_cmp_gt_u32_e32 vcc, s20, v41
	s_mov_b64 s[10:11], -1
	s_mov_b64 s[6:7], 0
	s_and_saveexec_b64 s[8:9], vcc
	s_cbranch_execz .LBB163_226
; %bb.218:
	s_add_u32 s21, s46, 4
	s_addc_u32 s22, s47, 0
	s_mov_b64 s[10:11], 0
	v_mov_b32_e32 v1, 0
	v_mov_b32_e32 v2, s47
	;; [unrolled: 1-line block ×3, first 2 shown]
                                        ; implicit-def: $sgpr12_sgpr13
	s_branch .LBB163_220
.LBB163_219:                            ;   in Loop: Header=BB163_220 Depth=1
	s_or_b64 exec, exec, s[18:19]
	s_xor_b64 s[14:15], s[14:15], -1
	s_and_b64 s[6:7], exec, s[6:7]
	s_or_b64 s[10:11], s[6:7], s[10:11]
	s_andn2_b64 s[6:7], s[12:13], exec
	s_and_b64 s[12:13], s[14:15], exec
	s_or_b64 s[12:13], s[6:7], s[12:13]
	s_andn2_b64 exec, exec, s[10:11]
	s_cbranch_execz .LBB163_225
.LBB163_220:                            ; =>This Inner Loop Header: Depth=1
	v_lshlrev_b64 v[4:5], 2, v[0:1]
	v_add_co_u32_e32 v4, vcc, s46, v4
	v_addc_co_u32_e32 v5, vcc, v2, v5, vcc
	global_load_dword v3, v[4:5], off
                                        ; implicit-def: $sgpr14_sgpr15
	s_waitcnt vmcnt(0)
	v_cmp_u_f32_e64 s[16:17], v3, v3
	v_cmp_o_f32_e32 vcc, v3, v3
	s_and_saveexec_b64 s[18:19], vcc
	s_cbranch_execz .LBB163_222
; %bb.221:                              ;   in Loop: Header=BB163_220 Depth=1
	v_ashrrev_i32_e32 v5, 31, v0
	v_mov_b32_e32 v4, v0
	v_lshlrev_b64 v[4:5], 2, v[4:5]
	v_mov_b32_e32 v6, s22
	v_add_co_u32_e32 v4, vcc, s21, v4
	v_addc_co_u32_e32 v5, vcc, v6, v5, vcc
	global_load_dword v4, v[4:5], off
	s_andn2_b64 s[16:17], s[16:17], exec
	s_mov_b64 s[14:15], -1
	s_waitcnt vmcnt(0)
	v_cmp_u_f32_e32 vcc, v4, v4
	v_cmp_ge_f32_e64 s[6:7], v3, v4
	s_or_b64 s[6:7], vcc, s[6:7]
	s_and_b64 s[6:7], s[6:7], exec
	s_or_b64 s[16:17], s[16:17], s[6:7]
.LBB163_222:                            ;   in Loop: Header=BB163_220 Depth=1
	s_or_b64 exec, exec, s[18:19]
	s_mov_b64 s[6:7], -1
	s_and_saveexec_b64 s[18:19], s[16:17]
	s_cbranch_execz .LBB163_219
; %bb.223:                              ;   in Loop: Header=BB163_220 Depth=1
	v_add_u32_e32 v0, s58, v0
	v_cmp_le_u32_e32 vcc, s20, v0
	s_andn2_b64 s[14:15], s[14:15], exec
	s_orn2_b64 s[6:7], vcc, exec
	s_branch .LBB163_219
.LBB163_224:
	s_mov_b64 s[6:7], 0
	s_branch .LBB163_227
.LBB163_225:
	s_or_b64 exec, exec, s[10:11]
	s_mov_b64 s[6:7], exec
	s_orn2_b64 s[10:11], s[12:13], exec
.LBB163_226:
	s_or_b64 exec, exec, s[8:9]
.LBB163_227:
	s_and_saveexec_b64 s[8:9], s[10:11]
	s_cbranch_execz .LBB163_229
; %bb.228:
	s_mov_b64 s[54:55], exec
	s_barrier
	s_andn2_b64 s[6:7], s[6:7], exec
.LBB163_229:
	s_or_b64 exec, exec, s[8:9]
	s_and_saveexec_b64 s[48:49], s[6:7]
	s_cbranch_execz .LBB163_231
; %bb.230:
	s_add_u32 s8, s4, 0x90
	s_addc_u32 s9, s5, 0
	s_getpc_b64 s[4:5]
	s_add_u32 s4, s4, __PRETTY_FUNCTION__._ZN9rocsolver6v33100L21shell_sort_descendingIfiEEvT0_PT_PS2_@rel32@lo+4
	s_addc_u32 s5, s5, __PRETTY_FUNCTION__._ZN9rocsolver6v33100L21shell_sort_descendingIfiEEvT0_PT_PS2_@rel32@hi+12
	v_mov_b32_e32 v0, s4
	v_mov_b32_e32 v1, s5
	s_getpc_b64 s[6:7]
	s_add_u32 s6, s6, __assert_fail@rel32@lo+4
	s_addc_u32 s7, s7, __assert_fail@rel32@hi+12
	s_swappc_b64 s[30:31], s[6:7]
	s_or_b64 s[62:63], s[62:63], exec
.LBB163_231:
	s_or_b64 exec, exec, s[48:49]
.LBB163_232:
	s_and_saveexec_b64 s[4:5], s[62:63]
; %bb.233:
	; divergent unreachable
; %bb.234:
	s_or_b64 exec, exec, s[4:5]
	s_and_saveexec_b64 s[4:5], s[54:55]
	s_cbranch_execz .LBB163_236
; %bb.235:
	s_barrier
.LBB163_236:
	s_or_b64 exec, exec, s[4:5]
	s_cbranch_execnz .LBB163_260
.LBB163_237:
	s_cmp_lt_i32 s40, 2
	s_cbranch_scc1 .LBB163_260
; %bb.238:
	s_cmp_lg_u32 s41, 0
	s_cselect_b64 s[12:13], -1, 0
	s_cmp_lg_u32 s42, 0
	s_cselect_b64 s[14:15], -1, 0
	;; [unrolled: 2-line block ×3, first 2 shown]
	s_add_i32 s33, s40, -2
	s_add_u32 s18, s60, s44
	v_cndmask_b32_e64 v3, 0, 1, s[12:13]
	s_addc_u32 s21, s61, s45
	v_cmp_ne_u32_e64 s[12:13], 1, v3
	v_cndmask_b32_e64 v3, 0, 1, s[14:15]
	s_add_u32 s20, s18, 4
	v_cmp_ne_u32_e64 s[14:15], 1, v3
	v_cndmask_b32_e64 v3, 0, 1, s[16:17]
	s_mov_b32 s19, 0
	v_cmp_eq_u32_e64 s[4:5], 0, v41
	v_cmp_gt_i32_e64 s[6:7], s41, v41
	v_cmp_gt_i32_e64 s[8:9], s42, v41
	;; [unrolled: 1-line block ×3, first 2 shown]
	s_addc_u32 s21, s21, 0
	v_mul_lo_u32 v0, s59, v41
	s_mul_i32 s44, s59, s38
	v_mul_lo_u32 v1, s57, v41
	s_mul_i32 s45, s57, s38
	v_mov_b32_e32 v2, 0
	v_cmp_ne_u32_e64 s[16:17], 1, v3
	s_mov_b32 s48, 0
	s_mov_b32 s49, 0
	s_branch .LBB163_241
.LBB163_239:                            ;   in Loop: Header=BB163_241 Depth=1
	s_or_b64 exec, exec, s[24:25]
	s_waitcnt lgkmcnt(0)
	s_barrier
.LBB163_240:                            ;   in Loop: Header=BB163_241 Depth=1
	s_add_u32 s20, s20, 4
	s_addc_u32 s21, s21, 0
	s_add_i32 s48, s48, s39
	s_cmp_eq_u32 s18, s33
	s_cbranch_scc1 .LBB163_260
.LBB163_241:                            ; =>This Loop Header: Depth=1
                                        ;     Child Loop BB163_242 Depth 2
                                        ;     Child Loop BB163_249 Depth 2
                                        ;     Child Loop BB163_254 Depth 2
                                        ;     Child Loop BB163_259 Depth 2
	s_mov_b32 s18, s49
	s_lshl_b64 s[22:23], s[18:19], 2
	s_add_u32 s24, s46, s22
	s_addc_u32 s25, s47, s23
	global_load_dword v3, v2, s[24:25]
	s_add_i32 s49, s49, 1
	s_mov_b64 s[30:31], s[20:21]
	s_mov_b32 s23, s49
	s_mov_b32 s22, s18
.LBB163_242:                            ;   Parent Loop BB163_241 Depth=1
                                        ; =>  This Inner Loop Header: Depth=2
	global_load_dword v4, v2, s[30:31]
	s_waitcnt vmcnt(0)
	v_cmp_gt_f32_e32 vcc, v4, v3
	s_and_b64 s[50:51], vcc, exec
	s_cselect_b32 s22, s23, s22
	s_add_i32 s23, s23, 1
	s_add_u32 s30, s30, 4
	s_addc_u32 s31, s31, 0
	v_cndmask_b32_e32 v3, v3, v4, vcc
	s_cmp_lt_i32 s23, s40
	s_cbranch_scc1 .LBB163_242
; %bb.243:                              ;   in Loop: Header=BB163_241 Depth=1
	s_cmp_eq_u32 s22, s18
	s_barrier
	s_cbranch_scc1 .LBB163_240
; %bb.244:                              ;   in Loop: Header=BB163_241 Depth=1
	s_and_saveexec_b64 s[30:31], s[4:5]
	s_cbranch_execz .LBB163_246
; %bb.245:                              ;   in Loop: Header=BB163_241 Depth=1
	global_load_dword v4, v2, s[24:25]
	s_ashr_i32 s23, s22, 31
	s_lshl_b64 s[50:51], s[22:23], 2
	s_add_u32 s50, s46, s50
	s_addc_u32 s51, s47, s51
	s_waitcnt vmcnt(0)
	global_store_dword v2, v4, s[50:51]
	global_store_dword v2, v3, s[24:25]
.LBB163_246:                            ;   in Loop: Header=BB163_241 Depth=1
	s_or_b64 exec, exec, s[30:31]
	s_and_b64 vcc, exec, s[12:13]
	s_cbranch_vccnz .LBB163_251
; %bb.247:                              ;   in Loop: Header=BB163_241 Depth=1
	s_and_saveexec_b64 s[24:25], s[6:7]
	s_cbranch_execz .LBB163_250
; %bb.248:                              ;   in Loop: Header=BB163_241 Depth=1
	s_mov_b64 s[30:31], 0
	v_mov_b32_e32 v3, v0
	v_mov_b32_e32 v4, v41
.LBB163_249:                            ;   Parent Loop BB163_241 Depth=1
                                        ; =>  This Inner Loop Header: Depth=2
	v_add_u32_e32 v6, s22, v3
	v_ashrrev_i32_e32 v7, 31, v6
	v_add_u32_e32 v8, s18, v3
	v_lshlrev_b64 v[6:7], 3, v[6:7]
	v_mov_b32_e32 v5, s29
	v_ashrrev_i32_e32 v9, 31, v8
	v_add_co_u32_e32 v6, vcc, s28, v6
	v_lshlrev_b64 v[8:9], 3, v[8:9]
	v_addc_co_u32_e32 v7, vcc, v5, v7, vcc
	v_add_co_u32_e32 v8, vcc, s28, v8
	v_addc_co_u32_e32 v9, vcc, v5, v9, vcc
	flat_load_dwordx2 v[10:11], v[8:9]
	flat_load_dwordx2 v[12:13], v[6:7]
	v_add_u32_e32 v4, s38, v4
	v_cmp_le_i32_e32 vcc, s41, v4
	v_add_u32_e32 v3, s44, v3
	s_or_b64 s[30:31], vcc, s[30:31]
	s_waitcnt vmcnt(0) lgkmcnt(0)
	flat_store_dwordx2 v[6:7], v[10:11]
	flat_store_dwordx2 v[8:9], v[12:13]
	s_andn2_b64 exec, exec, s[30:31]
	s_cbranch_execnz .LBB163_249
.LBB163_250:                            ;   in Loop: Header=BB163_241 Depth=1
	s_or_b64 exec, exec, s[24:25]
	s_waitcnt lgkmcnt(0)
	s_barrier
.LBB163_251:                            ;   in Loop: Header=BB163_241 Depth=1
	s_and_b64 vcc, exec, s[14:15]
	s_cbranch_vccnz .LBB163_256
; %bb.252:                              ;   in Loop: Header=BB163_241 Depth=1
	s_and_saveexec_b64 s[24:25], s[8:9]
	s_cbranch_execz .LBB163_255
; %bb.253:                              ;   in Loop: Header=BB163_241 Depth=1
	s_mul_i32 s23, s22, s39
	s_mov_b64 s[30:31], 0
	v_mov_b32_e32 v3, v41
.LBB163_254:                            ;   Parent Loop BB163_241 Depth=1
                                        ; =>  This Inner Loop Header: Depth=2
	v_add_u32_e32 v4, s23, v3
	v_ashrrev_i32_e32 v5, 31, v4
	v_add_u32_e32 v6, s48, v3
	v_lshlrev_b64 v[4:5], 3, v[4:5]
	v_mov_b32_e32 v8, s35
	v_ashrrev_i32_e32 v7, 31, v6
	v_add_co_u32_e32 v4, vcc, s34, v4
	v_lshlrev_b64 v[6:7], 3, v[6:7]
	v_addc_co_u32_e32 v5, vcc, v8, v5, vcc
	v_add_co_u32_e32 v6, vcc, s34, v6
	v_addc_co_u32_e32 v7, vcc, v8, v7, vcc
	flat_load_dwordx2 v[8:9], v[6:7]
	flat_load_dwordx2 v[10:11], v[4:5]
	v_add_u32_e32 v3, s38, v3
	v_cmp_le_i32_e32 vcc, s42, v3
	s_or_b64 s[30:31], vcc, s[30:31]
	s_waitcnt vmcnt(0) lgkmcnt(0)
	flat_store_dwordx2 v[4:5], v[8:9]
	flat_store_dwordx2 v[6:7], v[10:11]
	s_andn2_b64 exec, exec, s[30:31]
	s_cbranch_execnz .LBB163_254
.LBB163_255:                            ;   in Loop: Header=BB163_241 Depth=1
	s_or_b64 exec, exec, s[24:25]
	s_waitcnt lgkmcnt(0)
	s_barrier
.LBB163_256:                            ;   in Loop: Header=BB163_241 Depth=1
	s_and_b64 vcc, exec, s[16:17]
	s_cbranch_vccnz .LBB163_240
; %bb.257:                              ;   in Loop: Header=BB163_241 Depth=1
	s_and_saveexec_b64 s[24:25], s[10:11]
	s_cbranch_execz .LBB163_239
; %bb.258:                              ;   in Loop: Header=BB163_241 Depth=1
	s_mov_b64 s[30:31], 0
	v_mov_b32_e32 v3, v1
	v_mov_b32_e32 v4, v41
.LBB163_259:                            ;   Parent Loop BB163_241 Depth=1
                                        ; =>  This Inner Loop Header: Depth=2
	v_add_u32_e32 v6, s22, v3
	v_ashrrev_i32_e32 v7, 31, v6
	v_add_u32_e32 v8, s18, v3
	v_lshlrev_b64 v[6:7], 3, v[6:7]
	v_mov_b32_e32 v5, s37
	v_ashrrev_i32_e32 v9, 31, v8
	v_add_co_u32_e32 v6, vcc, s36, v6
	v_lshlrev_b64 v[8:9], 3, v[8:9]
	v_addc_co_u32_e32 v7, vcc, v5, v7, vcc
	v_add_co_u32_e32 v8, vcc, s36, v8
	v_addc_co_u32_e32 v9, vcc, v5, v9, vcc
	flat_load_dwordx2 v[10:11], v[8:9]
	flat_load_dwordx2 v[12:13], v[6:7]
	v_add_u32_e32 v4, s38, v4
	v_cmp_le_i32_e32 vcc, s43, v4
	v_add_u32_e32 v3, s45, v3
	s_or_b64 s[30:31], vcc, s[30:31]
	s_waitcnt vmcnt(0) lgkmcnt(0)
	flat_store_dwordx2 v[6:7], v[10:11]
	flat_store_dwordx2 v[8:9], v[12:13]
	s_andn2_b64 exec, exec, s[30:31]
	s_cbranch_execnz .LBB163_259
	s_branch .LBB163_239
.LBB163_260:
	s_mov_b64 s[6:7], 0
.LBB163_261:
	s_andn2_b64 vcc, exec, s[6:7]
	s_cbranch_vccnz .LBB163_264
; %bb.262:
	v_cmp_eq_u32_e32 vcc, 0, v41
	s_and_saveexec_b64 s[4:5], vcc
	s_cbranch_execz .LBB163_264
; %bb.263:
	s_add_u32 s4, s52, s26
	s_addc_u32 s5, s53, s27
	v_mov_b32_e32 v0, 0
	v_mov_b32_e32 v1, s56
	global_store_dword v0, v1, s[4:5]
.LBB163_264:
	s_endpgm
	.section	.rodata,"a",@progbits
	.p2align	6, 0x0
	.amdhsa_kernel _ZN9rocsolver6v33100L14bdsqr_finalizeI19rocblas_complex_numIfEfPKPS3_S4_S6_EEviiiiPT0_lS8_lT1_iilT2_iilT3_iilPiSC_SC_
		.amdhsa_group_segment_fixed_size 0
		.amdhsa_private_segment_fixed_size 64
		.amdhsa_kernarg_size 400
		.amdhsa_user_sgpr_count 8
		.amdhsa_user_sgpr_private_segment_buffer 1
		.amdhsa_user_sgpr_dispatch_ptr 0
		.amdhsa_user_sgpr_queue_ptr 0
		.amdhsa_user_sgpr_kernarg_segment_ptr 1
		.amdhsa_user_sgpr_dispatch_id 0
		.amdhsa_user_sgpr_flat_scratch_init 1
		.amdhsa_user_sgpr_kernarg_preload_length 0
		.amdhsa_user_sgpr_kernarg_preload_offset 0
		.amdhsa_user_sgpr_private_segment_size 0
		.amdhsa_uses_dynamic_stack 0
		.amdhsa_system_sgpr_private_segment_wavefront_offset 1
		.amdhsa_system_sgpr_workgroup_id_x 1
		.amdhsa_system_sgpr_workgroup_id_y 1
		.amdhsa_system_sgpr_workgroup_id_z 0
		.amdhsa_system_sgpr_workgroup_info 0
		.amdhsa_system_vgpr_workitem_id 2
		.amdhsa_next_free_vgpr 45
		.amdhsa_next_free_sgpr 78
		.amdhsa_accum_offset 48
		.amdhsa_reserve_vcc 1
		.amdhsa_reserve_flat_scratch 1
		.amdhsa_float_round_mode_32 0
		.amdhsa_float_round_mode_16_64 0
		.amdhsa_float_denorm_mode_32 3
		.amdhsa_float_denorm_mode_16_64 3
		.amdhsa_dx10_clamp 1
		.amdhsa_ieee_mode 1
		.amdhsa_fp16_overflow 0
		.amdhsa_tg_split 0
		.amdhsa_exception_fp_ieee_invalid_op 0
		.amdhsa_exception_fp_denorm_src 0
		.amdhsa_exception_fp_ieee_div_zero 0
		.amdhsa_exception_fp_ieee_overflow 0
		.amdhsa_exception_fp_ieee_underflow 0
		.amdhsa_exception_fp_ieee_inexact 0
		.amdhsa_exception_int_div_zero 0
	.end_amdhsa_kernel
	.section	.text._ZN9rocsolver6v33100L14bdsqr_finalizeI19rocblas_complex_numIfEfPKPS3_S4_S6_EEviiiiPT0_lS8_lT1_iilT2_iilT3_iilPiSC_SC_,"axG",@progbits,_ZN9rocsolver6v33100L14bdsqr_finalizeI19rocblas_complex_numIfEfPKPS3_S4_S6_EEviiiiPT0_lS8_lT1_iilT2_iilT3_iilPiSC_SC_,comdat
.Lfunc_end163:
	.size	_ZN9rocsolver6v33100L14bdsqr_finalizeI19rocblas_complex_numIfEfPKPS3_S4_S6_EEviiiiPT0_lS8_lT1_iilT2_iilT3_iilPiSC_SC_, .Lfunc_end163-_ZN9rocsolver6v33100L14bdsqr_finalizeI19rocblas_complex_numIfEfPKPS3_S4_S6_EEviiiiPT0_lS8_lT1_iilT2_iilT3_iilPiSC_SC_
                                        ; -- End function
	.section	.AMDGPU.csdata,"",@progbits
; Kernel info:
; codeLenInByte = 7688
; NumSgprs: 84
; NumVgprs: 45
; NumAgprs: 0
; TotalNumVgprs: 45
; ScratchSize: 64
; MemoryBound: 0
; FloatMode: 240
; IeeeMode: 1
; LDSByteSize: 0 bytes/workgroup (compile time only)
; SGPRBlocks: 10
; VGPRBlocks: 5
; NumSGPRsForWavesPerEU: 84
; NumVGPRsForWavesPerEU: 45
; AccumOffset: 48
; Occupancy: 8
; WaveLimiterHint : 1
; COMPUTE_PGM_RSRC2:SCRATCH_EN: 1
; COMPUTE_PGM_RSRC2:USER_SGPR: 8
; COMPUTE_PGM_RSRC2:TRAP_HANDLER: 0
; COMPUTE_PGM_RSRC2:TGID_X_EN: 1
; COMPUTE_PGM_RSRC2:TGID_Y_EN: 1
; COMPUTE_PGM_RSRC2:TGID_Z_EN: 0
; COMPUTE_PGM_RSRC2:TIDIG_COMP_CNT: 2
; COMPUTE_PGM_RSRC3_GFX90A:ACCUM_OFFSET: 11
; COMPUTE_PGM_RSRC3_GFX90A:TG_SPLIT: 0
	.section	.text._ZN9rocsolver6v33100L17bdsqr_lower2upperI19rocblas_complex_numIfEfPKPS3_S6_EEviiiPT0_lS8_lT1_iilT2_iilPiS8_lSB_,"axG",@progbits,_ZN9rocsolver6v33100L17bdsqr_lower2upperI19rocblas_complex_numIfEfPKPS3_S6_EEviiiPT0_lS8_lT1_iilT2_iilPiS8_lSB_,comdat
	.globl	_ZN9rocsolver6v33100L17bdsqr_lower2upperI19rocblas_complex_numIfEfPKPS3_S6_EEviiiPT0_lS8_lT1_iilT2_iilPiS8_lSB_ ; -- Begin function _ZN9rocsolver6v33100L17bdsqr_lower2upperI19rocblas_complex_numIfEfPKPS3_S6_EEviiiPT0_lS8_lT1_iilT2_iilPiS8_lSB_
	.p2align	8
	.type	_ZN9rocsolver6v33100L17bdsqr_lower2upperI19rocblas_complex_numIfEfPKPS3_S6_EEviiiPT0_lS8_lT1_iilT2_iilPiS8_lSB_,@function
_ZN9rocsolver6v33100L17bdsqr_lower2upperI19rocblas_complex_numIfEfPKPS3_S6_EEviiiPT0_lS8_lT1_iilT2_iilPiS8_lSB_: ; @_ZN9rocsolver6v33100L17bdsqr_lower2upperI19rocblas_complex_numIfEfPKPS3_S6_EEviiiPT0_lS8_lT1_iilT2_iilPiS8_lSB_
; %bb.0:
	s_load_dwordx2 s[0:1], s[4:5], 0x78
	s_mov_b32 s28, s7
	s_ashr_i32 s29, s7, 31
	s_lshl_b64 s[2:3], s[28:29], 2
	s_waitcnt lgkmcnt(0)
	s_add_u32 s0, s0, s2
	s_addc_u32 s1, s1, s3
	s_load_dword s0, s[0:1], 0x8
	s_waitcnt lgkmcnt(0)
	s_cmp_lg_u32 s0, 0
	s_cbranch_scc1 .LBB164_34
; %bb.1:
	s_load_dwordx4 s[20:23], s[4:5], 0x30
	s_load_dwordx4 s[8:11], s[4:5], 0x68
	s_mov_b64 s[6:7], 0
	s_mov_b64 s[24:25], 0
	s_waitcnt lgkmcnt(0)
	s_cmp_eq_u64 s[20:21], 0
	s_cbranch_scc1 .LBB164_3
; %bb.2:
	s_lshl_b64 s[0:1], s[28:29], 3
	s_add_u32 s0, s20, s0
	s_addc_u32 s1, s21, s1
	s_load_dwordx2 s[0:1], s[0:1], 0x0
	s_ashr_i32 s3, s22, 31
	s_mov_b32 s2, s22
	s_lshl_b64 s[2:3], s[2:3], 3
	s_waitcnt lgkmcnt(0)
	s_add_u32 s24, s0, s2
	s_addc_u32 s25, s1, s3
.LBB164_3:
	s_load_dwordx4 s[0:3], s[4:5], 0x48
	s_waitcnt lgkmcnt(0)
	s_cmp_eq_u64 s[0:1], 0
	s_cbranch_scc1 .LBB164_5
; %bb.4:
	s_lshl_b64 s[6:7], s[28:29], 3
	s_add_u32 s0, s0, s6
	s_addc_u32 s1, s1, s7
	s_load_dwordx2 s[0:1], s[0:1], 0x0
	s_ashr_i32 s7, s2, 31
	s_mov_b32 s6, s2
	s_lshl_b64 s[6:7], s[6:7], 3
	s_waitcnt lgkmcnt(0)
	s_add_u32 s6, s0, s6
	s_addc_u32 s7, s1, s7
.LBB164_5:
	s_mul_i32 s0, s28, s11
	s_mul_hi_u32 s1, s28, s10
	s_load_dwordx4 s[16:19], s[4:5], 0x0
	s_add_i32 s0, s1, s0
	s_mul_i32 s1, s29, s10
	s_add_i32 s1, s0, s1
	s_mul_i32 s0, s28, s10
	s_lshl_b64 s[0:1], s[0:1], 2
	s_add_u32 s2, s8, s0
	s_waitcnt lgkmcnt(0)
	s_addc_u32 s19, s9, s1
	v_cmp_eq_u32_e32 vcc, 0, v0
	s_and_saveexec_b64 s[20:21], vcc
	s_cbranch_execz .LBB164_22
; %bb.6:
	s_load_dwordx8 s[8:15], s[4:5], 0x10
	s_waitcnt lgkmcnt(0)
	s_mul_i32 s0, s28, s11
	s_mul_hi_u32 s1, s28, s10
	s_mul_i32 s11, s29, s10
	s_add_i32 s0, s1, s0
	s_add_i32 s1, s0, s11
	s_mul_i32 s0, s28, s10
	s_lshl_b64 s[0:1], s[0:1], 2
	s_add_u32 s10, s8, s0
	s_addc_u32 s11, s9, s1
	s_load_dword s22, s[10:11], 0x0
	s_add_i32 s26, s16, -1
	s_cmp_lt_i32 s16, 2
	s_waitcnt lgkmcnt(0)
	v_mov_b32_e32 v3, s22
	s_cbranch_scc1 .LBB164_21
; %bb.7:
	s_mul_i32 s15, s28, s15
	s_mul_hi_u32 s27, s28, s14
	s_add_i32 s15, s27, s15
	s_mul_i32 s27, s29, s14
	s_add_i32 s15, s15, s27
	s_mul_i32 s14, s28, s14
	s_lshl_b64 s[14:15], s[14:15], 2
	s_add_u32 s30, s14, s12
	s_addc_u32 s31, s15, s13
	s_or_b32 s14, s18, s17
	s_cmp_lg_u32 s14, 0
	s_cselect_b64 s[14:15], -1, 0
	s_add_u32 s28, s2, 16
	s_addc_u32 s29, s19, 0
	s_load_dword s12, s[30:31], 0x0
	s_add_u32 s0, s0, s8
	s_addc_u32 s1, s1, s9
	s_add_u32 s8, s0, 4
	s_addc_u32 s9, s1, 0
	s_add_u32 s30, s30, 4
	s_mov_b32 s13, 0
	s_addc_u32 s31, s31, 0
	v_mov_b32_e32 v3, s22
	s_waitcnt lgkmcnt(0)
	v_mov_b32_e32 v4, s12
	s_mov_b32 s22, 0xf800000
	v_mov_b32_e32 v1, 0x260
	v_mov_b32_e32 v2, 0
	s_mov_b64 s[34:35], s[28:29]
	s_mov_b32 s27, 0
	s_branch .LBB164_9
.LBB164_8:                              ;   in Loop: Header=BB164_9 Depth=1
	s_add_i32 s27, s27, 1
	s_add_u32 s34, s34, 4
	s_addc_u32 s35, s35, 0
	s_add_u32 s8, s8, 4
	s_addc_u32 s9, s9, 0
	;; [unrolled: 2-line block ×3, first 2 shown]
	s_cmp_lg_u32 s26, s27
	s_waitcnt vmcnt(0)
	v_mul_f32_e32 v3, v5, v3
	s_cbranch_scc0 .LBB164_21
.LBB164_9:                              ; =>This Inner Loop Header: Depth=1
	v_cmp_eq_f32_e32 vcc, 0, v4
	s_cbranch_vccnz .LBB164_13
; %bb.10:                               ;   in Loop: Header=BB164_9 Depth=1
	v_cmp_neq_f32_e32 vcc, 0, v3
	s_cbranch_vccz .LBB164_14
; %bb.11:                               ;   in Loop: Header=BB164_9 Depth=1
	v_cmp_ngt_f32_e64 s[0:1], |v4|, |v3|
	s_and_b64 vcc, exec, s[0:1]
	s_cbranch_vccz .LBB164_15
; %bb.12:                               ;   in Loop: Header=BB164_9 Depth=1
	v_div_scale_f32 v5, s[0:1], v3, v3, -v4
	v_rcp_f32_e32 v6, v5
	v_div_scale_f32 v7, vcc, -v4, v3, -v4
	v_fma_f32 v8, -v5, v6, 1.0
	v_fmac_f32_e32 v6, v8, v6
	v_mul_f32_e32 v8, v7, v6
	v_fma_f32 v9, -v5, v8, v7
	v_fmac_f32_e32 v8, v9, v6
	v_fma_f32 v5, -v5, v8, v7
	v_div_fmas_f32 v5, v5, v6, v8
	v_div_fixup_f32 v6, v5, v3, -v4
	v_fma_f32 v5, v6, v6, 1.0
	v_mul_f32_e32 v7, 0x4f800000, v5
	v_cmp_gt_f32_e32 vcc, s22, v5
	v_cndmask_b32_e32 v5, v5, v7, vcc
	v_sqrt_f32_e32 v7, v5
	v_add_u32_e32 v8, -1, v7
	v_fma_f32 v9, -v8, v7, v5
	v_cmp_ge_f32_e64 s[0:1], 0, v9
	v_add_u32_e32 v9, 1, v7
	v_cndmask_b32_e64 v8, v7, v8, s[0:1]
	v_fma_f32 v7, -v9, v7, v5
	v_cmp_lt_f32_e64 s[0:1], 0, v7
	v_cndmask_b32_e64 v7, v8, v9, s[0:1]
	v_mul_f32_e32 v8, 0x37800000, v7
	v_cndmask_b32_e32 v7, v7, v8, vcc
	v_cmp_class_f32_e32 vcc, v5, v1
	v_cndmask_b32_e32 v5, v7, v5, vcc
	v_div_scale_f32 v7, s[0:1], v5, v5, 1.0
	v_rcp_f32_e32 v8, v7
	v_fma_f32 v9, -v7, v8, 1.0
	v_fmac_f32_e32 v8, v9, v8
	v_div_scale_f32 v9, vcc, 1.0, v5, 1.0
	v_mul_f32_e32 v10, v9, v8
	v_fma_f32 v11, -v7, v10, v9
	v_fmac_f32_e32 v10, v11, v8
	v_fma_f32 v7, -v7, v10, v9
	v_div_fmas_f32 v7, v7, v8, v10
	v_div_fixup_f32 v5, v7, v5, 1.0
	v_mul_f32_e32 v6, v6, v5
	s_cbranch_execz .LBB164_16
	s_branch .LBB164_17
.LBB164_13:                             ;   in Loop: Header=BB164_9 Depth=1
	v_mov_b32_e32 v6, 0
	v_mov_b32_e32 v5, 1.0
	s_branch .LBB164_19
.LBB164_14:                             ;   in Loop: Header=BB164_9 Depth=1
                                        ; implicit-def: $vgpr3
                                        ; implicit-def: $vgpr5
                                        ; implicit-def: $vgpr6
	s_cbranch_execnz .LBB164_18
	s_branch .LBB164_19
.LBB164_15:                             ;   in Loop: Header=BB164_9 Depth=1
                                        ; implicit-def: $vgpr5
                                        ; implicit-def: $vgpr6
.LBB164_16:                             ;   in Loop: Header=BB164_9 Depth=1
	v_div_scale_f32 v5, s[0:1], v4, v4, -v3
	v_rcp_f32_e32 v6, v5
	v_div_scale_f32 v7, vcc, -v3, v4, -v3
	v_fma_f32 v8, -v5, v6, 1.0
	v_fmac_f32_e32 v6, v8, v6
	v_mul_f32_e32 v8, v7, v6
	v_fma_f32 v9, -v5, v8, v7
	v_fmac_f32_e32 v8, v9, v6
	v_fma_f32 v5, -v5, v8, v7
	v_div_fmas_f32 v5, v5, v6, v8
	v_div_fixup_f32 v5, v5, v4, -v3
	v_fma_f32 v6, v5, v5, 1.0
	v_mul_f32_e32 v7, 0x4f800000, v6
	v_cmp_gt_f32_e32 vcc, s22, v6
	v_cndmask_b32_e32 v6, v6, v7, vcc
	v_sqrt_f32_e32 v7, v6
	v_add_u32_e32 v8, -1, v7
	v_fma_f32 v9, -v8, v7, v6
	v_cmp_ge_f32_e64 s[0:1], 0, v9
	v_add_u32_e32 v9, 1, v7
	v_cndmask_b32_e64 v8, v7, v8, s[0:1]
	v_fma_f32 v7, -v9, v7, v6
	v_cmp_lt_f32_e64 s[0:1], 0, v7
	v_cndmask_b32_e64 v7, v8, v9, s[0:1]
	v_mul_f32_e32 v8, 0x37800000, v7
	v_cndmask_b32_e32 v7, v7, v8, vcc
	v_cmp_class_f32_e32 vcc, v6, v1
	v_cndmask_b32_e32 v6, v7, v6, vcc
	v_div_scale_f32 v7, s[0:1], v6, v6, 1.0
	v_rcp_f32_e32 v8, v7
	v_fma_f32 v9, -v7, v8, 1.0
	v_fmac_f32_e32 v8, v9, v8
	v_div_scale_f32 v9, vcc, 1.0, v6, 1.0
	v_mul_f32_e32 v10, v9, v8
	v_fma_f32 v11, -v7, v10, v9
	v_fmac_f32_e32 v10, v11, v8
	v_fma_f32 v7, -v7, v10, v9
	v_div_fmas_f32 v7, v7, v8, v10
	v_div_fixup_f32 v6, v7, v6, 1.0
	v_mul_f32_e32 v5, v5, v6
.LBB164_17:                             ;   in Loop: Header=BB164_9 Depth=1
	v_mul_f32_e32 v7, v4, v6
	v_fma_f32 v3, v3, v5, -v7
	s_branch .LBB164_19
.LBB164_18:                             ;   in Loop: Header=BB164_9 Depth=1
	v_xor_b32_e32 v3, 0x80000000, v4
	v_mov_b32_e32 v5, 0
	v_mov_b32_e32 v6, 1.0
.LBB164_19:                             ;   in Loop: Header=BB164_9 Depth=1
	global_load_dword v7, v2, s[8:9]
	s_andn2_b64 vcc, exec, s[14:15]
	global_store_dword v2, v3, s[8:9] offset:-4
	global_load_dword v4, v2, s[30:31]
	s_waitcnt vmcnt(2)
	v_mul_f32_e64 v3, v7, -v6
	global_store_dword v2, v3, s[30:31] offset:-4
	global_load_dword v3, v2, s[8:9]
	s_cbranch_vccnz .LBB164_8
; %bb.20:                               ;   in Loop: Header=BB164_9 Depth=1
	s_add_i32 s12, s16, s27
	s_lshl_b64 s[0:1], s[12:13], 2
	s_add_u32 s0, s28, s0
	s_addc_u32 s1, s29, s1
	global_store_dword v2, v5, s[34:35]
	global_store_dword v2, v6, s[0:1]
	s_branch .LBB164_8
.LBB164_21:
	s_ashr_i32 s27, s26, 31
	s_lshl_b64 s[0:1], s[26:27], 2
	s_add_u32 s0, s10, s0
	s_addc_u32 s1, s11, s1
	v_mov_b32_e32 v1, 0
	global_store_dword v1, v3, s[0:1]
.LBB164_22:
	s_or_b64 exec, exec, s[20:21]
	v_cmp_gt_i32_e32 vcc, s17, v0
	s_barrier
	s_and_saveexec_b64 s[8:9], vcc
	s_cbranch_execz .LBB164_28
; %bb.23:
	s_load_dword s10, s[4:5], 0x8c
	s_add_i32 s28, s16, -1
	s_cmp_gt_i32 s16, 1
	s_cselect_b64 s[0:1], -1, 0
	s_mul_i32 s26, s28, s23
	s_waitcnt lgkmcnt(0)
	s_and_b32 s29, s10, 0xffff
	s_add_u32 s10, s2, 16
	s_addc_u32 s11, s19, 0
	s_ashr_i32 s27, s26, 31
	s_ashr_i32 s13, s23, 31
	s_mov_b32 s12, s23
	s_mov_b32 s15, 0
	;; [unrolled: 1-line block ×3, first 2 shown]
	v_cndmask_b32_e64 v2, 0, 1, s[0:1]
	s_lshl_b64 s[22:23], s[26:27], 3
	s_lshl_b64 s[12:13], s[12:13], 3
	;; [unrolled: 1-line block ×3, first 2 shown]
	s_mov_b64 s[20:21], 0
	v_mov_b32_e32 v1, s25
	v_cmp_ne_u32_e64 s[0:1], 1, v2
	v_mov_b32_e32 v10, 0
	v_mov_b32_e32 v11, s23
	;; [unrolled: 1-line block ×3, first 2 shown]
	s_branch .LBB164_25
.LBB164_24:                             ;   in Loop: Header=BB164_25 Depth=1
	v_add_co_u32_e32 v6, vcc, s22, v6
	v_addc_co_u32_e32 v7, vcc, v7, v11, vcc
	v_add_u32_e32 v2, s29, v2
	v_cmp_le_i32_e32 vcc, s17, v2
	s_or_b64 s[20:21], vcc, s[20:21]
	s_waitcnt vmcnt(0) lgkmcnt(0)
	flat_store_dwordx2 v[6:7], v[4:5]
	s_andn2_b64 exec, exec, s[20:21]
	s_cbranch_execz .LBB164_28
.LBB164_25:                             ; =>This Loop Header: Depth=1
                                        ;     Child Loop BB164_27 Depth 2
	v_ashrrev_i32_e32 v3, 31, v2
	v_lshlrev_b64 v[4:5], 3, v[2:3]
	v_add_co_u32_e32 v6, vcc, s24, v4
	v_addc_co_u32_e32 v7, vcc, v1, v5, vcc
	flat_load_dwordx2 v[4:5], v[6:7]
	s_and_b64 vcc, exec, s[0:1]
	s_cbranch_vccnz .LBB164_24
; %bb.26:                               ;   in Loop: Header=BB164_25 Depth=1
	s_mov_b32 s23, s28
	s_mov_b64 s[26:27], s[10:11]
	v_pk_mov_b32 v[8:9], v[6:7], v[6:7] op_sel:[0,1]
.LBB164_27:                             ;   Parent Loop BB164_25 Depth=1
                                        ; =>  This Inner Loop Header: Depth=2
	s_add_u32 s30, s26, s14
	v_mov_b32_e32 v3, s13
	v_add_co_u32_e32 v12, vcc, s12, v8
	s_addc_u32 s31, s27, s15
	v_addc_co_u32_e32 v13, vcc, v9, v3, vcc
	global_load_dword v14, v10, s[30:31]
	flat_load_dwordx2 v[16:17], v[12:13]
	global_load_dword v18, v10, s[26:27]
	s_add_u32 s26, s26, 4
	s_addc_u32 s27, s27, 0
	s_add_i32 s23, s23, -1
	s_cmp_lg_u32 s23, 0
	s_waitcnt vmcnt(0) lgkmcnt(0)
	v_mul_f32_e32 v3, v16, v14
	v_mul_f32_e32 v19, v17, v14
	v_pk_mul_f32 v[14:15], v[4:5], v[14:15] op_sel_hi:[1,0]
	v_fma_f32 v20, v4, v18, -v3
	v_fma_f32 v21, v5, v18, -v19
	v_pk_fma_f32 v[4:5], v[16:17], v[18:19], v[14:15] op_sel_hi:[1,0,1]
	flat_store_dwordx2 v[8:9], v[20:21]
	v_pk_mov_b32 v[8:9], v[12:13], v[12:13] op_sel:[0,1]
	s_cbranch_scc1 .LBB164_27
	s_branch .LBB164_24
.LBB164_28:
	s_or_b64 exec, exec, s[8:9]
	v_cmp_gt_i32_e32 vcc, s18, v0
	s_and_saveexec_b64 s[0:1], vcc
	s_cbranch_execz .LBB164_34
; %bb.29:
	s_load_dword s5, s[4:5], 0x8c
	s_add_i32 s4, s16, -1
	s_cmp_gt_i32 s16, 1
	s_cselect_b64 s[0:1], -1, 0
	s_mov_b32 s17, 0
	s_waitcnt lgkmcnt(0)
	s_and_b32 s20, s5, 0xffff
	s_add_u32 s8, s2, 16
	s_addc_u32 s9, s19, 0
	s_ashr_i32 s5, s4, 31
	v_cndmask_b32_e64 v3, 0, 1, s[0:1]
	s_lshl_b64 s[14:15], s[4:5], 3
	v_mul_lo_u32 v2, v0, s3
	s_mul_i32 s2, s3, s20
	s_lshl_b64 s[10:11], s[16:17], 2
	s_mov_b64 s[12:13], 0
	v_mov_b32_e32 v1, s7
	v_cmp_ne_u32_e64 s[0:1], 1, v3
	v_mov_b32_e32 v10, 0
	v_mov_b32_e32 v11, s15
	s_branch .LBB164_31
.LBB164_30:                             ;   in Loop: Header=BB164_31 Depth=1
	v_add_co_u32_e32 v4, vcc, s14, v4
	v_addc_co_u32_e32 v5, vcc, v5, v11, vcc
	v_add_u32_e32 v0, s20, v0
	v_cmp_le_i32_e32 vcc, s18, v0
	s_or_b64 s[12:13], vcc, s[12:13]
	v_add_u32_e32 v2, s2, v2
	s_waitcnt vmcnt(0) lgkmcnt(0)
	flat_store_dwordx2 v[4:5], v[6:7]
	s_andn2_b64 exec, exec, s[12:13]
	s_cbranch_execz .LBB164_34
.LBB164_31:                             ; =>This Loop Header: Depth=1
                                        ;     Child Loop BB164_33 Depth 2
	v_mul_lo_u32 v4, v0, s3
	v_ashrrev_i32_e32 v5, 31, v4
	v_lshlrev_b64 v[4:5], 3, v[4:5]
	v_add_co_u32_e32 v4, vcc, s6, v4
	v_addc_co_u32_e32 v5, vcc, v1, v5, vcc
	flat_load_dwordx2 v[6:7], v[4:5]
	s_and_b64 vcc, exec, s[0:1]
	s_cbranch_vccnz .LBB164_30
; %bb.32:                               ;   in Loop: Header=BB164_31 Depth=1
	v_ashrrev_i32_e32 v3, 31, v2
	v_lshlrev_b64 v[8:9], 3, v[2:3]
	v_add_co_u32_e32 v8, vcc, s6, v8
	v_addc_co_u32_e32 v9, vcc, v1, v9, vcc
	s_mov_b32 s5, s4
	s_mov_b64 s[16:17], s[8:9]
.LBB164_33:                             ;   Parent Loop BB164_31 Depth=1
                                        ; =>  This Inner Loop Header: Depth=2
	s_add_u32 s22, s16, s10
	s_addc_u32 s23, s17, s11
	flat_load_dwordx2 v[12:13], v[8:9] offset:8
	global_load_dword v14, v10, s[16:17]
	global_load_dword v16, v10, s[22:23]
	v_add_co_u32_e32 v18, vcc, 8, v8
	s_add_u32 s16, s16, 4
	v_addc_co_u32_e32 v19, vcc, 0, v9, vcc
	s_addc_u32 s17, s17, 0
	s_add_i32 s5, s5, -1
	s_cmp_lg_u32 s5, 0
	s_waitcnt vmcnt(0) lgkmcnt(0)
	v_mul_f32_e32 v3, v12, v16
	v_mul_f32_e32 v15, v13, v16
	v_pk_mul_f32 v[16:17], v[6:7], v[16:17] op_sel_hi:[1,0]
	v_fma_f32 v20, v6, v14, -v3
	v_fma_f32 v21, v7, v14, -v15
	v_pk_fma_f32 v[6:7], v[12:13], v[14:15], v[16:17] op_sel_hi:[1,0,1]
	flat_store_dwordx2 v[8:9], v[20:21]
	v_pk_mov_b32 v[8:9], v[18:19], v[18:19] op_sel:[0,1]
	s_cbranch_scc1 .LBB164_33
	s_branch .LBB164_30
.LBB164_34:
	s_endpgm
	.section	.rodata,"a",@progbits
	.p2align	6, 0x0
	.amdhsa_kernel _ZN9rocsolver6v33100L17bdsqr_lower2upperI19rocblas_complex_numIfEfPKPS3_S6_EEviiiPT0_lS8_lT1_iilT2_iilPiS8_lSB_
		.amdhsa_group_segment_fixed_size 0
		.amdhsa_private_segment_fixed_size 0
		.amdhsa_kernarg_size 384
		.amdhsa_user_sgpr_count 6
		.amdhsa_user_sgpr_private_segment_buffer 1
		.amdhsa_user_sgpr_dispatch_ptr 0
		.amdhsa_user_sgpr_queue_ptr 0
		.amdhsa_user_sgpr_kernarg_segment_ptr 1
		.amdhsa_user_sgpr_dispatch_id 0
		.amdhsa_user_sgpr_flat_scratch_init 0
		.amdhsa_user_sgpr_kernarg_preload_length 0
		.amdhsa_user_sgpr_kernarg_preload_offset 0
		.amdhsa_user_sgpr_private_segment_size 0
		.amdhsa_uses_dynamic_stack 0
		.amdhsa_system_sgpr_private_segment_wavefront_offset 0
		.amdhsa_system_sgpr_workgroup_id_x 1
		.amdhsa_system_sgpr_workgroup_id_y 1
		.amdhsa_system_sgpr_workgroup_id_z 0
		.amdhsa_system_sgpr_workgroup_info 0
		.amdhsa_system_vgpr_workitem_id 0
		.amdhsa_next_free_vgpr 22
		.amdhsa_next_free_sgpr 36
		.amdhsa_accum_offset 24
		.amdhsa_reserve_vcc 1
		.amdhsa_reserve_flat_scratch 0
		.amdhsa_float_round_mode_32 0
		.amdhsa_float_round_mode_16_64 0
		.amdhsa_float_denorm_mode_32 3
		.amdhsa_float_denorm_mode_16_64 3
		.amdhsa_dx10_clamp 1
		.amdhsa_ieee_mode 1
		.amdhsa_fp16_overflow 0
		.amdhsa_tg_split 0
		.amdhsa_exception_fp_ieee_invalid_op 0
		.amdhsa_exception_fp_denorm_src 0
		.amdhsa_exception_fp_ieee_div_zero 0
		.amdhsa_exception_fp_ieee_overflow 0
		.amdhsa_exception_fp_ieee_underflow 0
		.amdhsa_exception_fp_ieee_inexact 0
		.amdhsa_exception_int_div_zero 0
	.end_amdhsa_kernel
	.section	.text._ZN9rocsolver6v33100L17bdsqr_lower2upperI19rocblas_complex_numIfEfPKPS3_S6_EEviiiPT0_lS8_lT1_iilT2_iilPiS8_lSB_,"axG",@progbits,_ZN9rocsolver6v33100L17bdsqr_lower2upperI19rocblas_complex_numIfEfPKPS3_S6_EEviiiPT0_lS8_lT1_iilT2_iilPiS8_lSB_,comdat
.Lfunc_end164:
	.size	_ZN9rocsolver6v33100L17bdsqr_lower2upperI19rocblas_complex_numIfEfPKPS3_S6_EEviiiPT0_lS8_lT1_iilT2_iilPiS8_lSB_, .Lfunc_end164-_ZN9rocsolver6v33100L17bdsqr_lower2upperI19rocblas_complex_numIfEfPKPS3_S6_EEviiiPT0_lS8_lT1_iilT2_iilPiS8_lSB_
                                        ; -- End function
	.section	.AMDGPU.csdata,"",@progbits
; Kernel info:
; codeLenInByte = 1952
; NumSgprs: 40
; NumVgprs: 22
; NumAgprs: 0
; TotalNumVgprs: 22
; ScratchSize: 0
; MemoryBound: 0
; FloatMode: 240
; IeeeMode: 1
; LDSByteSize: 0 bytes/workgroup (compile time only)
; SGPRBlocks: 4
; VGPRBlocks: 2
; NumSGPRsForWavesPerEU: 40
; NumVGPRsForWavesPerEU: 22
; AccumOffset: 24
; Occupancy: 8
; WaveLimiterHint : 0
; COMPUTE_PGM_RSRC2:SCRATCH_EN: 0
; COMPUTE_PGM_RSRC2:USER_SGPR: 6
; COMPUTE_PGM_RSRC2:TRAP_HANDLER: 0
; COMPUTE_PGM_RSRC2:TGID_X_EN: 1
; COMPUTE_PGM_RSRC2:TGID_Y_EN: 1
; COMPUTE_PGM_RSRC2:TGID_Z_EN: 0
; COMPUTE_PGM_RSRC2:TIDIG_COMP_CNT: 0
; COMPUTE_PGM_RSRC3_GFX90A:ACCUM_OFFSET: 5
; COMPUTE_PGM_RSRC3_GFX90A:TG_SPLIT: 0
	.section	.text._ZN9rocsolver6v33100L13bdsqr_computeILi256E19rocblas_complex_numIfEfPS3_PKS4_S6_EEviiiiPT1_lS8_lT2_iilT3_iilT4_iiliS7_S7_S7_S7_PiS8_ilSC_,"axG",@progbits,_ZN9rocsolver6v33100L13bdsqr_computeILi256E19rocblas_complex_numIfEfPS3_PKS4_S6_EEviiiiPT1_lS8_lT2_iilT3_iilT4_iiliS7_S7_S7_S7_PiS8_ilSC_,comdat
	.globl	_ZN9rocsolver6v33100L13bdsqr_computeILi256E19rocblas_complex_numIfEfPS3_PKS4_S6_EEviiiiPT1_lS8_lT2_iilT3_iilT4_iiliS7_S7_S7_S7_PiS8_ilSC_ ; -- Begin function _ZN9rocsolver6v33100L13bdsqr_computeILi256E19rocblas_complex_numIfEfPS3_PKS4_S6_EEviiiiPT1_lS8_lT2_iilT3_iilT4_iiliS7_S7_S7_S7_PiS8_ilSC_
	.p2align	8
	.type	_ZN9rocsolver6v33100L13bdsqr_computeILi256E19rocblas_complex_numIfEfPS3_PKS4_S6_EEviiiiPT1_lS8_lT2_iilT3_iilT4_iiliS7_S7_S7_S7_PiS8_ilSC_,@function
_ZN9rocsolver6v33100L13bdsqr_computeILi256E19rocblas_complex_numIfEfPS3_PKS4_S6_EEviiiiPT1_lS8_lT2_iilT3_iilT4_iiliS7_S7_S7_S7_PiS8_ilSC_: ; @_ZN9rocsolver6v33100L13bdsqr_computeILi256E19rocblas_complex_numIfEfPS3_PKS4_S6_EEviiiiPT1_lS8_lT2_iilT3_iilT4_iiliS7_S7_S7_S7_PiS8_ilSC_
; %bb.0:
	s_load_dwordx4 s[0:3], s[4:5], 0xa8
	s_ashr_i32 s9, s8, 31
	s_lshl_b64 s[10:11], s[8:9], 2
	s_waitcnt lgkmcnt(0)
	s_add_u32 s2, s2, s10
	s_addc_u32 s3, s3, s11
	s_load_dword s2, s[2:3], 0x8
	s_waitcnt lgkmcnt(0)
	s_cmp_lg_u32 s2, 0
	s_cbranch_scc1 .LBB165_181
; %bb.1:
	s_load_dwordx8 s[20:27], s[4:5], 0x30
	s_mov_b64 s[34:35], 0
	s_mov_b64 s[44:45], 0
	s_waitcnt lgkmcnt(0)
	s_cmp_eq_u64 s[20:21], 0
	s_cbranch_scc1 .LBB165_3
; %bb.2:
	s_mul_i32 s6, s8, s25
	s_mul_hi_u32 s10, s8, s24
	s_add_i32 s6, s10, s6
	s_mul_i32 s10, s9, s24
	s_add_i32 s11, s6, s10
	s_mul_i32 s10, s8, s24
	s_ashr_i32 s3, s22, 31
	s_lshl_b64 s[10:11], s[10:11], 3
	s_mov_b32 s2, s22
	s_add_u32 s6, s20, s10
	s_addc_u32 s10, s21, s11
	s_lshl_b64 s[2:3], s[2:3], 3
	s_add_u32 s44, s6, s2
	s_addc_u32 s45, s10, s3
.LBB165_3:
	s_load_dwordx2 s[88:89], s[4:5], 0x50
	s_cmp_eq_u64 s[26:27], 0
	s_cbranch_scc1 .LBB165_5
; %bb.4:
	s_lshl_b64 s[2:3], s[8:9], 3
	s_add_u32 s2, s26, s2
	s_addc_u32 s3, s27, s3
	s_load_dwordx2 s[2:3], s[2:3], 0x0
	s_waitcnt lgkmcnt(0)
	s_ashr_i32 s11, s88, 31
	s_mov_b32 s10, s88
	s_lshl_b64 s[10:11], s[10:11], 3
	s_add_u32 s34, s2, s10
	s_addc_u32 s35, s3, s11
.LBB165_5:
	s_load_dwordx4 s[36:39], s[4:5], 0x60
	s_mov_b64 s[46:47], 0
	s_waitcnt lgkmcnt(0)
	s_cmp_eq_u64 s[36:37], 0
	s_cbranch_scc1 .LBB165_7
; %bb.6:
	s_lshl_b64 s[2:3], s[8:9], 3
	s_add_u32 s2, s36, s2
	s_addc_u32 s3, s37, s3
	s_load_dwordx2 s[2:3], s[2:3], 0x0
	s_ashr_i32 s11, s38, 31
	s_mov_b32 s10, s38
	s_lshl_b64 s[10:11], s[10:11], 3
	s_waitcnt lgkmcnt(0)
	s_add_u32 s46, s2, s10
	s_addc_u32 s47, s3, s11
.LBB165_7:
	s_load_dwordx4 s[12:15], s[4:5], 0x90
	s_mul_i32 s1, s8, s1
	s_mul_hi_u32 s2, s8, s0
	s_add_i32 s1, s2, s1
	s_mul_i32 s2, s9, s0
	s_add_i32 s1, s1, s2
	s_mul_i32 s0, s8, s0
	s_lshl_b64 s[56:57], s[0:1], 2
	s_waitcnt lgkmcnt(0)
	s_add_u32 s36, s14, s56
	s_addc_u32 s37, s15, s57
	s_load_dword s0, s[36:37], 0x8
	s_waitcnt lgkmcnt(0)
	v_cvt_i32_f32_e32 v1, s0
	v_cmp_ge_i32_e32 vcc, s7, v1
	s_cbranch_vccnz .LBB165_181
; %bb.8:
	s_load_dwordx4 s[40:43], s[4:5], 0x0
	s_load_dwordx8 s[24:31], s[4:5], 0x10
                                        ; implicit-def: $vgpr38 : SGPR spill to VGPR lane
	v_lshlrev_b32_e32 v14, 2, v0
	v_mul_lo_u32 v20, v0, s23
	v_mul_lo_u32 v22, v0, s39
	s_waitcnt lgkmcnt(0)
	s_mul_i32 s0, s8, s40
	s_lshl_b32 s0, s0, 1
	s_ashr_i32 s1, s0, 31
	s_lshl_b64 s[0:1], s[0:1], 2
	s_mul_i32 s2, s8, s27
	s_mul_hi_u32 s3, s8, s26
	s_add_u32 s6, s12, s0
	s_addc_u32 s20, s13, s1
	s_add_i32 s0, s3, s2
	s_mul_i32 s1, s9, s26
	s_add_i32 s1, s0, s1
	s_mul_i32 s0, s8, s26
	s_lshl_b64 s[0:1], s[0:1], 2
	s_add_u32 s22, s24, s0
	s_addc_u32 s33, s25, s1
	s_mul_i32 s0, s8, s31
	s_mul_hi_u32 s1, s8, s30
	s_add_i32 s0, s1, s0
	s_mul_i32 s1, s9, s30
	s_add_i32 s1, s0, s1
	s_mul_i32 s0, s8, s30
	v_writelane_b32 v38, s0, 0
	s_lshl_b64 s[8:9], s[0:1], 2
	s_add_u32 s38, s28, s8
	s_addc_u32 s40, s29, s9
	s_cmp_lg_u32 s41, 0
	s_cselect_b64 s[26:27], -1, 0
	s_or_b32 s10, s43, s42
	s_cmp_eq_u32 s10, 0
	v_writelane_b32 v38, s1, 1
	s_cselect_b64 s[10:11], -1, 0
	v_writelane_b32 v38, s10, 2
	s_cmp_lg_u64 s[44:45], 0
	v_writelane_b32 v38, s11, 3
	s_cselect_b64 s[10:11], -1, 0
	s_and_b64 s[90:91], s[26:27], s[10:11]
	s_add_u32 s50, s4, 0xb8
	s_addc_u32 s51, s5, 0
	s_cmp_lg_u64 s[34:35], 0
	s_cselect_b64 s[10:11], -1, 0
	s_cmp_lg_u32 s42, 0
	s_cselect_b64 s[12:13], -1, 0
	s_and_b64 s[86:87], s[12:13], s[10:11]
	s_cmp_lg_u64 s[46:47], 0
	s_cselect_b64 s[10:11], -1, 0
	s_cmp_lg_u32 s43, 0
	s_cselect_b64 s[12:13], -1, 0
	s_and_b64 s[10:11], s[12:13], s[10:11]
	v_writelane_b32 v38, s10, 4
	v_writelane_b32 v38, s11, 5
	v_cmp_gt_i32_e64 s[10:11], s43, v0
	v_writelane_b32 v38, s10, 6
	v_writelane_b32 v38, s11, 7
	s_add_u32 s10, s22, -4
	v_writelane_b32 v38, s10, 8
	s_addc_u32 s10, s33, -1
	v_writelane_b32 v38, s10, 9
	s_add_u32 s10, s14, s56
	s_addc_u32 s11, s15, s57
	v_writelane_b32 v38, s10, 10
	s_add_u32 s10, s10, 12
	v_writelane_b32 v38, s10, 11
	s_addc_u32 s10, s11, 0
	v_writelane_b32 v38, s11, 12
	s_add_u32 s11, s28, -4
	v_writelane_b32 v38, s10, 13
	s_addc_u32 s12, s29, -1
	s_load_dwordx2 s[28:29], s[4:5], 0x78
	s_load_dwordx2 s[56:57], s[4:5], 0x84
	s_load_dword s77, s[4:5], 0xa0
	s_load_dword s10, s[4:5], 0xbc
	v_writelane_b32 v38, s11, 14
	s_add_u32 s4, s11, s8
	v_writelane_b32 v38, s4, 15
	v_writelane_b32 v38, s12, 16
	s_addc_u32 s4, s12, s9
	v_mov_b32_e32 v2, s33
	v_add_co_u32_e32 v16, vcc, s22, v14
	v_writelane_b32 v38, s4, 17
	v_addc_co_u32_e32 v17, vcc, 0, v2, vcc
	v_writelane_b32 v38, s86, 18
	s_movk_i32 s0, 0x80
	v_cmp_gt_i32_e64 s[94:95], s42, v0
	v_mov_b32_e32 v2, s40
	v_add_co_u32_e32 v18, vcc, s38, v14
	v_writelane_b32 v38, s87, 19
	v_cmp_gt_u32_e64 s[0:1], s0, v0
	v_cmp_gt_u32_e64 s[2:3], 64, v0
	v_cmp_eq_u32_e64 s[16:17], 0, v0
	v_cmp_gt_i32_e64 s[92:93], s41, v0
	v_mov_b32_e32 v15, 0
	v_addc_co_u32_e32 v19, vcc, 0, v2, vcc
	v_add_u32_e32 v21, -1, v20
	v_add_u32_e32 v23, -1, v22
	s_mov_b32 s11, 0xf800000
	v_mov_b32_e32 v24, 0x260
	v_mov_b32_e32 v25, 1
	v_writelane_b32 v38, s94, 20
	v_writelane_b32 v38, s95, 21
	s_branch .LBB165_11
.LBB165_9:                              ;   in Loop: Header=BB165_11 Depth=1
	s_or_b64 exec, exec, s[12:13]
.LBB165_10:                             ;   in Loop: Header=BB165_11 Depth=1
	s_waitcnt lgkmcnt(0)
	s_add_i32 s7, s10, s7
	v_cmp_lt_i32_e32 vcc, s7, v1
	s_cbranch_vccz .LBB165_181
.LBB165_11:                             ; =>This Loop Header: Depth=1
                                        ;     Child Loop BB165_15 Depth 2
                                        ;     Child Loop BB165_40 Depth 2
	;; [unrolled: 1-line block ×5, first 2 shown]
                                        ;       Child Loop BB165_164 Depth 3
                                        ;     Child Loop BB165_170 Depth 2
                                        ;       Child Loop BB165_172 Depth 3
                                        ;     Child Loop BB165_178 Depth 2
                                        ;       Child Loop BB165_180 Depth 3
	s_lshl_b32 s4, s7, 2
	s_ashr_i32 s5, s4, 31
	s_lshl_b64 s[4:5], s[4:5], 2
	s_add_u32 s12, s6, s4
	s_addc_u32 s13, s20, s5
	global_load_dwordx2 v[2:3], v15, s[12:13] offset:4
	s_waitcnt vmcnt(0)
	v_readfirstlane_b32 s62, v2
	v_readfirstlane_b32 s60, v3
	s_cmp_le_i32 s60, s62
	s_cbranch_scc1 .LBB165_10
; %bb.12:                               ;   in Loop: Header=BB165_11 Depth=1
	global_load_dword v2, v15, s[12:13] offset:12
	s_waitcnt vmcnt(0) lgkmcnt(0)
	v_cmp_le_i32_e32 vcc, s28, v2
	s_cbranch_vccnz .LBB165_10
; %bb.13:                               ;   in Loop: Header=BB165_11 Depth=1
	s_sub_i32 s58, s60, s62
	s_ashr_i32 s63, s62, 31
	v_cmp_ge_i32_e32 vcc, s58, v0
	v_mov_b32_e32 v4, 0
	s_and_saveexec_b64 s[4:5], vcc
	s_cbranch_execz .LBB165_17
; %bb.14:                               ;   in Loop: Header=BB165_11 Depth=1
	s_lshl_b64 s[8:9], s[62:63], 2
	v_mov_b32_e32 v3, s9
	v_add_co_u32_e32 v2, vcc, s8, v16
	v_addc_co_u32_e32 v3, vcc, v17, v3, vcc
	s_mov_b64 s[14:15], 0
	v_mov_b32_e32 v4, 0
	v_mov_b32_e32 v5, v0
.LBB165_15:                             ;   Parent Loop BB165_11 Depth=1
                                        ; =>  This Inner Loop Header: Depth=2
	global_load_dword v6, v[2:3], off
	v_add_co_u32_e32 v2, vcc, 0x400, v2
	v_add_u32_e32 v5, 0x100, v5
	v_addc_co_u32_e32 v3, vcc, 0, v3, vcc
	v_cmp_lt_i32_e32 vcc, s58, v5
	s_or_b64 s[14:15], vcc, s[14:15]
	s_waitcnt vmcnt(0)
	v_cmp_lt_f32_e64 s[8:9], v4, |v6|
	v_cndmask_b32_e64 v4, v4, |v6|, s[8:9]
	s_andn2_b64 exec, exec, s[14:15]
	s_cbranch_execnz .LBB165_15
; %bb.16:                               ;   in Loop: Header=BB165_11 Depth=1
	s_or_b64 exec, exec, s[14:15]
.LBB165_17:                             ;   in Loop: Header=BB165_11 Depth=1
	s_or_b64 exec, exec, s[4:5]
	s_cmp_lt_i32 s58, 1
	ds_write_b32 v14, v4
	s_waitcnt lgkmcnt(0)
	s_barrier
	s_cbranch_scc1 .LBB165_38
; %bb.18:                               ;   in Loop: Header=BB165_11 Depth=1
	s_and_saveexec_b64 s[4:5], s[0:1]
	s_cbranch_execz .LBB165_22
; %bb.19:                               ;   in Loop: Header=BB165_11 Depth=1
	ds_read_b32 v2, v14 offset:512
	s_waitcnt lgkmcnt(0)
	v_cmp_lt_f32_e32 vcc, v4, v2
	s_and_saveexec_b64 s[14:15], vcc
	s_cbranch_execz .LBB165_21
; %bb.20:                               ;   in Loop: Header=BB165_11 Depth=1
	v_mov_b32_e32 v4, v2
	ds_write_b32 v14, v2
.LBB165_21:                             ;   in Loop: Header=BB165_11 Depth=1
	s_or_b64 exec, exec, s[14:15]
.LBB165_22:                             ;   in Loop: Header=BB165_11 Depth=1
	s_or_b64 exec, exec, s[4:5]
	s_waitcnt lgkmcnt(0)
	s_barrier
	s_and_saveexec_b64 s[4:5], s[2:3]
	s_cbranch_execz .LBB165_37
; %bb.23:                               ;   in Loop: Header=BB165_11 Depth=1
	ds_read_b32 v2, v14 offset:256
	s_waitcnt lgkmcnt(0)
	v_cmp_lt_f32_e32 vcc, v4, v2
	s_and_saveexec_b64 s[14:15], vcc
	s_cbranch_execz .LBB165_25
; %bb.24:                               ;   in Loop: Header=BB165_11 Depth=1
	v_mov_b32_e32 v4, v2
	ds_write_b32 v14, v2
.LBB165_25:                             ;   in Loop: Header=BB165_11 Depth=1
	s_or_b64 exec, exec, s[14:15]
	ds_read_b32 v2, v14 offset:128
	s_waitcnt lgkmcnt(0)
	v_cmp_lt_f32_e32 vcc, v4, v2
	s_and_saveexec_b64 s[14:15], vcc
	s_cbranch_execz .LBB165_27
; %bb.26:                               ;   in Loop: Header=BB165_11 Depth=1
	v_mov_b32_e32 v4, v2
	ds_write_b32 v14, v2
.LBB165_27:                             ;   in Loop: Header=BB165_11 Depth=1
	s_or_b64 exec, exec, s[14:15]
	;; [unrolled: 10-line block ×6, first 2 shown]
	ds_read_b32 v2, v14 offset:4
	s_waitcnt lgkmcnt(0)
	v_cmp_lt_f32_e32 vcc, v4, v2
	s_and_b64 exec, exec, vcc
	s_cbranch_execz .LBB165_37
; %bb.36:                               ;   in Loop: Header=BB165_11 Depth=1
	ds_write_b32 v14, v2
.LBB165_37:                             ;   in Loop: Header=BB165_11 Depth=1
	s_or_b64 exec, exec, s[4:5]
.LBB165_38:                             ;   in Loop: Header=BB165_11 Depth=1
	v_cmp_gt_i32_e32 vcc, s58, v0
	v_mov_b32_e32 v4, 0
	s_waitcnt lgkmcnt(0)
	s_barrier
	s_and_saveexec_b64 s[4:5], vcc
	s_cbranch_execz .LBB165_42
; %bb.39:                               ;   in Loop: Header=BB165_11 Depth=1
	s_lshl_b64 s[8:9], s[62:63], 2
	v_mov_b32_e32 v3, s9
	v_add_co_u32_e32 v2, vcc, s8, v18
	v_addc_co_u32_e32 v3, vcc, v19, v3, vcc
	s_mov_b64 s[14:15], 0
	v_mov_b32_e32 v4, 0
	v_mov_b32_e32 v5, v0
.LBB165_40:                             ;   Parent Loop BB165_11 Depth=1
                                        ; =>  This Inner Loop Header: Depth=2
	global_load_dword v6, v[2:3], off
	v_add_co_u32_e32 v2, vcc, 0x400, v2
	v_add_u32_e32 v5, 0x100, v5
	v_addc_co_u32_e32 v3, vcc, 0, v3, vcc
	v_cmp_le_i32_e32 vcc, s58, v5
	s_or_b64 s[14:15], vcc, s[14:15]
	s_waitcnt vmcnt(0)
	v_cmp_lt_f32_e64 s[8:9], v4, |v6|
	v_cndmask_b32_e64 v4, v4, |v6|, s[8:9]
	s_andn2_b64 exec, exec, s[14:15]
	s_cbranch_execnz .LBB165_40
; %bb.41:                               ;   in Loop: Header=BB165_11 Depth=1
	s_or_b64 exec, exec, s[14:15]
.LBB165_42:                             ;   in Loop: Header=BB165_11 Depth=1
	s_or_b64 exec, exec, s[4:5]
	s_cmp_lt_i32 s58, 2
	ds_write_b32 v14, v4 offset:4
	s_waitcnt lgkmcnt(0)
	s_barrier
	s_cbranch_scc1 .LBB165_63
; %bb.43:                               ;   in Loop: Header=BB165_11 Depth=1
	s_and_saveexec_b64 s[4:5], s[0:1]
	s_cbranch_execz .LBB165_47
; %bb.44:                               ;   in Loop: Header=BB165_11 Depth=1
	ds_read_b32 v2, v14 offset:516
	s_waitcnt lgkmcnt(0)
	v_cmp_lt_f32_e32 vcc, v4, v2
	s_and_saveexec_b64 s[14:15], vcc
	s_cbranch_execz .LBB165_46
; %bb.45:                               ;   in Loop: Header=BB165_11 Depth=1
	v_mov_b32_e32 v4, v2
	ds_write_b32 v14, v2 offset:4
.LBB165_46:                             ;   in Loop: Header=BB165_11 Depth=1
	s_or_b64 exec, exec, s[14:15]
.LBB165_47:                             ;   in Loop: Header=BB165_11 Depth=1
	s_or_b64 exec, exec, s[4:5]
	s_waitcnt lgkmcnt(0)
	s_barrier
	s_and_saveexec_b64 s[4:5], s[2:3]
	s_cbranch_execz .LBB165_62
; %bb.48:                               ;   in Loop: Header=BB165_11 Depth=1
	ds_read_b32 v2, v14 offset:260
	s_waitcnt lgkmcnt(0)
	v_cmp_lt_f32_e32 vcc, v4, v2
	s_and_saveexec_b64 s[14:15], vcc
	s_cbranch_execz .LBB165_50
; %bb.49:                               ;   in Loop: Header=BB165_11 Depth=1
	v_mov_b32_e32 v4, v2
	ds_write_b32 v14, v2 offset:4
.LBB165_50:                             ;   in Loop: Header=BB165_11 Depth=1
	s_or_b64 exec, exec, s[14:15]
	ds_read_b32 v2, v14 offset:132
	s_waitcnt lgkmcnt(0)
	v_cmp_lt_f32_e32 vcc, v4, v2
	s_and_saveexec_b64 s[14:15], vcc
	s_cbranch_execz .LBB165_52
; %bb.51:                               ;   in Loop: Header=BB165_11 Depth=1
	v_mov_b32_e32 v4, v2
	ds_write_b32 v14, v2 offset:4
.LBB165_52:                             ;   in Loop: Header=BB165_11 Depth=1
	s_or_b64 exec, exec, s[14:15]
	;; [unrolled: 10-line block ×6, first 2 shown]
	ds_read_b32 v2, v14 offset:8
	s_waitcnt lgkmcnt(0)
	v_cmp_lt_f32_e32 vcc, v4, v2
	s_and_b64 exec, exec, vcc
	s_cbranch_execz .LBB165_62
; %bb.61:                               ;   in Loop: Header=BB165_11 Depth=1
	ds_write_b32 v14, v2 offset:4
.LBB165_62:                             ;   in Loop: Header=BB165_11 Depth=1
	s_or_b64 exec, exec, s[4:5]
.LBB165_63:                             ;   in Loop: Header=BB165_11 Depth=1
	s_lshl_b64 s[64:65], s[62:63], 2
	s_add_u32 s8, s38, s64
	s_addc_u32 s9, s40, s65
	s_add_u32 s14, s22, s64
	s_addc_u32 s15, s33, s65
	s_waitcnt lgkmcnt(0)
	s_barrier
	s_and_saveexec_b64 s[66:67], s[16:17]
	s_cbranch_execz .LBB165_78
; %bb.64:                               ;   in Loop: Header=BB165_11 Depth=1
	s_ashr_i32 s61, s60, 31
	s_lshl_b64 s[4:5], s[60:61], 2
	s_add_u32 s4, s22, s4
	s_addc_u32 s5, s33, s5
	global_load_dword v3, v15, s[14:15]
	global_load_dword v4, v15, s[4:5]
	s_ashr_i32 s59, s58, 31
	s_lshl_b64 s[4:5], s[58:59], 2
	s_add_u32 s21, s14, s4
	s_addc_u32 s30, s15, s5
	s_waitcnt vmcnt(0)
	v_cmp_ge_f32_e64 s[4:5], |v3|, |v4|
	s_and_b64 s[24:25], s[4:5], exec
	s_cselect_b32 s25, s15, s30
	s_cselect_b32 s24, s14, s21
	global_load_dword v5, v15, s[24:25]
	v_cndmask_b32_e64 v2, 0, 1, s[4:5]
	ds_write_b32 v15, v2 offset:1028
	s_cmp_lt_i32 s58, 1
	s_waitcnt vmcnt(0)
	v_and_b32_e32 v2, 0x7fffffff, v5
	s_cbranch_scc1 .LBB165_71
; %bb.65:                               ;   in Loop: Header=BB165_11 Depth=1
	s_not_b32 s21, s62
	s_add_i32 s21, s21, s60
	s_mov_b32 s24, 0
	v_mov_b32_e32 v5, v2
	s_branch .LBB165_67
.LBB165_66:                             ;   in Loop: Header=BB165_67 Depth=2
	s_add_i32 s24, s24, 1
	s_and_b64 s[48:49], s[4:5], exec
	s_cselect_b32 s48, s24, s21
	s_ashr_i32 s49, s48, 31
	s_lshl_b64 s[48:49], s[48:49], 2
	s_add_u32 s48, s14, s48
	s_addc_u32 s49, s15, s49
	global_load_dword v7, v15, s[48:49]
	v_add_f32_e64 v6, v5, |v6|
	v_div_scale_f32 v8, s[48:49], v6, v6, v5
	v_rcp_f32_e32 v9, v8
	v_div_scale_f32 v10, vcc, v5, v6, v5
	s_add_i32 s21, s21, -1
	v_fma_f32 v11, -v8, v9, 1.0
	v_fmac_f32_e32 v9, v11, v9
	v_mul_f32_e32 v11, v10, v9
	v_fma_f32 v12, -v8, v11, v10
	v_fmac_f32_e32 v11, v12, v9
	v_fma_f32 v8, -v8, v11, v10
	v_div_fmas_f32 v8, v8, v9, v11
	v_div_fixup_f32 v5, v8, v6, v5
	s_cmp_eq_u32 s21, -1
	s_mov_b64 s[68:69], 0
	s_cselect_b64 s[70:71], -1, 0
	s_waitcnt vmcnt(0)
	v_mul_f32_e64 v5, v5, |v7|
	v_cmp_lt_f32_e32 vcc, v5, v2
	v_cndmask_b32_e32 v2, v2, v5, vcc
	s_andn2_b64 vcc, exec, s[70:71]
	s_cbranch_vccz .LBB165_69
.LBB165_67:                             ;   Parent Loop BB165_11 Depth=1
                                        ; =>  This Inner Loop Header: Depth=2
	s_and_b64 s[30:31], s[4:5], exec
	s_cselect_b32 s30, s24, s21
	s_ashr_i32 s31, s30, 31
	s_lshl_b64 s[30:31], s[30:31], 2
	s_add_u32 s30, s8, s30
	s_addc_u32 s31, s9, s31
	global_load_dword v6, v15, s[30:31]
	v_mul_f32_e32 v7, s56, v5
	s_waitcnt vmcnt(0)
	v_cmp_nle_f32_e64 s[48:49], |v6|, v7
	s_and_b64 vcc, exec, s[48:49]
	s_cbranch_vccnz .LBB165_66
; %bb.68:                               ;   in Loop: Header=BB165_11 Depth=1
	s_mov_b64 s[68:69], -1
                                        ; implicit-def: $vgpr5
                                        ; implicit-def: $sgpr21
                                        ; implicit-def: $sgpr24
                                        ; implicit-def: $vgpr2
.LBB165_69:                             ;   in Loop: Header=BB165_11 Depth=1
	s_and_b64 vcc, exec, s[68:69]
	s_cbranch_vccz .LBB165_71
; %bb.70:                               ;   in Loop: Header=BB165_11 Depth=1
	v_mov_b32_e32 v2, -1.0
	global_store_dword v15, v15, s[30:31]
.LBB165_71:                             ;   in Loop: Header=BB165_11 Depth=1
	v_cmp_nle_f32_e32 vcc, 0, v2
	v_and_b32_e32 v3, 0x7fffffff, v3
	v_and_b32_e32 v4, 0x7fffffff, v4
	ds_write_b32 v15, v2 offset:1032
	ds_write_b8 v15, v15 offset:1036
	s_cbranch_vccnz .LBB165_78
; %bb.72:                               ;   in Loop: Header=BB165_11 Depth=1
	ds_read_b64 v[6:7], v15
	s_mov_b64 s[30:31], -1
	s_waitcnt lgkmcnt(0)
	v_cmp_lt_f32_e32 vcc, v6, v7
	v_cndmask_b32_e32 v5, v6, v7, vcc
	v_div_scale_f32 v6, s[24:25], v5, v5, v2
	v_rcp_f32_e32 v7, v6
	v_div_scale_f32 v8, vcc, v2, v5, v2
	v_fma_f32 v9, -v6, v7, 1.0
	v_fmac_f32_e32 v7, v9, v7
	v_mul_f32_e32 v9, v8, v7
	v_fma_f32 v10, -v6, v9, v8
	v_fmac_f32_e32 v9, v10, v7
	v_fma_f32 v6, -v6, v9, v8
	v_div_fmas_f32 v6, v6, v7, v9
	v_div_fixup_f32 v5, v6, v5, v2
	v_cmp_ge_f32_e32 vcc, s57, v5
	s_cbranch_vccnz .LBB165_75
; %bb.73:                               ;   in Loop: Header=BB165_11 Depth=1
	v_cndmask_b32_e64 v3, v4, v3, s[4:5]
	v_cmp_lt_f32_e32 vcc, 0, v3
	s_mov_b64 s[30:31], 0
	s_cbranch_vccz .LBB165_75
; %bb.74:                               ;   in Loop: Header=BB165_11 Depth=1
	v_mul_f32_e32 v2, v2, v2
	v_div_scale_f32 v4, s[4:5], v3, v3, v2
	v_rcp_f32_e32 v5, v4
	v_div_scale_f32 v6, vcc, v2, v3, v2
	v_fma_f32 v7, -v4, v5, 1.0
	v_fmac_f32_e32 v5, v7, v5
	v_mul_f32_e32 v7, v6, v5
	v_fma_f32 v8, -v4, v7, v6
	v_fmac_f32_e32 v7, v8, v5
	v_fma_f32 v4, -v4, v7, v6
	v_div_fmas_f32 v4, v4, v5, v7
	v_div_fixup_f32 v2, v4, v3, v2
	v_div_scale_f32 v4, s[4:5], v3, v3, v2
	v_rcp_f32_e32 v5, v4
	v_fma_f32 v6, -v4, v5, 1.0
	v_fmac_f32_e32 v5, v6, v5
	v_div_scale_f32 v6, vcc, v2, v3, v2
	v_mul_f32_e32 v7, v6, v5
	v_fma_f32 v8, -v4, v7, v6
	v_fmac_f32_e32 v7, v8, v5
	v_fma_f32 v4, -v4, v7, v6
	v_div_fmas_f32 v4, v4, v5, v7
	v_div_fixup_f32 v2, v4, v3, v2
	v_cmp_gt_f32_e64 s[30:31], s29, v2
.LBB165_75:                             ;   in Loop: Header=BB165_11 Depth=1
	s_and_b64 vcc, exec, s[30:31]
	s_cbranch_vccz .LBB165_77
; %bb.76:                               ;   in Loop: Header=BB165_11 Depth=1
	ds_write_b32 v15, v15 offset:1032
.LBB165_77:                             ;   in Loop: Header=BB165_11 Depth=1
	ds_write_b8 v15, v25 offset:1036
.LBB165_78:                             ;   in Loop: Header=BB165_11 Depth=1
	s_or_b64 exec, exec, s[66:67]
	s_waitcnt lgkmcnt(0)
	s_barrier
	ds_read_u8 v2, v15 offset:1036
	s_mov_b64 s[4:5], -1
	s_waitcnt lgkmcnt(0)
	v_cmp_eq_u32_e32 vcc, 0, v2
	s_cbranch_vccz .LBB165_82
; %bb.79:                               ;   in Loop: Header=BB165_11 Depth=1
	s_and_saveexec_b64 s[4:5], s[16:17]
	s_cbranch_execz .LBB165_81
; %bb.80:                               ;   in Loop: Header=BB165_11 Depth=1
	global_store_dword v15, v15, s[12:13]
.LBB165_81:                             ;   in Loop: Header=BB165_11 Depth=1
	s_or_b64 exec, exec, s[4:5]
	s_mov_b64 s[4:5], 0
.LBB165_82:                             ;   in Loop: Header=BB165_11 Depth=1
	s_andn2_b64 vcc, exec, s[4:5]
	s_cbranch_vccnz .LBB165_10
; %bb.83:                               ;   in Loop: Header=BB165_11 Depth=1
	ds_read_b32 v2, v15 offset:1028
	s_waitcnt lgkmcnt(0)
	v_readfirstlane_b32 s66, v2
	s_and_saveexec_b64 s[4:5], s[16:17]
	s_cbranch_execz .LBB165_85
; %bb.84:                               ;   in Loop: Header=BB165_11 Depth=1
	s_cmp_eq_u32 s66, 0
	s_cselect_b32 s21, -1, 1
	v_mov_b32_e32 v2, s21
	global_store_dword v15, v2, s[12:13]
.LBB165_85:                             ;   in Loop: Header=BB165_11 Depth=1
	s_or_b64 exec, exec, s[4:5]
	s_add_i32 s78, s58, 1
	s_mul_i32 s68, s62, s77
	s_sub_i32 s76, 1, s66
	s_ashr_i32 s69, s68, 31
	s_sub_i32 s70, s66, s76
	s_lshl_b32 s12, s78, 1
	s_and_b64 s[4:5], s[26:27], exec
	s_cselect_b32 s59, s12, 0
	s_and_saveexec_b64 s[72:73], s[16:17]
	s_cbranch_execz .LBB165_158
; %bb.86:                               ;   in Loop: Header=BB165_11 Depth=1
	s_cmp_lg_u32 s66, 0
	s_cselect_b64 s[74:75], -1, 0
	s_and_b64 s[4:5], s[74:75], exec
	s_cselect_b32 s84, 0, s58
	s_ashr_i32 s85, s84, 31
	s_lshl_b64 s[4:5], s[84:85], 2
	s_add_u32 s14, s14, s4
	s_addc_u32 s15, s15, s5
	global_load_dword v2, v15, s[14:15]
	v_mov_b32_e32 v3, 0
	s_waitcnt vmcnt(0)
	v_cmp_eq_f32_e32 vcc, 0, v2
	s_cbranch_vccnz .LBB165_88
; %bb.87:                               ;   in Loop: Header=BB165_11 Depth=1
	ds_read_b32 v3, v15 offset:1032
	v_cmp_lt_f32_e32 vcc, 0, v2
	v_cndmask_b32_e64 v4, 0, 1, vcc
	v_cmp_gt_f32_e32 vcc, 0, v2
	v_subbrev_co_u32_e32 v4, vcc, 0, v4, vcc
	s_waitcnt lgkmcnt(0)
	v_div_scale_f32 v5, s[4:5], v2, v2, v3
	v_rcp_f32_e32 v6, v5
	v_cvt_f32_i32_e32 v4, v4
	v_sub_f32_e64 v7, |v2|, v3
	v_fma_f32 v8, -v5, v6, 1.0
	v_fmac_f32_e32 v6, v8, v6
	v_div_scale_f32 v8, vcc, v3, v2, v3
	v_mul_f32_e32 v9, v8, v6
	v_fma_f32 v10, -v5, v9, v8
	v_fmac_f32_e32 v9, v10, v6
	v_fma_f32 v5, -v5, v9, v8
	v_div_fmas_f32 v5, v5, v6, v9
	v_div_fixup_f32 v3, v5, v2, v3
	v_add_f32_e32 v3, v3, v4
	v_mul_f32_e32 v3, v7, v3
.LBB165_88:                             ;   in Loop: Header=BB165_11 Depth=1
	s_cmp_gt_i32 s58, 0
	s_cbranch_scc1 .LBB165_90
; %bb.89:                               ;   in Loop: Header=BB165_11 Depth=1
	s_add_i32 s61, s58, -1
	s_cbranch_execz .LBB165_91
	s_branch .LBB165_157
.LBB165_90:                             ;   in Loop: Header=BB165_11 Depth=1
                                        ; implicit-def: $sgpr61
.LBB165_91:                             ;   in Loop: Header=BB165_11 Depth=1
	s_ashr_i32 s67, s66, 31
	s_sub_u32 s12, 0, s66
	s_subb_u32 s13, 0, s67
	s_add_u32 s80, s84, s66
	s_addc_u32 s81, s85, s67
	s_lshl_b64 s[82:83], s[80:81], 2
	s_add_u32 s86, s8, s82
	s_addc_u32 s87, s9, s83
	global_load_dword v4, v15, s[86:87] offset:-4
	v_writelane_b32 v38, s90, 22
	v_writelane_b32 v38, s91, 23
	v_mov_b32_e32 v5, 0
	v_writelane_b32 v38, s88, 24
	v_writelane_b32 v38, s89, 25
	s_waitcnt vmcnt(0)
	v_cmp_eq_f32_e32 vcc, 0, v4
	s_cbranch_vccnz .LBB165_95
; %bb.92:                               ;   in Loop: Header=BB165_11 Depth=1
	v_cmp_eq_f32_e32 vcc, 0, v3
	v_mov_b32_e32 v6, 0
	s_cbranch_vccnz .LBB165_96
; %bb.93:                               ;   in Loop: Header=BB165_11 Depth=1
	v_cmp_gt_f32_e64 s[4:5], |v4|, |v3|
	s_and_b64 vcc, exec, s[4:5]
	s_cbranch_vccnz .LBB165_97
; %bb.94:                               ;   in Loop: Header=BB165_11 Depth=1
	v_div_scale_f32 v5, s[4:5], v3, v3, -v4
	v_rcp_f32_e32 v6, v5
	v_div_scale_f32 v7, vcc, -v4, v3, -v4
	v_fma_f32 v8, -v5, v6, 1.0
	v_fmac_f32_e32 v6, v8, v6
	v_mul_f32_e32 v8, v7, v6
	v_fma_f32 v9, -v5, v8, v7
	v_fmac_f32_e32 v8, v9, v6
	v_fma_f32 v5, -v5, v8, v7
	v_div_fmas_f32 v5, v5, v6, v8
	v_div_fixup_f32 v5, v5, v3, -v4
	v_fma_f32 v6, v5, v5, 1.0
	v_mul_f32_e32 v7, 0x4f800000, v6
	v_cmp_gt_f32_e32 vcc, s11, v6
	v_cndmask_b32_e32 v6, v6, v7, vcc
	v_sqrt_f32_e32 v7, v6
	v_add_u32_e32 v8, -1, v7
	v_fma_f32 v9, -v8, v7, v6
	v_cmp_ge_f32_e64 s[4:5], 0, v9
	v_add_u32_e32 v9, 1, v7
	v_cndmask_b32_e64 v8, v7, v8, s[4:5]
	v_fma_f32 v7, -v9, v7, v6
	v_cmp_lt_f32_e64 s[4:5], 0, v7
	v_cndmask_b32_e64 v7, v8, v9, s[4:5]
	v_mul_f32_e32 v8, 0x37800000, v7
	v_cndmask_b32_e32 v7, v7, v8, vcc
	v_cmp_class_f32_e32 vcc, v6, v24
	v_cndmask_b32_e32 v6, v7, v6, vcc
	v_div_scale_f32 v7, s[4:5], v6, v6, 1.0
	v_rcp_f32_e32 v8, v7
	s_mov_b64 s[4:5], 0
	v_fma_f32 v9, -v7, v8, 1.0
	v_fmac_f32_e32 v8, v9, v8
	v_div_scale_f32 v9, vcc, 1.0, v6, 1.0
	v_mul_f32_e32 v10, v9, v8
	v_fma_f32 v11, -v7, v10, v9
	v_fmac_f32_e32 v10, v11, v8
	v_fma_f32 v7, -v7, v10, v9
	v_div_fmas_f32 v7, v7, v8, v10
	v_div_fixup_f32 v6, v7, v6, 1.0
	v_mul_f32_e32 v5, v5, v6
	s_branch .LBB165_98
.LBB165_95:                             ;   in Loop: Header=BB165_11 Depth=1
	v_mov_b32_e32 v6, 1.0
	s_branch .LBB165_100
.LBB165_96:                             ;   in Loop: Header=BB165_11 Depth=1
	v_mov_b32_e32 v5, 1.0
	s_branch .LBB165_100
.LBB165_97:                             ;   in Loop: Header=BB165_11 Depth=1
	s_mov_b64 s[4:5], -1
                                        ; implicit-def: $vgpr6
                                        ; implicit-def: $vgpr5
.LBB165_98:                             ;   in Loop: Header=BB165_11 Depth=1
	s_andn2_b64 vcc, exec, s[4:5]
	s_cbranch_vccnz .LBB165_100
; %bb.99:                               ;   in Loop: Header=BB165_11 Depth=1
	v_div_scale_f32 v5, s[4:5], v4, v4, -v3
	v_rcp_f32_e32 v6, v5
	v_div_scale_f32 v7, vcc, -v3, v4, -v3
	v_fma_f32 v8, -v5, v6, 1.0
	v_fmac_f32_e32 v6, v8, v6
	v_mul_f32_e32 v8, v7, v6
	v_fma_f32 v9, -v5, v8, v7
	v_fmac_f32_e32 v8, v9, v6
	v_fma_f32 v5, -v5, v8, v7
	v_div_fmas_f32 v5, v5, v6, v8
	v_div_fixup_f32 v3, v5, v4, -v3
	v_fma_f32 v5, v3, v3, 1.0
	v_mul_f32_e32 v6, 0x4f800000, v5
	v_cmp_gt_f32_e32 vcc, s11, v5
	v_cndmask_b32_e32 v5, v5, v6, vcc
	v_sqrt_f32_e32 v6, v5
	v_add_u32_e32 v7, -1, v6
	v_fma_f32 v8, -v7, v6, v5
	v_cmp_ge_f32_e64 s[4:5], 0, v8
	v_add_u32_e32 v8, 1, v6
	v_cndmask_b32_e64 v7, v6, v7, s[4:5]
	v_fma_f32 v6, -v8, v6, v5
	v_cmp_lt_f32_e64 s[4:5], 0, v6
	v_cndmask_b32_e64 v6, v7, v8, s[4:5]
	v_mul_f32_e32 v7, 0x37800000, v6
	v_cndmask_b32_e32 v6, v6, v7, vcc
	v_cmp_class_f32_e32 vcc, v5, v24
	v_cndmask_b32_e32 v5, v6, v5, vcc
	v_div_scale_f32 v6, s[4:5], v5, v5, 1.0
	v_rcp_f32_e32 v7, v6
	v_fma_f32 v8, -v6, v7, 1.0
	v_fmac_f32_e32 v7, v8, v7
	v_div_scale_f32 v8, vcc, 1.0, v5, 1.0
	v_mul_f32_e32 v9, v8, v7
	v_fma_f32 v10, -v6, v9, v8
	v_fmac_f32_e32 v9, v10, v7
	v_fma_f32 v6, -v6, v9, v8
	v_div_fmas_f32 v6, v6, v7, v9
	v_div_fixup_f32 v5, v6, v5, 1.0
	v_mul_f32_e32 v6, v3, v5
.LBB165_100:                            ;   in Loop: Header=BB165_11 Depth=1
	s_lshl_b64 s[88:89], s[68:69], 2
	s_and_b64 s[4:5], s[26:27], s[74:75]
	s_add_u32 s21, s36, s88
	s_addc_u32 s24, s37, s89
	s_add_u32 s21, s21, 16
	s_addc_u32 s24, s24, 0
	s_sub_u32 s90, s66, s12
	s_subb_u32 s91, s67, s13
	v_mul_f32_e32 v3, v4, v6
	s_lshl_b64 s[12:13], s[90:91], 2
	v_fmac_f32_e32 v3, v2, v5
	s_add_u32 s94, s14, s12
	global_store_dword v15, v3, s[86:87] offset:-4
	s_addc_u32 s95, s15, s13
	global_load_dword v7, v15, s[94:95] offset:-4
	v_cndmask_b32_e64 v3, 0, 1, s[4:5]
	s_mov_b64 s[18:19], s[92:93]
	v_cmp_ne_u32_e64 s[12:13], 1, v3
	s_andn2_b64 vcc, exec, s[4:5]
	s_waitcnt vmcnt(0)
	v_mul_f32_e32 v3, v6, v7
	global_store_dword v15, v3, s[94:95] offset:-4
	s_cbranch_vccnz .LBB165_102
; %bb.101:                              ;   in Loop: Header=BB165_11 Depth=1
	s_add_u32 s4, s21, s82
	s_addc_u32 s5, s24, s83
	s_ashr_i32 s79, s78, 31
	s_lshl_b64 s[30:31], s[78:79], 2
	s_add_u32 s30, s4, s30
	s_addc_u32 s31, s5, s31
	global_store_dword v15, v6, s[4:5] offset:-4
	global_store_dword v15, v5, s[30:31] offset:-4
.LBB165_102:                            ;   in Loop: Header=BB165_11 Depth=1
	s_cmp_lg_u32 s66, 1
	s_cselect_b64 s[30:31], -1, 0
	s_cmp_eq_u32 s66, 1
	v_readlane_b32 s48, v38, 2
	s_cselect_b64 s[4:5], -1, 0
	v_readlane_b32 s49, v38, 3
	s_or_b64 s[92:93], s[48:49], s[4:5]
	s_and_b64 vcc, exec, s[92:93]
	s_cbranch_vccnz .LBB165_104
; %bb.103:                              ;   in Loop: Header=BB165_11 Depth=1
	s_ashr_i32 s5, s59, 31
	s_add_u32 s4, s80, s59
	s_addc_u32 s5, s81, s5
	s_lshl_b64 s[4:5], s[4:5], 2
	s_add_u32 s4, s21, s4
	s_addc_u32 s5, s24, s5
	s_ashr_i32 s79, s78, 31
	s_lshl_b64 s[48:49], s[78:79], 2
	s_add_u32 s48, s4, s48
	s_addc_u32 s49, s5, s49
	global_store_dword v15, v6, s[4:5] offset:-4
	global_store_dword v15, v5, s[48:49] offset:-4
.LBB165_104:                            ;   in Loop: Header=BB165_11 Depth=1
	v_mul_f32_e32 v3, v4, v5
	v_fma_f32 v3, v2, v6, -v3
	v_mul_f32_e64 v2, v7, -v5
	v_cmp_eq_f32_e32 vcc, 0, v2
	v_mov_b32_e32 v5, 0
	s_cbranch_vccnz .LBB165_108
; %bb.105:                              ;   in Loop: Header=BB165_11 Depth=1
	v_cmp_eq_f32_e32 vcc, 0, v3
	s_cbranch_vccnz .LBB165_109
; %bb.106:                              ;   in Loop: Header=BB165_11 Depth=1
	v_cmp_gt_f32_e64 s[4:5], |v2|, |v3|
	s_and_b64 vcc, exec, s[4:5]
	s_cbranch_vccnz .LBB165_110
; %bb.107:                              ;   in Loop: Header=BB165_11 Depth=1
	v_div_scale_f32 v4, s[4:5], v3, v3, -v2
	v_rcp_f32_e32 v5, v4
	v_div_scale_f32 v6, vcc, -v2, v3, -v2
	v_fma_f32 v7, -v4, v5, 1.0
	v_fmac_f32_e32 v5, v7, v5
	v_mul_f32_e32 v7, v6, v5
	v_fma_f32 v8, -v4, v7, v6
	v_fmac_f32_e32 v7, v8, v5
	v_fma_f32 v4, -v4, v7, v6
	v_div_fmas_f32 v4, v4, v5, v7
	v_div_fixup_f32 v5, v4, v3, -v2
	v_fma_f32 v4, v5, v5, 1.0
	v_mul_f32_e32 v6, 0x4f800000, v4
	v_cmp_gt_f32_e32 vcc, s11, v4
	v_cndmask_b32_e32 v4, v4, v6, vcc
	v_sqrt_f32_e32 v6, v4
	v_add_u32_e32 v7, -1, v6
	v_fma_f32 v9, -v7, v6, v4
	v_add_u32_e32 v8, 1, v6
	v_cmp_ge_f32_e64 s[4:5], 0, v9
	v_cndmask_b32_e64 v7, v6, v7, s[4:5]
	v_fma_f32 v6, -v8, v6, v4
	v_cmp_lt_f32_e64 s[4:5], 0, v6
	v_cndmask_b32_e64 v6, v7, v8, s[4:5]
	v_mul_f32_e32 v7, 0x37800000, v6
	v_cndmask_b32_e32 v6, v6, v7, vcc
	v_cmp_class_f32_e32 vcc, v4, v24
	v_cndmask_b32_e32 v4, v6, v4, vcc
	v_div_scale_f32 v6, s[4:5], v4, v4, 1.0
	v_rcp_f32_e32 v7, v6
	s_mov_b64 s[4:5], 0
	v_fma_f32 v8, -v6, v7, 1.0
	v_fmac_f32_e32 v7, v8, v7
	v_div_scale_f32 v8, vcc, 1.0, v4, 1.0
	v_mul_f32_e32 v9, v8, v7
	v_fma_f32 v10, -v6, v9, v8
	v_fmac_f32_e32 v9, v10, v7
	v_fma_f32 v6, -v6, v9, v8
	v_div_fmas_f32 v6, v6, v7, v9
	v_div_fixup_f32 v4, v6, v4, 1.0
	v_mul_f32_e32 v5, v5, v4
	s_branch .LBB165_111
.LBB165_108:                            ;   in Loop: Header=BB165_11 Depth=1
	v_mov_b32_e32 v4, 1.0
	s_branch .LBB165_115
.LBB165_109:                            ;   in Loop: Header=BB165_11 Depth=1
                                        ; implicit-def: $vgpr3
                                        ; implicit-def: $vgpr4
                                        ; implicit-def: $vgpr5
	s_cbranch_execnz .LBB165_114
	s_branch .LBB165_115
.LBB165_110:                            ;   in Loop: Header=BB165_11 Depth=1
	s_mov_b64 s[4:5], -1
                                        ; implicit-def: $vgpr4
                                        ; implicit-def: $vgpr5
.LBB165_111:                            ;   in Loop: Header=BB165_11 Depth=1
	s_andn2_b64 vcc, exec, s[4:5]
	s_cbranch_vccnz .LBB165_113
; %bb.112:                              ;   in Loop: Header=BB165_11 Depth=1
	v_div_scale_f32 v4, s[4:5], v2, v2, -v3
	v_rcp_f32_e32 v5, v4
	v_div_scale_f32 v6, vcc, -v3, v2, -v3
	v_fma_f32 v7, -v4, v5, 1.0
	v_fmac_f32_e32 v5, v7, v5
	v_mul_f32_e32 v7, v6, v5
	v_fma_f32 v8, -v4, v7, v6
	v_fmac_f32_e32 v7, v8, v5
	v_fma_f32 v4, -v4, v7, v6
	v_div_fmas_f32 v4, v4, v5, v7
	v_div_fixup_f32 v4, v4, v2, -v3
	v_fma_f32 v5, v4, v4, 1.0
	v_mul_f32_e32 v6, 0x4f800000, v5
	v_cmp_gt_f32_e32 vcc, s11, v5
	v_cndmask_b32_e32 v5, v5, v6, vcc
	v_sqrt_f32_e32 v6, v5
	v_add_u32_e32 v7, -1, v6
	v_fma_f32 v9, -v7, v6, v5
	v_add_u32_e32 v8, 1, v6
	v_cmp_ge_f32_e64 s[4:5], 0, v9
	v_cndmask_b32_e64 v7, v6, v7, s[4:5]
	v_fma_f32 v6, -v8, v6, v5
	v_cmp_lt_f32_e64 s[4:5], 0, v6
	v_cndmask_b32_e64 v6, v7, v8, s[4:5]
	v_mul_f32_e32 v7, 0x37800000, v6
	v_cndmask_b32_e32 v6, v6, v7, vcc
	v_cmp_class_f32_e32 vcc, v5, v24
	v_cndmask_b32_e32 v5, v6, v5, vcc
	v_div_scale_f32 v6, s[4:5], v5, v5, 1.0
	v_rcp_f32_e32 v7, v6
	v_fma_f32 v8, -v6, v7, 1.0
	v_fmac_f32_e32 v7, v8, v7
	v_div_scale_f32 v8, vcc, 1.0, v5, 1.0
	v_mul_f32_e32 v9, v8, v7
	v_fma_f32 v10, -v6, v9, v8
	v_fmac_f32_e32 v9, v10, v7
	v_fma_f32 v6, -v6, v9, v8
	v_div_fmas_f32 v6, v6, v7, v9
	v_div_fixup_f32 v5, v6, v5, 1.0
	v_mul_f32_e32 v4, v4, v5
.LBB165_113:                            ;   in Loop: Header=BB165_11 Depth=1
	v_mul_f32_e32 v6, v2, v5
	v_fma_f32 v3, v3, v4, -v6
	s_branch .LBB165_115
.LBB165_114:                            ;   in Loop: Header=BB165_11 Depth=1
	v_xor_b32_e32 v3, 0x80000000, v2
	v_mov_b32_e32 v4, 0
	v_mov_b32_e32 v5, 1.0
.LBB165_115:                            ;   in Loop: Header=BB165_11 Depth=1
	global_store_dword v15, v3, s[14:15]
	global_load_dword v6, v15, s[94:95] offset:-4
	s_nop 0
	global_load_dword v3, v15, s[86:87] offset:-4
	s_cmp_eq_u32 s78, 2
	s_waitcnt vmcnt(1)
	v_mul_f32_e32 v7, v4, v6
	s_waitcnt vmcnt(0)
	v_fmac_f32_e32 v7, v5, v3
	global_store_dword v15, v7, s[94:95] offset:-4
	s_cbranch_scc1 .LBB165_117
; %bb.116:                              ;   in Loop: Header=BB165_11 Depth=1
	s_ashr_i32 s71, s70, 31
	s_lshl_b64 s[4:5], s[70:71], 2
	s_add_u32 s4, s86, s4
	s_addc_u32 s5, s87, s5
	global_load_dword v7, v15, s[4:5] offset:-4
	s_waitcnt vmcnt(0)
	v_mul_f32_e64 v2, v7, -v5
	v_mul_f32_e32 v7, v4, v7
	global_store_dword v15, v7, s[4:5] offset:-4
.LBB165_117:                            ;   in Loop: Header=BB165_11 Depth=1
	s_and_b64 s[4:5], s[26:27], s[30:31]
	v_cndmask_b32_e64 v7, 0, 1, s[4:5]
	v_readlane_b32 s86, v38, 18
	v_readlane_b32 s94, v38, 20
	v_cmp_ne_u32_e64 s[14:15], 1, v7
	s_andn2_b64 vcc, exec, s[4:5]
	v_readlane_b32 s87, v38, 19
	v_readlane_b32 s95, v38, 21
	s_cbranch_vccnz .LBB165_119
; %bb.118:                              ;   in Loop: Header=BB165_11 Depth=1
	s_add_u32 s4, s21, s82
	s_addc_u32 s5, s24, s83
	s_ashr_i32 s79, s78, 31
	s_lshl_b64 s[30:31], s[78:79], 2
	s_add_u32 s30, s4, s30
	s_addc_u32 s31, s5, s31
	global_store_dword v15, v4, s[4:5] offset:-4
	global_store_dword v15, v5, s[30:31] offset:-4
.LBB165_119:                            ;   in Loop: Header=BB165_11 Depth=1
	v_readlane_b32 s30, v38, 2
	s_xor_b64 s[4:5], s[74:75], -1
	v_readlane_b32 s31, v38, 3
	s_or_b64 s[4:5], s[30:31], s[4:5]
	s_and_b64 vcc, exec, s[4:5]
	s_cbranch_vccnz .LBB165_121
; %bb.120:                              ;   in Loop: Header=BB165_11 Depth=1
	s_ashr_i32 s25, s59, 31
	s_add_u32 s30, s80, s59
	s_addc_u32 s31, s81, s25
	s_lshl_b64 s[30:31], s[30:31], 2
	s_add_u32 s30, s21, s30
	s_addc_u32 s31, s24, s31
	s_ashr_i32 s79, s78, 31
	s_lshl_b64 s[24:25], s[78:79], 2
	s_add_u32 s24, s30, s24
	s_addc_u32 s25, s31, s25
	global_store_dword v15, v4, s[30:31] offset:-4
	global_store_dword v15, v5, s[24:25] offset:-4
.LBB165_121:                            ;   in Loop: Header=BB165_11 Depth=1
	v_mul_f32_e32 v5, v5, v6
	v_fma_f32 v3, v4, v3, -v5
	s_cmp_eq_u32 s58, 1
	s_mov_b32 s61, 0
	s_cbranch_scc1 .LBB165_154
; %bb.122:                              ;   in Loop: Header=BB165_11 Depth=1
	s_xor_b64 s[80:81], s[92:93], -1
	s_xor_b64 s[82:83], s[4:5], -1
	s_add_i32 s4, s84, s70
	s_add_i32 s61, s58, -1
	s_sub_i32 s30, s84, s76
	s_ashr_i32 s21, s59, 31
	s_ashr_i32 s79, s78, 31
	s_lshl_b64 s[24:25], s[66:67], 3
	s_add_u32 s52, s24, s64
	s_addc_u32 s53, s25, s65
	s_ashr_i32 s5, s4, 31
	s_lshl_b64 s[4:5], s[4:5], 2
	v_writelane_b32 v38, s77, 26
	s_add_u32 s31, s52, s4
	s_addc_u32 s48, s53, s5
	v_readlane_b32 s49, v38, 8
	s_add_u32 s67, s49, s31
	v_readlane_b32 s31, v38, 9
	s_addc_u32 s71, s31, s48
	s_lshl_b32 s31, s66, 1
	s_add_i32 s48, s31, -2
	s_ashr_i32 s49, s48, 31
	s_lshl_b64 s[84:85], s[48:49], 2
	s_or_b32 s84, s84, 4
	s_add_u32 s4, s64, s4
	s_addc_u32 s5, s65, s5
	s_add_u32 s93, s22, s4
	s_addc_u32 s94, s33, s5
	;; [unrolled: 2-line block ×3, first 2 shown]
	s_ashr_i32 s31, s30, 31
	s_add_u32 s4, s4, s30
	s_addc_u32 s5, s5, s31
	s_lshl_b64 s[4:5], s[4:5], 2
	s_add_u32 s21, s4, s88
	s_addc_u32 s48, s5, s89
	s_lshl_b64 s[4:5], s[78:79], 2
	s_add_u32 s49, s21, s4
	s_addc_u32 s54, s48, s5
	v_readlane_b32 s77, v38, 11
	s_add_u32 s90, s77, s49
	v_readlane_b32 s49, v38, 13
	s_addc_u32 s91, s49, s54
	s_add_u32 s95, s77, s21
	s_addc_u32 s21, s49, s48
	s_add_u32 s24, s24, s88
	s_addc_u32 s25, s25, s89
	s_lshl_b64 s[54:55], s[30:31], 2
	s_add_u32 s24, s24, s54
	s_addc_u32 s25, s25, s55
	s_add_u32 s4, s24, s4
	s_addc_u32 s5, s25, s5
	;; [unrolled: 2-line block ×4, first 2 shown]
	v_readlane_b32 s4, v38, 0
	v_readlane_b32 s5, v38, 1
	s_add_u32 s4, s4, s62
	s_addc_u32 s5, s5, s63
	s_add_u32 s4, s4, s30
	s_addc_u32 s5, s5, s31
	s_mul_i32 s49, s66, 12
	s_lshl_b64 s[4:5], s[4:5], 2
	s_mul_hi_i32 s48, s66, 12
	s_add_u32 s30, s49, s4
	s_addc_u32 s31, s48, s5
	s_ashr_i32 s77, s76, 31
	s_lshl_b64 s[4:5], s[76:77], 2
	s_sub_u32 s4, s30, s4
	s_subb_u32 s5, s31, s5
	v_readlane_b32 s30, v38, 14
	s_add_u32 s48, s30, s4
	v_readlane_b32 s4, v38, 16
	s_addc_u32 s49, s4, s5
	s_add_u32 s4, s52, s54
	s_addc_u32 s5, s53, s55
	v_readlane_b32 s30, v38, 15
	s_add_u32 s52, s30, s4
	v_readlane_b32 s4, v38, 17
	s_addc_u32 s53, s4, s5
	s_add_u32 s4, s64, s54
	s_addc_u32 s5, s65, s55
	s_add_u32 s54, s38, s4
	s_mov_b32 s92, 1
	s_addc_u32 s55, s40, s5
	s_mov_b64 s[76:77], 0
	s_branch .LBB165_124
.LBB165_123:                            ;   in Loop: Header=BB165_124 Depth=2
	s_add_i32 s92, s92, 1
	s_add_u32 s76, s76, s84
	v_mul_f32_e32 v5, v5, v6
	s_addc_u32 s77, s77, s85
	s_cmp_eq_u32 s58, s92
	v_fma_f32 v3, v4, v3, -v5
	s_cbranch_scc1 .LBB165_155
.LBB165_124:                            ;   Parent Loop BB165_11 Depth=1
                                        ; =>  This Inner Loop Header: Depth=2
	v_cmp_eq_f32_e32 vcc, 0, v2
	v_mov_b32_e32 v4, 0
	s_cbranch_vccnz .LBB165_128
; %bb.125:                              ;   in Loop: Header=BB165_124 Depth=2
	v_cmp_neq_f32_e32 vcc, 0, v3
	s_cbranch_vccz .LBB165_129
; %bb.126:                              ;   in Loop: Header=BB165_124 Depth=2
	v_cmp_ngt_f32_e64 s[4:5], |v2|, |v3|
	s_and_b64 vcc, exec, s[4:5]
	s_cbranch_vccz .LBB165_130
; %bb.127:                              ;   in Loop: Header=BB165_124 Depth=2
	v_div_scale_f32 v4, s[4:5], v3, v3, -v2
	v_rcp_f32_e32 v5, v4
	v_div_scale_f32 v6, vcc, -v2, v3, -v2
	v_fma_f32 v7, -v4, v5, 1.0
	v_fmac_f32_e32 v5, v7, v5
	v_mul_f32_e32 v7, v6, v5
	v_fma_f32 v8, -v4, v7, v6
	v_fmac_f32_e32 v7, v8, v5
	v_fma_f32 v4, -v4, v7, v6
	v_div_fmas_f32 v4, v4, v5, v7
	v_div_fixup_f32 v4, v4, v3, -v2
	v_fma_f32 v5, v4, v4, 1.0
	v_mul_f32_e32 v6, 0x4f800000, v5
	v_cmp_gt_f32_e32 vcc, s11, v5
	v_cndmask_b32_e32 v5, v5, v6, vcc
	v_sqrt_f32_e32 v6, v5
	v_add_u32_e32 v7, -1, v6
	v_fma_f32 v9, -v7, v6, v5
	v_add_u32_e32 v8, 1, v6
	v_cmp_ge_f32_e64 s[4:5], 0, v9
	v_cndmask_b32_e64 v7, v6, v7, s[4:5]
	v_fma_f32 v6, -v8, v6, v5
	v_cmp_lt_f32_e64 s[4:5], 0, v6
	v_cndmask_b32_e64 v6, v7, v8, s[4:5]
	v_mul_f32_e32 v7, 0x37800000, v6
	v_cndmask_b32_e32 v6, v6, v7, vcc
	v_cmp_class_f32_e32 vcc, v5, v24
	v_cndmask_b32_e32 v5, v6, v5, vcc
	v_div_scale_f32 v6, s[4:5], v5, v5, 1.0
	v_rcp_f32_e32 v7, v6
	v_fma_f32 v8, -v6, v7, 1.0
	v_fmac_f32_e32 v7, v8, v7
	v_div_scale_f32 v8, vcc, 1.0, v5, 1.0
	v_mul_f32_e32 v9, v8, v7
	v_fma_f32 v10, -v6, v9, v8
	v_fmac_f32_e32 v9, v10, v7
	v_fma_f32 v6, -v6, v9, v8
	v_div_fmas_f32 v6, v6, v7, v9
	v_div_fixup_f32 v5, v6, v5, 1.0
	v_mul_f32_e32 v4, v4, v5
	s_cbranch_execz .LBB165_131
	s_branch .LBB165_132
.LBB165_128:                            ;   in Loop: Header=BB165_124 Depth=2
	v_mov_b32_e32 v5, 1.0
	s_branch .LBB165_134
.LBB165_129:                            ;   in Loop: Header=BB165_124 Depth=2
                                        ; implicit-def: $vgpr3
                                        ; implicit-def: $vgpr5
                                        ; implicit-def: $vgpr4
	s_cbranch_execnz .LBB165_133
	s_branch .LBB165_134
.LBB165_130:                            ;   in Loop: Header=BB165_124 Depth=2
                                        ; implicit-def: $vgpr5
                                        ; implicit-def: $vgpr4
.LBB165_131:                            ;   in Loop: Header=BB165_124 Depth=2
	v_div_scale_f32 v4, s[4:5], v2, v2, -v3
	v_rcp_f32_e32 v5, v4
	v_div_scale_f32 v6, vcc, -v3, v2, -v3
	v_fma_f32 v7, -v4, v5, 1.0
	v_fmac_f32_e32 v5, v7, v5
	v_mul_f32_e32 v7, v6, v5
	v_fma_f32 v8, -v4, v7, v6
	v_fmac_f32_e32 v7, v8, v5
	v_fma_f32 v4, -v4, v7, v6
	v_div_fmas_f32 v4, v4, v5, v7
	v_div_fixup_f32 v5, v4, v2, -v3
	v_fma_f32 v4, v5, v5, 1.0
	v_mul_f32_e32 v6, 0x4f800000, v4
	v_cmp_gt_f32_e32 vcc, s11, v4
	v_cndmask_b32_e32 v4, v4, v6, vcc
	v_sqrt_f32_e32 v6, v4
	v_add_u32_e32 v7, -1, v6
	v_fma_f32 v9, -v7, v6, v4
	v_add_u32_e32 v8, 1, v6
	v_cmp_ge_f32_e64 s[4:5], 0, v9
	v_cndmask_b32_e64 v7, v6, v7, s[4:5]
	v_fma_f32 v6, -v8, v6, v4
	v_cmp_lt_f32_e64 s[4:5], 0, v6
	v_cndmask_b32_e64 v6, v7, v8, s[4:5]
	v_mul_f32_e32 v7, 0x37800000, v6
	v_cndmask_b32_e32 v6, v6, v7, vcc
	v_cmp_class_f32_e32 vcc, v4, v24
	v_cndmask_b32_e32 v4, v6, v4, vcc
	v_div_scale_f32 v6, s[4:5], v4, v4, 1.0
	v_rcp_f32_e32 v7, v6
	v_fma_f32 v8, -v6, v7, 1.0
	v_fmac_f32_e32 v7, v8, v7
	v_div_scale_f32 v8, vcc, 1.0, v4, 1.0
	v_mul_f32_e32 v9, v8, v7
	v_fma_f32 v10, -v6, v9, v8
	v_fmac_f32_e32 v9, v10, v7
	v_fma_f32 v6, -v6, v9, v8
	v_div_fmas_f32 v6, v6, v7, v9
	v_div_fixup_f32 v4, v6, v4, 1.0
	v_mul_f32_e32 v5, v5, v4
.LBB165_132:                            ;   in Loop: Header=BB165_124 Depth=2
	v_mul_f32_e32 v6, v2, v4
	v_fma_f32 v3, v3, v5, -v6
	s_branch .LBB165_134
.LBB165_133:                            ;   in Loop: Header=BB165_124 Depth=2
	v_xor_b32_e32 v3, 0x80000000, v2
	v_mov_b32_e32 v5, 0
	v_mov_b32_e32 v4, 1.0
.LBB165_134:                            ;   in Loop: Header=BB165_124 Depth=2
	s_add_u32 s4, s54, s76
	s_addc_u32 s5, s55, s77
	s_add_u32 s78, s93, s76
	s_addc_u32 s79, s94, s77
	s_add_u32 s30, s52, s76
	global_store_dword v15, v3, s[4:5]
	s_addc_u32 s31, s53, s77
	global_load_dword v3, v15, s[30:31]
	global_load_dword v2, v15, s[78:79]
	s_add_u32 s86, s67, s76
	s_addc_u32 s87, s71, s77
	s_and_b64 vcc, exec, s[12:13]
	s_waitcnt vmcnt(1)
	v_mul_f32_e32 v6, v5, v3
	s_waitcnt vmcnt(0)
	v_fmac_f32_e32 v6, v4, v2
	global_store_dword v15, v6, s[30:31]
	global_load_dword v6, v15, s[86:87]
	s_waitcnt vmcnt(0)
	v_mul_f32_e32 v7, v5, v6
	global_store_dword v15, v7, s[86:87]
	s_cbranch_vccnz .LBB165_136
; %bb.135:                              ;   in Loop: Header=BB165_124 Depth=2
	s_add_u32 s4, s24, s76
	s_addc_u32 s5, s25, s77
	s_add_u32 vcc_lo, s88, s76
	s_addc_u32 vcc_hi, s89, s77
	global_store_dword v15, v5, s[4:5]
	global_store_dword v15, v4, vcc
.LBB165_136:                            ;   in Loop: Header=BB165_124 Depth=2
	s_andn2_b64 vcc, exec, s[80:81]
	s_cbranch_vccnz .LBB165_138
; %bb.137:                              ;   in Loop: Header=BB165_124 Depth=2
	s_add_u32 s4, s95, s76
	s_addc_u32 s5, s21, s77
	s_add_u32 vcc_lo, s90, s76
	s_addc_u32 vcc_hi, s91, s77
	global_store_dword v15, v5, s[4:5]
	global_store_dword v15, v4, vcc
.LBB165_138:                            ;   in Loop: Header=BB165_124 Depth=2
	v_mul_f32_e32 v3, v4, v3
	v_fma_f32 v3, v5, v2, -v3
	v_mul_f32_e64 v2, v6, -v4
	v_cmp_eq_f32_e32 vcc, 0, v2
	v_mov_b32_e32 v5, 0
	s_cbranch_vccnz .LBB165_142
; %bb.139:                              ;   in Loop: Header=BB165_124 Depth=2
	v_cmp_neq_f32_e32 vcc, 0, v3
	s_cbranch_vccz .LBB165_143
; %bb.140:                              ;   in Loop: Header=BB165_124 Depth=2
	v_cmp_ngt_f32_e64 s[4:5], |v2|, |v3|
	s_and_b64 vcc, exec, s[4:5]
	s_cbranch_vccz .LBB165_144
; %bb.141:                              ;   in Loop: Header=BB165_124 Depth=2
	v_div_scale_f32 v4, s[4:5], v3, v3, -v2
	v_rcp_f32_e32 v5, v4
	v_div_scale_f32 v6, vcc, -v2, v3, -v2
	v_fma_f32 v7, -v4, v5, 1.0
	v_fmac_f32_e32 v5, v7, v5
	v_mul_f32_e32 v7, v6, v5
	v_fma_f32 v8, -v4, v7, v6
	v_fmac_f32_e32 v7, v8, v5
	v_fma_f32 v4, -v4, v7, v6
	v_div_fmas_f32 v4, v4, v5, v7
	v_div_fixup_f32 v5, v4, v3, -v2
	v_fma_f32 v4, v5, v5, 1.0
	v_mul_f32_e32 v6, 0x4f800000, v4
	v_cmp_gt_f32_e32 vcc, s11, v4
	v_cndmask_b32_e32 v4, v4, v6, vcc
	v_sqrt_f32_e32 v6, v4
	v_add_u32_e32 v7, -1, v6
	v_fma_f32 v9, -v7, v6, v4
	v_add_u32_e32 v8, 1, v6
	v_cmp_ge_f32_e64 s[4:5], 0, v9
	v_cndmask_b32_e64 v7, v6, v7, s[4:5]
	v_fma_f32 v6, -v8, v6, v4
	v_cmp_lt_f32_e64 s[4:5], 0, v6
	v_cndmask_b32_e64 v6, v7, v8, s[4:5]
	v_mul_f32_e32 v7, 0x37800000, v6
	v_cndmask_b32_e32 v6, v6, v7, vcc
	v_cmp_class_f32_e32 vcc, v4, v24
	v_cndmask_b32_e32 v4, v6, v4, vcc
	v_div_scale_f32 v6, s[4:5], v4, v4, 1.0
	v_rcp_f32_e32 v7, v6
	v_fma_f32 v8, -v6, v7, 1.0
	v_fmac_f32_e32 v7, v8, v7
	v_div_scale_f32 v8, vcc, 1.0, v4, 1.0
	v_mul_f32_e32 v9, v8, v7
	v_fma_f32 v10, -v6, v9, v8
	v_fmac_f32_e32 v9, v10, v7
	v_fma_f32 v6, -v6, v9, v8
	v_div_fmas_f32 v6, v6, v7, v9
	v_div_fixup_f32 v4, v6, v4, 1.0
	v_mul_f32_e32 v5, v5, v4
	s_cbranch_execz .LBB165_145
	s_branch .LBB165_146
.LBB165_142:                            ;   in Loop: Header=BB165_124 Depth=2
	v_mov_b32_e32 v4, 1.0
	s_branch .LBB165_148
.LBB165_143:                            ;   in Loop: Header=BB165_124 Depth=2
                                        ; implicit-def: $vgpr3
                                        ; implicit-def: $vgpr4
                                        ; implicit-def: $vgpr5
	s_cbranch_execnz .LBB165_147
	s_branch .LBB165_148
.LBB165_144:                            ;   in Loop: Header=BB165_124 Depth=2
                                        ; implicit-def: $vgpr4
                                        ; implicit-def: $vgpr5
.LBB165_145:                            ;   in Loop: Header=BB165_124 Depth=2
	v_div_scale_f32 v4, s[4:5], v2, v2, -v3
	v_rcp_f32_e32 v5, v4
	v_div_scale_f32 v6, vcc, -v3, v2, -v3
	v_fma_f32 v7, -v4, v5, 1.0
	v_fmac_f32_e32 v5, v7, v5
	v_mul_f32_e32 v7, v6, v5
	v_fma_f32 v8, -v4, v7, v6
	v_fmac_f32_e32 v7, v8, v5
	v_fma_f32 v4, -v4, v7, v6
	v_div_fmas_f32 v4, v4, v5, v7
	v_div_fixup_f32 v4, v4, v2, -v3
	v_fma_f32 v5, v4, v4, 1.0
	v_mul_f32_e32 v6, 0x4f800000, v5
	v_cmp_gt_f32_e32 vcc, s11, v5
	v_cndmask_b32_e32 v5, v5, v6, vcc
	v_sqrt_f32_e32 v6, v5
	v_add_u32_e32 v7, -1, v6
	v_fma_f32 v9, -v7, v6, v5
	v_add_u32_e32 v8, 1, v6
	v_cmp_ge_f32_e64 s[4:5], 0, v9
	v_cndmask_b32_e64 v7, v6, v7, s[4:5]
	v_fma_f32 v6, -v8, v6, v5
	v_cmp_lt_f32_e64 s[4:5], 0, v6
	v_cndmask_b32_e64 v6, v7, v8, s[4:5]
	v_mul_f32_e32 v7, 0x37800000, v6
	v_cndmask_b32_e32 v6, v6, v7, vcc
	v_cmp_class_f32_e32 vcc, v5, v24
	v_cndmask_b32_e32 v5, v6, v5, vcc
	v_div_scale_f32 v6, s[4:5], v5, v5, 1.0
	v_rcp_f32_e32 v7, v6
	v_fma_f32 v8, -v6, v7, 1.0
	v_fmac_f32_e32 v7, v8, v7
	v_div_scale_f32 v8, vcc, 1.0, v5, 1.0
	v_mul_f32_e32 v9, v8, v7
	v_fma_f32 v10, -v6, v9, v8
	v_fmac_f32_e32 v9, v10, v7
	v_fma_f32 v6, -v6, v9, v8
	v_div_fmas_f32 v6, v6, v7, v9
	v_div_fixup_f32 v5, v6, v5, 1.0
	v_mul_f32_e32 v4, v4, v5
.LBB165_146:                            ;   in Loop: Header=BB165_124 Depth=2
	v_mul_f32_e32 v6, v2, v5
	v_fma_f32 v3, v3, v4, -v6
	s_branch .LBB165_148
.LBB165_147:                            ;   in Loop: Header=BB165_124 Depth=2
	v_xor_b32_e32 v3, 0x80000000, v2
	v_mov_b32_e32 v4, 0
	v_mov_b32_e32 v5, 1.0
.LBB165_148:                            ;   in Loop: Header=BB165_124 Depth=2
	global_store_dword v15, v3, s[78:79]
	global_load_dword v6, v15, s[86:87]
	s_nop 0
	global_load_dword v3, v15, s[30:31]
	s_cmp_ge_i32 s92, s61
	s_waitcnt vmcnt(1)
	v_mul_f32_e32 v7, v4, v6
	s_waitcnt vmcnt(0)
	v_fmac_f32_e32 v7, v5, v3
	global_store_dword v15, v7, s[86:87]
	s_cbranch_scc0 .LBB165_151
; %bb.149:                              ;   in Loop: Header=BB165_124 Depth=2
	s_and_b64 vcc, exec, s[14:15]
	s_cbranch_vccz .LBB165_152
.LBB165_150:                            ;   in Loop: Header=BB165_124 Depth=2
	s_andn2_b64 vcc, exec, s[82:83]
	s_cbranch_vccnz .LBB165_123
	s_branch .LBB165_153
.LBB165_151:                            ;   in Loop: Header=BB165_124 Depth=2
	s_add_u32 s4, s48, s76
	s_addc_u32 s5, s49, s77
	global_load_dword v7, v15, s[4:5]
	s_waitcnt vmcnt(0)
	v_mul_f32_e64 v2, v7, -v5
	v_mul_f32_e32 v7, v4, v7
	global_store_dword v15, v7, s[4:5]
	s_and_b64 vcc, exec, s[14:15]
	s_cbranch_vccnz .LBB165_150
.LBB165_152:                            ;   in Loop: Header=BB165_124 Depth=2
	s_add_u32 s4, s24, s76
	s_addc_u32 s5, s25, s77
	s_add_u32 s30, s88, s76
	s_addc_u32 s31, s89, s77
	global_store_dword v15, v4, s[4:5]
	global_store_dword v15, v5, s[30:31]
	s_andn2_b64 vcc, exec, s[82:83]
	s_cbranch_vccnz .LBB165_123
.LBB165_153:                            ;   in Loop: Header=BB165_124 Depth=2
	s_add_u32 s4, s95, s76
	s_addc_u32 s5, s21, s77
	s_add_u32 s30, s90, s76
	s_addc_u32 s31, s91, s77
	global_store_dword v15, v4, s[4:5]
	global_store_dword v15, v5, s[30:31]
	s_branch .LBB165_123
.LBB165_154:                            ;   in Loop: Header=BB165_11 Depth=1
	v_readlane_b32 s90, v38, 22
	v_readlane_b32 s91, v38, 23
	s_branch .LBB165_156
.LBB165_155:                            ;   in Loop: Header=BB165_11 Depth=1
	v_readlane_b32 s90, v38, 22
	v_readlane_b32 s86, v38, 18
	;; [unrolled: 1-line block ×7, first 2 shown]
.LBB165_156:                            ;   in Loop: Header=BB165_11 Depth=1
	v_readlane_b32 s88, v38, 24
	v_readlane_b32 s89, v38, 25
	s_mov_b64 s[92:93], s[18:19]
.LBB165_157:                            ;   in Loop: Header=BB165_11 Depth=1
	s_and_b64 s[4:5], s[74:75], exec
	s_cselect_b32 s4, s61, 0
	s_ashr_i32 s5, s4, 31
	s_lshl_b64 s[4:5], s[4:5], 2
	s_add_u32 s4, s8, s4
	s_addc_u32 s5, s9, s5
	global_store_dword v15, v3, s[4:5]
.LBB165_158:                            ;   in Loop: Header=BB165_11 Depth=1
	s_or_b64 exec, exec, s[72:73]
	s_andn2_b64 vcc, exec, s[90:91]
	s_barrier
	s_cbranch_vccnz .LBB165_166
; %bb.159:                              ;   in Loop: Header=BB165_11 Depth=1
	s_mov_b32 s19, s77
	s_and_saveexec_b64 s[12:13], s[92:93]
	s_cbranch_execz .LBB165_165
; %bb.160:                              ;   in Loop: Header=BB165_11 Depth=1
	s_lshl_b64 s[4:5], s[62:63], 3
	s_add_u32 s14, s44, s4
	s_addc_u32 s15, s45, s5
	s_load_dword s5, s[50:51], 0xc
	s_add_i32 s4, s58, -1
	s_cmp_eq_u32 s66, 0
	s_cselect_b32 s8, s58, 0
	s_cselect_b32 s4, s4, 0
	s_cmp_gt_i32 s58, 0
	s_cselect_b64 s[30:31], -1, 0
	s_waitcnt lgkmcnt(0)
	s_and_b32 s9, s5, 0xffff
	s_lshl_b32 s5, s66, 1
	s_add_i32 s48, s5, -2
	s_ashr_i32 s49, s48, 31
	s_add_i32 s5, s5, s8
	s_lshl_b64 s[72:73], s[48:49], 3
	v_add_u32_e32 v4, s5, v21
	s_ashr_i32 s5, s4, 31
	s_or_b32 s72, s72, 8
	s_not_b64 s[74:75], s[48:49]
	s_or_b32 s24, s48, 1
	s_lshl_b64 s[4:5], s[4:5], 2
	s_lshl_b64 s[52:53], s[68:69], 2
	s_add_u32 s4, s4, s52
	s_addc_u32 s5, s5, s53
	v_readlane_b32 s18, v38, 10
	s_add_u32 s76, s18, s4
	v_readlane_b32 s4, v38, 12
	s_addc_u32 s77, s4, s5
	s_lshl_b64 s[78:79], s[48:49], 2
	s_ashr_i32 s61, s60, 31
	s_or_b32 s78, s78, 4
	s_lshl_b64 s[4:5], s[60:61], 2
	s_sub_u32 s4, s4, s64
	s_subb_u32 s5, s5, s65
	s_add_u32 s48, s4, 20
	v_add_u32_e32 v2, s8, v20
	s_mul_i32 s21, s23, s9
	s_mov_b32 s25, s49
	s_addc_u32 s49, s5, 0
	s_mov_b64 s[80:81], 0
	v_mov_b32_e32 v26, v0
	s_branch .LBB165_162
.LBB165_161:                            ;   in Loop: Header=BB165_162 Depth=2
	v_lshlrev_b64 v[8:9], 3, v[8:9]
	v_mov_b32_e32 v3, s15
	v_add_co_u32_e32 v8, vcc, s14, v8
	v_addc_co_u32_e32 v9, vcc, v3, v9, vcc
	v_add_u32_e32 v26, s9, v26
	v_cmp_le_i32_e32 vcc, s41, v26
	v_add_u32_e32 v2, s21, v2
	s_or_b64 s[80:81], vcc, s[80:81]
	v_add_u32_e32 v4, s21, v4
	s_waitcnt vmcnt(0) lgkmcnt(0)
	flat_store_dwordx2 v[8:9], v[6:7]
	s_andn2_b64 exec, exec, s[80:81]
	s_cbranch_execz .LBB165_165
.LBB165_162:                            ;   Parent Loop BB165_11 Depth=1
                                        ; =>  This Loop Header: Depth=2
                                        ;       Child Loop BB165_164 Depth 3
	v_mul_lo_u32 v3, v26, s23
	v_add_u32_e32 v8, s8, v3
	v_ashrrev_i32_e32 v9, 31, v8
	v_lshlrev_b64 v[6:7], 3, v[8:9]
	v_mov_b32_e32 v3, s15
	v_add_co_u32_e32 v6, vcc, s14, v6
	v_addc_co_u32_e32 v7, vcc, v3, v7, vcc
	flat_load_dwordx2 v[6:7], v[6:7]
	s_andn2_b64 vcc, exec, s[30:31]
	s_cbranch_vccnz .LBB165_161
; %bb.163:                              ;   in Loop: Header=BB165_162 Depth=2
	v_ashrrev_i32_e32 v3, 31, v2
	v_lshlrev_b64 v[10:11], 3, v[2:3]
	v_ashrrev_i32_e32 v5, 31, v4
	v_mov_b32_e32 v3, s75
	v_add_co_u32_e32 v8, vcc, s74, v4
	v_addc_co_u32_e32 v9, vcc, v3, v5, vcc
	v_lshlrev_b64 v[12:13], 3, v[4:5]
	s_mov_b64 s[82:83], s[76:77]
	s_mov_b64 s[84:85], s[14:15]
	s_mov_b32 s52, s58
.LBB165_164:                            ;   Parent Loop BB165_11 Depth=1
                                        ;     Parent Loop BB165_162 Depth=2
                                        ; =>    This Inner Loop Header: Depth=3
	v_mov_b32_e32 v3, s85
	v_add_co_u32_e32 v28, vcc, s84, v12
	s_add_u32 s4, s82, s48
	v_addc_co_u32_e32 v29, vcc, v3, v13, vcc
	s_addc_u32 s5, s83, s49
	flat_load_dwordx2 v[28:29], v[28:29]
	s_nop 0
	global_load_dword v30, v15, s[4:5]
	global_load_dword v32, v15, s[82:83] offset:16
	s_add_i32 s52, s52, -1
	v_add_co_u32_e64 v34, s[4:5], s84, v10
	s_add_u32 s84, s84, s72
	s_addc_u32 s85, s85, s73
	v_mov_b32_e32 v5, s25
	v_add_co_u32_e32 v8, vcc, s24, v8
	s_add_u32 s82, s82, s78
	v_addc_co_u32_e64 v35, s[4:5], v3, v11, s[4:5]
	v_addc_co_u32_e32 v9, vcc, v9, v5, vcc
	s_addc_u32 s83, s83, s79
	s_cmp_eq_u32 s52, 0
	s_waitcnt vmcnt(0) lgkmcnt(0)
	v_mul_f32_e32 v3, v28, v30
	v_mul_f32_e32 v5, v29, v30
	v_pk_mul_f32 v[30:31], v[6:7], v[30:31] op_sel_hi:[1,0]
	v_fma_f32 v36, v6, v32, -v3
	v_fma_f32 v37, v7, v32, -v5
	v_pk_fma_f32 v[6:7], v[28:29], v[32:33], v[30:31] op_sel_hi:[1,0,1]
	flat_store_dwordx2 v[34:35], v[36:37]
	s_cbranch_scc0 .LBB165_164
	s_branch .LBB165_161
.LBB165_165:                            ;   in Loop: Header=BB165_11 Depth=1
	s_or_b64 exec, exec, s[12:13]
	s_mov_b32 s77, s19
.LBB165_166:                            ;   in Loop: Header=BB165_11 Depth=1
	s_andn2_b64 vcc, exec, s[86:87]
	s_cbranch_vccnz .LBB165_174
; %bb.167:                              ;   in Loop: Header=BB165_11 Depth=1
	s_and_saveexec_b64 s[4:5], s[94:95]
	s_cbranch_execz .LBB165_173
; %bb.168:                              ;   in Loop: Header=BB165_11 Depth=1
	s_mul_i32 s8, s62, s89
	s_ashr_i32 s9, s8, 31
	s_lshl_b64 s[8:9], s[8:9], 3
	s_add_u32 s8, s34, s8
	s_addc_u32 s9, s35, s9
	s_add_i32 s12, s58, -1
	s_load_dword s15, s[50:51], 0xc
	s_cmp_eq_u32 s66, 0
	s_cselect_b32 s12, s12, 0
	s_cselect_b32 s52, s58, 0
	s_add_i32 s14, s12, s59
	s_cmp_gt_i32 s58, 0
	s_cselect_b64 s[12:13], -1, 0
	s_waitcnt lgkmcnt(0)
	s_and_b32 s24, s15, 0xffff
	s_ashr_i32 s15, s14, 31
	s_lshl_b64 s[30:31], s[68:69], 2
	s_lshl_b64 s[14:15], s[14:15], 2
	s_add_u32 s14, s30, s14
	s_addc_u32 s15, s31, s15
	v_readlane_b32 s18, v38, 10
	s_add_u32 s14, s18, s14
	v_readlane_b32 s18, v38, 12
	s_addc_u32 s15, s18, s15
	s_lshl_b32 s53, s66, 1
	s_add_i32 s30, s53, -2
	s_ashr_i32 s31, s30, 31
	s_lshl_b64 s[30:31], s[30:31], 2
	s_ashr_i32 s61, s60, 31
	s_or_b32 s30, s30, 4
	s_lshl_b64 s[48:49], s[60:61], 2
	s_sub_u32 s25, s48, s64
	s_subb_u32 s48, s49, s65
	s_add_u32 s25, s25, 20
	s_mul_i32 s21, s52, s89
	s_addc_u32 s48, s48, 0
	s_add_i32 s52, s52, s53
	s_add_i32 s52, s52, -1
	s_mul_i32 s52, s89, s52
	v_add_u32_e32 v6, s21, v0
	s_mul_i32 s49, s89, s70
	v_add_u32_e32 v7, s52, v0
	s_mov_b64 s[70:71], 0
	v_mov_b32_e32 v8, v0
	s_branch .LBB165_170
.LBB165_169:                            ;   in Loop: Header=BB165_170 Depth=2
	v_lshlrev_b64 v[4:5], 3, v[4:5]
	v_mov_b32_e32 v9, s9
	v_add_co_u32_e32 v4, vcc, s8, v4
	v_addc_co_u32_e32 v5, vcc, v9, v5, vcc
	v_add_u32_e32 v8, s24, v8
	v_cmp_le_i32_e32 vcc, s42, v8
	v_add_u32_e32 v6, s24, v6
	s_or_b64 s[70:71], vcc, s[70:71]
	v_add_u32_e32 v7, s24, v7
	s_waitcnt vmcnt(0) lgkmcnt(0)
	flat_store_dwordx2 v[4:5], v[2:3]
	s_andn2_b64 exec, exec, s[70:71]
	s_cbranch_execz .LBB165_173
.LBB165_170:                            ;   Parent Loop BB165_11 Depth=1
                                        ; =>  This Loop Header: Depth=2
                                        ;       Child Loop BB165_172 Depth 3
	v_add_u32_e32 v4, s21, v8
	v_ashrrev_i32_e32 v5, 31, v4
	v_lshlrev_b64 v[2:3], 3, v[4:5]
	v_mov_b32_e32 v9, s9
	v_add_co_u32_e32 v2, vcc, s8, v2
	v_addc_co_u32_e32 v3, vcc, v9, v3, vcc
	flat_load_dwordx2 v[2:3], v[2:3]
	s_andn2_b64 vcc, exec, s[12:13]
	s_cbranch_vccnz .LBB165_169
; %bb.171:                              ;   in Loop: Header=BB165_170 Depth=2
	s_mov_b32 s52, 0
	s_mov_b64 s[72:73], s[14:15]
	s_mov_b32 s53, s58
.LBB165_172:                            ;   Parent Loop BB165_11 Depth=1
                                        ;     Parent Loop BB165_170 Depth=2
                                        ; =>    This Inner Loop Header: Depth=3
	v_add_u32_e32 v4, s52, v7
	v_ashrrev_i32_e32 v5, 31, v4
	v_lshlrev_b64 v[12:13], 3, v[4:5]
	v_mov_b32_e32 v9, s9
	s_add_u32 s54, s72, s25
	v_add_co_u32_e32 v12, vcc, s8, v12
	s_addc_u32 s55, s73, s48
	v_addc_co_u32_e32 v13, vcc, v9, v13, vcc
	global_load_dword v10, v15, s[72:73] offset:16
	global_load_dword v26, v15, s[54:55]
	v_add_u32_e32 v28, s52, v6
	flat_load_dwordx2 v[12:13], v[12:13]
	v_ashrrev_i32_e32 v29, 31, v28
	s_add_i32 s53, s53, -1
	v_lshlrev_b64 v[28:29], 3, v[28:29]
	s_add_u32 s72, s72, s30
	v_add_co_u32_e32 v28, vcc, s8, v28
	v_addc_co_u32_e32 v29, vcc, v9, v29, vcc
	s_addc_u32 s73, s73, s31
	s_add_i32 s52, s52, s49
	s_cmp_eq_u32 s53, 0
	s_waitcnt vmcnt(0) lgkmcnt(0)
	v_pk_mul_f32 v[30:31], v[2:3], v[26:27] op_sel_hi:[1,0]
	v_mul_f32_e32 v9, v12, v26
	v_mul_f32_e32 v11, v13, v26
	v_fma_f32 v26, v2, v10, -v9
	v_fma_f32 v27, v3, v10, -v11
	v_pk_fma_f32 v[2:3], v[12:13], v[10:11], v[30:31] op_sel_hi:[1,0,1]
	flat_store_dwordx2 v[28:29], v[26:27]
	s_cbranch_scc0 .LBB165_172
	s_branch .LBB165_169
.LBB165_173:                            ;   in Loop: Header=BB165_11 Depth=1
	s_or_b64 exec, exec, s[4:5]
.LBB165_174:                            ;   in Loop: Header=BB165_11 Depth=1
	v_readlane_b32 s4, v38, 4
	v_readlane_b32 s5, v38, 5
	s_andn2_b64 vcc, exec, s[4:5]
	s_cbranch_vccnz .LBB165_10
; %bb.175:                              ;   in Loop: Header=BB165_11 Depth=1
	s_mov_b64 s[12:13], exec
	v_readlane_b32 s4, v38, 6
	v_readlane_b32 s5, v38, 7
	s_and_b64 s[4:5], s[12:13], s[4:5]
	s_mov_b64 exec, s[4:5]
	s_cbranch_execz .LBB165_9
; %bb.176:                              ;   in Loop: Header=BB165_11 Depth=1
	s_lshl_b64 s[4:5], s[62:63], 3
	s_add_u32 s14, s46, s4
	s_addc_u32 s15, s47, s5
	s_add_i32 s4, s58, -1
	s_load_dword s5, s[50:51], 0xc
	s_cmp_eq_u32 s66, 0
	s_cselect_b32 s4, s4, 0
	s_cselect_b32 s8, s58, 0
	s_add_i32 s4, s4, s59
	s_cmp_gt_i32 s58, 0
	s_cselect_b64 s[30:31], -1, 0
	s_waitcnt lgkmcnt(0)
	s_and_b32 s9, s5, 0xffff
	s_ashr_i32 s5, s4, 31
	s_lshl_b64 s[24:25], s[68:69], 2
	s_lshl_b64 s[4:5], s[4:5], 2
	s_add_u32 s4, s24, s4
	s_addc_u32 s5, s25, s5
	v_readlane_b32 s18, v38, 10
	s_add_u32 s62, s18, s4
	v_readlane_b32 s4, v38, 12
	s_addc_u32 s63, s4, s5
	s_lshl_b32 s25, s66, 1
	s_add_i32 s66, s25, -2
	s_ashr_i32 s67, s66, 31
	s_lshl_b64 s[68:69], s[66:67], 2
	s_ashr_i32 s61, s60, 31
	s_or_b32 s68, s68, 4
	s_lshl_b64 s[4:5], s[60:61], 2
	s_sub_u32 s4, s4, s64
	s_subb_u32 s5, s5, s65
	s_add_u32 s21, s4, 20
	s_addc_u32 s24, s5, 0
	s_add_i32 s25, s25, s8
	s_lshl_b64 s[60:61], s[66:67], 3
	v_add_u32_e32 v2, s25, v23
	s_mul_i32 s25, s39, s9
	s_or_b32 s60, s60, 8
	v_add_u32_e32 v4, s8, v22
	s_not_b64 s[64:65], s[66:67]
	s_or_b32 s66, s66, 1
	s_mov_b64 s[70:71], 0
	v_mov_b32_e32 v26, v0
	s_branch .LBB165_178
.LBB165_177:                            ;   in Loop: Header=BB165_178 Depth=2
	v_lshlrev_b64 v[8:9], 3, v[8:9]
	v_mov_b32_e32 v3, s15
	v_add_co_u32_e32 v8, vcc, s14, v8
	v_addc_co_u32_e32 v9, vcc, v3, v9, vcc
	v_add_u32_e32 v26, s9, v26
	v_cmp_le_i32_e32 vcc, s43, v26
	v_add_u32_e32 v2, s25, v2
	s_or_b64 s[70:71], vcc, s[70:71]
	v_add_u32_e32 v4, s25, v4
	s_waitcnt vmcnt(0) lgkmcnt(0)
	flat_store_dwordx2 v[8:9], v[6:7]
	s_andn2_b64 exec, exec, s[70:71]
	s_cbranch_execz .LBB165_9
.LBB165_178:                            ;   Parent Loop BB165_11 Depth=1
                                        ; =>  This Loop Header: Depth=2
                                        ;       Child Loop BB165_180 Depth 3
	v_mul_lo_u32 v3, v26, s39
	v_add_u32_e32 v8, s8, v3
	v_ashrrev_i32_e32 v9, 31, v8
	v_lshlrev_b64 v[6:7], 3, v[8:9]
	v_mov_b32_e32 v3, s15
	v_add_co_u32_e32 v6, vcc, s14, v6
	v_addc_co_u32_e32 v7, vcc, v3, v7, vcc
	flat_load_dwordx2 v[6:7], v[6:7]
	s_andn2_b64 vcc, exec, s[30:31]
	s_cbranch_vccnz .LBB165_177
; %bb.179:                              ;   in Loop: Header=BB165_178 Depth=2
	v_ashrrev_i32_e32 v5, 31, v4
	v_ashrrev_i32_e32 v3, 31, v2
	v_lshlrev_b64 v[12:13], 3, v[4:5]
	v_mov_b32_e32 v5, s65
	v_add_co_u32_e32 v8, vcc, s64, v2
	v_lshlrev_b64 v[10:11], 3, v[2:3]
	v_addc_co_u32_e32 v9, vcc, v5, v3, vcc
	s_mov_b64 s[72:73], s[14:15]
	s_mov_b64 s[74:75], s[62:63]
	s_mov_b32 s48, s58
.LBB165_180:                            ;   Parent Loop BB165_11 Depth=1
                                        ;     Parent Loop BB165_178 Depth=2
                                        ; =>    This Inner Loop Header: Depth=3
	v_mov_b32_e32 v3, s73
	s_add_u32 s4, s74, s21
	v_add_co_u32_e32 v30, vcc, s72, v10
	v_addc_co_u32_e32 v31, vcc, v3, v11, vcc
	s_addc_u32 s5, s75, s24
	global_load_dword v28, v15, s[74:75] offset:16
	global_load_dword v32, v15, s[4:5]
	s_nop 0
	flat_load_dwordx2 v[30:31], v[30:31]
	s_add_i32 s48, s48, -1
	s_add_u32 s74, s74, s68
	s_addc_u32 s75, s75, s69
	v_mov_b32_e32 v5, s67
	v_add_co_u32_e32 v8, vcc, s66, v8
	v_add_co_u32_e64 v34, s[4:5], s72, v12
	s_add_u32 s72, s72, s60
	v_addc_co_u32_e64 v35, s[4:5], v3, v13, s[4:5]
	v_addc_co_u32_e32 v9, vcc, v9, v5, vcc
	s_addc_u32 s73, s73, s61
	s_cmp_eq_u32 s48, 0
	s_waitcnt vmcnt(0) lgkmcnt(0)
	v_mul_f32_e32 v3, v30, v32
	v_mul_f32_e32 v5, v31, v32
	v_pk_mul_f32 v[32:33], v[6:7], v[32:33] op_sel_hi:[1,0]
	v_fma_f32 v36, v6, v28, -v3
	v_fma_f32 v37, v7, v28, -v5
	v_pk_fma_f32 v[6:7], v[30:31], v[28:29], v[32:33] op_sel_hi:[1,0,1]
	flat_store_dwordx2 v[34:35], v[36:37]
	s_cbranch_scc0 .LBB165_180
	s_branch .LBB165_177
.LBB165_181:
	s_endpgm
	.section	.rodata,"a",@progbits
	.p2align	6, 0x0
	.amdhsa_kernel _ZN9rocsolver6v33100L13bdsqr_computeILi256E19rocblas_complex_numIfEfPS3_PKS4_S6_EEviiiiPT1_lS8_lT2_iilT3_iilT4_iiliS7_S7_S7_S7_PiS8_ilSC_
		.amdhsa_group_segment_fixed_size 1040
		.amdhsa_private_segment_fixed_size 0
		.amdhsa_kernarg_size 440
		.amdhsa_user_sgpr_count 6
		.amdhsa_user_sgpr_private_segment_buffer 1
		.amdhsa_user_sgpr_dispatch_ptr 0
		.amdhsa_user_sgpr_queue_ptr 0
		.amdhsa_user_sgpr_kernarg_segment_ptr 1
		.amdhsa_user_sgpr_dispatch_id 0
		.amdhsa_user_sgpr_flat_scratch_init 0
		.amdhsa_user_sgpr_kernarg_preload_length 0
		.amdhsa_user_sgpr_kernarg_preload_offset 0
		.amdhsa_user_sgpr_private_segment_size 0
		.amdhsa_uses_dynamic_stack 0
		.amdhsa_system_sgpr_private_segment_wavefront_offset 0
		.amdhsa_system_sgpr_workgroup_id_x 1
		.amdhsa_system_sgpr_workgroup_id_y 1
		.amdhsa_system_sgpr_workgroup_id_z 1
		.amdhsa_system_sgpr_workgroup_info 0
		.amdhsa_system_vgpr_workitem_id 0
		.amdhsa_next_free_vgpr 39
		.amdhsa_next_free_sgpr 96
		.amdhsa_accum_offset 40
		.amdhsa_reserve_vcc 1
		.amdhsa_reserve_flat_scratch 0
		.amdhsa_float_round_mode_32 0
		.amdhsa_float_round_mode_16_64 0
		.amdhsa_float_denorm_mode_32 3
		.amdhsa_float_denorm_mode_16_64 3
		.amdhsa_dx10_clamp 1
		.amdhsa_ieee_mode 1
		.amdhsa_fp16_overflow 0
		.amdhsa_tg_split 0
		.amdhsa_exception_fp_ieee_invalid_op 0
		.amdhsa_exception_fp_denorm_src 0
		.amdhsa_exception_fp_ieee_div_zero 0
		.amdhsa_exception_fp_ieee_overflow 0
		.amdhsa_exception_fp_ieee_underflow 0
		.amdhsa_exception_fp_ieee_inexact 0
		.amdhsa_exception_int_div_zero 0
	.end_amdhsa_kernel
	.section	.text._ZN9rocsolver6v33100L13bdsqr_computeILi256E19rocblas_complex_numIfEfPS3_PKS4_S6_EEviiiiPT1_lS8_lT2_iilT3_iilT4_iiliS7_S7_S7_S7_PiS8_ilSC_,"axG",@progbits,_ZN9rocsolver6v33100L13bdsqr_computeILi256E19rocblas_complex_numIfEfPS3_PKS4_S6_EEviiiiPT1_lS8_lT2_iilT3_iilT4_iiliS7_S7_S7_S7_PiS8_ilSC_,comdat
.Lfunc_end165:
	.size	_ZN9rocsolver6v33100L13bdsqr_computeILi256E19rocblas_complex_numIfEfPS3_PKS4_S6_EEviiiiPT1_lS8_lT2_iilT3_iilT4_iiliS7_S7_S7_S7_PiS8_ilSC_, .Lfunc_end165-_ZN9rocsolver6v33100L13bdsqr_computeILi256E19rocblas_complex_numIfEfPS3_PKS4_S6_EEviiiiPT1_lS8_lT2_iilT3_iilT4_iiliS7_S7_S7_S7_PiS8_ilSC_
                                        ; -- End function
	.section	.AMDGPU.csdata,"",@progbits
; Kernel info:
; codeLenInByte = 8724
; NumSgprs: 100
; NumVgprs: 39
; NumAgprs: 0
; TotalNumVgprs: 39
; ScratchSize: 0
; MemoryBound: 0
; FloatMode: 240
; IeeeMode: 1
; LDSByteSize: 1040 bytes/workgroup (compile time only)
; SGPRBlocks: 12
; VGPRBlocks: 4
; NumSGPRsForWavesPerEU: 100
; NumVGPRsForWavesPerEU: 39
; AccumOffset: 40
; Occupancy: 8
; WaveLimiterHint : 1
; COMPUTE_PGM_RSRC2:SCRATCH_EN: 0
; COMPUTE_PGM_RSRC2:USER_SGPR: 6
; COMPUTE_PGM_RSRC2:TRAP_HANDLER: 0
; COMPUTE_PGM_RSRC2:TGID_X_EN: 1
; COMPUTE_PGM_RSRC2:TGID_Y_EN: 1
; COMPUTE_PGM_RSRC2:TGID_Z_EN: 1
; COMPUTE_PGM_RSRC2:TIDIG_COMP_CNT: 0
; COMPUTE_PGM_RSRC3_GFX90A:ACCUM_OFFSET: 9
; COMPUTE_PGM_RSRC3_GFX90A:TG_SPLIT: 0
	.section	.text._ZN9rocsolver6v33100L12bdsqr_rotateI19rocblas_complex_numIfEfPS3_PKS4_S6_EEviiiiT1_iilT2_iilT3_iiliPiPT0_ilSA_,"axG",@progbits,_ZN9rocsolver6v33100L12bdsqr_rotateI19rocblas_complex_numIfEfPS3_PKS4_S6_EEviiiiT1_iilT2_iilT3_iiliPiPT0_ilSA_,comdat
	.globl	_ZN9rocsolver6v33100L12bdsqr_rotateI19rocblas_complex_numIfEfPS3_PKS4_S6_EEviiiiT1_iilT2_iilT3_iiliPiPT0_ilSA_ ; -- Begin function _ZN9rocsolver6v33100L12bdsqr_rotateI19rocblas_complex_numIfEfPS3_PKS4_S6_EEviiiiT1_iilT2_iilT3_iiliPiPT0_ilSA_
	.p2align	8
	.type	_ZN9rocsolver6v33100L12bdsqr_rotateI19rocblas_complex_numIfEfPS3_PKS4_S6_EEviiiiT1_iilT2_iilT3_iiliPiPT0_ilSA_,@function
_ZN9rocsolver6v33100L12bdsqr_rotateI19rocblas_complex_numIfEfPS3_PKS4_S6_EEviiiiT1_iilT2_iilT3_iiliPiPT0_ilSA_: ; @_ZN9rocsolver6v33100L12bdsqr_rotateI19rocblas_complex_numIfEfPS3_PKS4_S6_EEviiiiT1_iilT2_iilT3_iiliPiPT0_ilSA_
; %bb.0:
	s_load_dwordx4 s[0:3], s[4:5], 0x78
	s_ashr_i32 s9, s8, 31
	s_lshl_b64 s[10:11], s[8:9], 2
	s_waitcnt lgkmcnt(0)
	s_add_u32 s2, s2, s10
	s_addc_u32 s3, s3, s11
	s_load_dword s2, s[2:3], 0x8
	s_waitcnt lgkmcnt(0)
	s_cmp_lg_u32 s2, 0
	s_cbranch_scc1 .LBB166_25
; %bb.1:
	s_load_dwordx8 s[12:19], s[4:5], 0x10
	s_add_u32 s26, s4, 0x88
	s_addc_u32 s27, s5, 0
	s_mov_b64 s[2:3], 0
	s_mov_b64 s[10:11], 0
	s_waitcnt lgkmcnt(0)
	s_cmp_eq_u64 s[12:13], 0
	s_cbranch_scc1 .LBB166_3
; %bb.2:
	s_ashr_i32 s11, s14, 31
	s_mov_b32 s10, s14
	s_mul_i32 s14, s8, s17
	s_mul_hi_u32 s17, s8, s16
	s_add_i32 s14, s17, s14
	s_mul_i32 s17, s9, s16
	s_add_i32 s17, s14, s17
	s_mul_i32 s16, s8, s16
	s_lshl_b64 s[16:17], s[16:17], 3
	s_add_u32 s12, s12, s16
	s_addc_u32 s13, s13, s17
	s_lshl_b64 s[10:11], s[10:11], 3
	s_add_u32 s10, s12, s10
	s_addc_u32 s11, s13, s11
.LBB166_3:
	s_load_dwordx2 s[12:13], s[4:5], 0x30
	s_cmp_eq_u64 s[18:19], 0
	s_cbranch_scc1 .LBB166_5
; %bb.4:
	s_lshl_b64 s[2:3], s[8:9], 3
	s_add_u32 s2, s18, s2
	s_addc_u32 s3, s19, s3
	s_load_dwordx2 s[2:3], s[2:3], 0x0
	s_waitcnt lgkmcnt(0)
	s_ashr_i32 s17, s12, 31
	s_mov_b32 s16, s12
	s_lshl_b64 s[16:17], s[16:17], 3
	s_add_u32 s2, s2, s16
	s_addc_u32 s3, s3, s17
.LBB166_5:
	s_load_dwordx4 s[16:19], s[4:5], 0x40
	s_mov_b64 s[24:25], 0
	s_waitcnt lgkmcnt(0)
	s_cmp_eq_u64 s[16:17], 0
	s_cbranch_scc1 .LBB166_7
; %bb.6:
	s_lshl_b64 s[20:21], s[8:9], 3
	s_add_u32 s16, s16, s20
	s_addc_u32 s17, s17, s21
	s_load_dwordx2 s[16:17], s[16:17], 0x0
	s_ashr_i32 s21, s18, 31
	s_mov_b32 s20, s18
	s_lshl_b64 s[20:21], s[20:21], 3
	s_waitcnt lgkmcnt(0)
	s_add_u32 s24, s16, s20
	s_addc_u32 s25, s17, s21
.LBB166_7:
	s_load_dwordx4 s[20:23], s[4:5], 0x60
	s_mul_i32 s1, s8, s1
	s_mul_hi_u32 s12, s8, s0
	s_add_i32 s1, s12, s1
	s_mul_i32 s9, s9, s0
	s_add_i32 s1, s1, s9
	s_mul_i32 s0, s8, s0
	s_lshl_b64 s[16:17], s[0:1], 2
	s_waitcnt lgkmcnt(0)
	s_add_u32 s0, s22, s16
	s_addc_u32 s1, s23, s17
	s_load_dword s0, s[0:1], 0x8
	s_waitcnt lgkmcnt(0)
	v_cvt_i32_f32_e32 v6, s0
	v_cmp_ge_i32_e32 vcc, s7, v6
	s_cbranch_vccnz .LBB166_25
; %bb.8:
	s_load_dwordx4 s[28:31], s[4:5], 0x0
	s_load_dword s12, s[4:5], 0x58
	s_load_dword s9, s[4:5], 0x94
	;; [unrolled: 1-line block ×3, first 2 shown]
	v_mov_b32_e32 v10, 0
	s_waitcnt lgkmcnt(0)
	s_mul_i32 s0, s8, s28
	s_lshl_b32 s0, s0, 1
	s_ashr_i32 s1, s0, 31
	s_lshl_b64 s[0:1], s[0:1], 2
	s_add_u32 s40, s20, s0
	s_addc_u32 s41, s21, s1
	s_and_b32 s0, 0xffff, s9
	s_mul_i32 s6, s6, s0
	s_cmp_eq_u32 s29, 0
	v_add_u32_e32 v7, s6, v0
	s_cselect_b64 s[0:1], -1, 0
	s_cmp_lg_u64 s[10:11], 0
	s_cselect_b64 s[4:5], -1, 0
	v_cmp_gt_i32_e32 vcc, s29, v7
	s_and_b64 s[4:5], vcc, s[4:5]
	s_cmp_lg_u64 s[2:3], 0
	s_cselect_b64 s[8:9], -1, 0
	v_cmp_gt_i32_e32 vcc, s30, v7
	s_and_b64 s[8:9], vcc, s[8:9]
	s_cmp_lg_u64 s[24:25], 0
	s_load_dword s6, s[26:27], 0x4
	v_mul_lo_u32 v8, v7, s15
	s_cselect_b64 s[14:15], -1, 0
	v_cmp_gt_i32_e32 vcc, s31, v7
	s_and_b64 s[14:15], vcc, s[14:15]
	s_add_u32 s42, s22, s16
	v_mul_lo_u32 v9, v7, s19
	s_addc_u32 s43, s23, s17
	s_branch .LBB166_12
.LBB166_9:                              ;   in Loop: Header=BB166_12 Depth=1
	v_mov_b32_e32 v2, s27
	v_subrev_co_u32_e32 v3, vcc, s26, v4
	v_subb_co_u32_e32 v4, vcc, v5, v2, vcc
	v_mov_b32_e32 v5, s19
	v_add_co_u32_e32 v2, vcc, s18, v3
	v_addc_co_u32_e32 v3, vcc, v5, v4, vcc
	flat_store_dwordx2 v[2:3], v[0:1]
.LBB166_10:                             ;   in Loop: Header=BB166_12 Depth=1
	s_or_b64 exec, exec, s[28:29]
.LBB166_11:                             ;   in Loop: Header=BB166_12 Depth=1
	s_add_i32 s7, s6, s7
	v_cmp_lt_i32_e32 vcc, s7, v6
	s_cbranch_vccz .LBB166_25
.LBB166_12:                             ; =>This Loop Header: Depth=1
                                        ;     Child Loop BB166_16 Depth 2
                                        ;     Child Loop BB166_20 Depth 2
	;; [unrolled: 1-line block ×3, first 2 shown]
	s_lshl_b32 s16, s7, 2
	s_ashr_i32 s17, s16, 31
	s_lshl_b64 s[16:17], s[16:17], 2
	s_add_u32 s16, s40, s16
	s_addc_u32 s17, s41, s17
	s_load_dwordx2 s[18:19], s[16:17], 0x0
	s_load_dword s22, s[16:17], 0x8
	s_waitcnt lgkmcnt(0)
	s_cmp_le_i32 s22, s19
	s_cbranch_scc1 .LBB166_11
; %bb.13:                               ;   in Loop: Header=BB166_12 Depth=1
	s_load_dword s16, s[16:17], 0xc
	s_waitcnt lgkmcnt(0)
	s_cmp_lt_i32 s16, s12
	s_cselect_b64 s[16:17], -1, 0
	s_cmp_lg_u32 s18, 0
	s_cselect_b64 s[20:21], -1, 0
	s_and_b64 s[16:17], s[16:17], s[20:21]
	s_andn2_b64 vcc, exec, s[16:17]
	s_cbranch_vccnz .LBB166_11
; %bb.14:                               ;   in Loop: Header=BB166_12 Depth=1
	s_mul_i32 s20, s19, s33
	s_ashr_i32 s21, s20, 31
	s_cmp_gt_i32 s18, 0
	s_cselect_b64 s[26:27], -1, 0
	s_sub_i32 s16, s22, s19
	s_and_saveexec_b64 s[28:29], s[4:5]
	s_cbranch_execz .LBB166_18
; %bb.15:                               ;   in Loop: Header=BB166_12 Depth=1
	s_and_b64 s[30:31], s[26:27], exec
	s_cselect_b32 s17, s19, s22
	v_add_u32_e32 v4, s17, v8
	v_ashrrev_i32_e32 v5, 31, v4
	v_lshlrev_b64 v[2:3], 3, v[4:5]
	v_mov_b32_e32 v1, s11
	v_add_co_u32_e32 v0, vcc, s10, v2
	v_addc_co_u32_e32 v1, vcc, v1, v3, vcc
	flat_load_dwordx2 v[0:1], v[0:1]
	s_add_i32 s17, s16, -1
	s_and_b64 s[30:31], s[26:27], exec
	s_cselect_b32 s34, 0, s17
	s_ashr_i32 s37, s18, 31
	s_mov_b32 s36, s18
	s_ashr_i32 s35, s34, 31
	s_lshl_b64 s[30:31], s[36:37], 3
	s_lshl_b64 s[34:35], s[34:35], 2
	;; [unrolled: 1-line block ×3, first 2 shown]
	s_add_u32 s17, s34, s38
	s_addc_u32 s23, s35, s39
	s_add_u32 s34, s42, s17
	s_addc_u32 s35, s43, s23
	s_ashr_i32 s23, s22, 31
	s_ashr_i32 s45, s19, 31
	s_mov_b32 s44, s19
	s_lshl_b64 s[36:37], s[36:37], 2
	s_lshl_b64 s[38:39], s[22:23], 2
	;; [unrolled: 1-line block ×3, first 2 shown]
	s_sub_u32 s17, s38, s44
	v_add_u32_e32 v4, s18, v4
	s_subb_u32 s23, s39, s45
	v_ashrrev_i32_e32 v5, 31, v4
	s_add_u32 s17, s17, 20
	v_lshlrev_b64 v[4:5], 3, v[4:5]
	s_addc_u32 s23, s23, 0
	s_mov_b32 s44, s16
	s_mov_b64 s[38:39], s[10:11]
.LBB166_16:                             ;   Parent Loop BB166_12 Depth=1
                                        ; =>  This Inner Loop Header: Depth=2
	v_mov_b32_e32 v11, s39
	s_add_u32 s46, s34, s17
	v_add_co_u32_e32 v14, vcc, s38, v4
	v_addc_co_u32_e32 v15, vcc, v11, v5, vcc
	s_addc_u32 s47, s35, s23
	global_load_dword v12, v10, s[34:35] offset:16
	global_load_dword v16, v10, s[46:47]
	s_nop 0
	flat_load_dwordx2 v[14:15], v[14:15]
	v_add_co_u32_e32 v18, vcc, s38, v2
	s_add_u32 s38, s38, s30
	s_addc_u32 s39, s39, s31
	s_add_u32 s34, s34, s36
	v_addc_co_u32_e32 v19, vcc, v11, v3, vcc
	s_addc_u32 s35, s35, s37
	s_add_i32 s44, s44, -1
	s_cmp_eq_u32 s44, 0
	s_waitcnt vmcnt(0) lgkmcnt(0)
	v_mul_f32_e32 v11, v14, v16
	v_mul_f32_e32 v13, v15, v16
	v_pk_mul_f32 v[16:17], v[0:1], v[16:17] op_sel_hi:[1,0]
	v_fma_f32 v20, v0, v12, -v11
	v_fma_f32 v21, v1, v12, -v13
	v_pk_fma_f32 v[0:1], v[14:15], v[12:13], v[16:17] op_sel_hi:[1,0,1]
	flat_store_dwordx2 v[18:19], v[20:21]
	s_cbranch_scc0 .LBB166_16
; %bb.17:                               ;   in Loop: Header=BB166_12 Depth=1
	v_mov_b32_e32 v2, s31
	v_subrev_co_u32_e32 v3, vcc, s30, v4
	v_subb_co_u32_e32 v4, vcc, v5, v2, vcc
	v_mov_b32_e32 v5, s39
	v_add_co_u32_e32 v2, vcc, s38, v3
	v_addc_co_u32_e32 v3, vcc, v5, v4, vcc
	flat_store_dwordx2 v[2:3], v[0:1]
.LBB166_18:                             ;   in Loop: Header=BB166_12 Depth=1
	s_or_b64 exec, exec, s[28:29]
	s_lshl_b32 s17, s16, 1
	s_add_i32 s17, s17, 2
	s_and_b64 s[28:29], s[0:1], exec
	s_cselect_b32 s23, 0, s17
	s_and_saveexec_b64 s[28:29], s[8:9]
	s_cbranch_execz .LBB166_22
; %bb.19:                               ;   in Loop: Header=BB166_12 Depth=1
	s_and_b64 s[30:31], s[26:27], exec
	s_cselect_b32 s34, s19, s22
	s_mul_i32 s36, s34, s13
	v_add_u32_e32 v0, s36, v7
	v_ashrrev_i32_e32 v1, 31, v0
	v_lshlrev_b64 v[0:1], 3, v[0:1]
	v_mov_b32_e32 v2, s3
	v_add_co_u32_e32 v0, vcc, s2, v0
	v_addc_co_u32_e32 v1, vcc, v2, v1, vcc
	flat_load_dwordx2 v[0:1], v[0:1]
	s_add_i32 s17, s16, -1
	s_and_b64 s[30:31], s[26:27], exec
	s_cselect_b32 s17, 0, s17
	s_add_i32 s30, s23, s17
	s_add_i32 s34, s34, s18
	s_ashr_i32 s31, s30, 31
	s_ashr_i32 s17, s16, 31
	s_mul_i32 s37, s13, s34
	s_lshl_b64 s[34:35], s[20:21], 2
	s_lshl_b64 s[30:31], s[30:31], 2
	s_add_u32 s30, s34, s30
	s_addc_u32 s31, s35, s31
	s_add_u32 s30, s42, s30
	s_addc_u32 s31, s43, s31
	s_ashr_i32 s35, s18, 31
	s_mov_b32 s34, s18
	s_lshl_b64 s[34:35], s[34:35], 2
	s_lshl_b64 s[44:45], s[16:17], 2
	s_add_u32 s17, s44, 20
	s_mul_i32 s38, s13, s18
	s_addc_u32 s39, s45, 0
	s_mov_b32 s44, s16
	v_mov_b32_e32 v4, v7
.LBB166_20:                             ;   Parent Loop BB166_12 Depth=1
                                        ; =>  This Inner Loop Header: Depth=2
	v_add_u32_e32 v2, s37, v4
	v_ashrrev_i32_e32 v3, 31, v2
	v_lshlrev_b64 v[2:3], 3, v[2:3]
	v_mov_b32_e32 v5, s3
	s_add_u32 s46, s30, s17
	v_add_co_u32_e32 v2, vcc, s2, v2
	s_addc_u32 s47, s31, s39
	v_addc_co_u32_e32 v3, vcc, v5, v3, vcc
	global_load_dword v12, v10, s[30:31] offset:16
	global_load_dword v14, v10, s[46:47]
	flat_load_dwordx2 v[16:17], v[2:3]
	v_add_u32_e32 v18, s36, v4
	v_ashrrev_i32_e32 v19, 31, v18
	v_lshlrev_b64 v[18:19], 3, v[18:19]
	s_add_u32 s30, s30, s34
	v_add_co_u32_e32 v18, vcc, s2, v18
	v_addc_co_u32_e32 v19, vcc, v5, v19, vcc
	s_addc_u32 s31, s31, s35
	s_add_i32 s44, s44, -1
	v_add_u32_e32 v4, s38, v4
	s_cmp_eq_u32 s44, 0
	s_waitcnt vmcnt(0) lgkmcnt(0)
	v_pk_mul_f32 v[20:21], v[0:1], v[14:15] op_sel_hi:[1,0]
	v_mul_f32_e32 v5, v16, v14
	v_mul_f32_e32 v11, v17, v14
	v_fma_f32 v14, v0, v12, -v5
	v_fma_f32 v15, v1, v12, -v11
	v_pk_fma_f32 v[0:1], v[16:17], v[12:13], v[20:21] op_sel_hi:[1,0,1]
	flat_store_dwordx2 v[18:19], v[14:15]
	s_cbranch_scc0 .LBB166_20
; %bb.21:                               ;   in Loop: Header=BB166_12 Depth=1
	flat_store_dwordx2 v[2:3], v[0:1]
.LBB166_22:                             ;   in Loop: Header=BB166_12 Depth=1
	s_or_b64 exec, exec, s[28:29]
	s_and_saveexec_b64 s[28:29], s[14:15]
	s_cbranch_execz .LBB166_10
; %bb.23:                               ;   in Loop: Header=BB166_12 Depth=1
	s_and_b64 s[30:31], s[26:27], exec
	s_cselect_b32 s17, s19, s22
	v_add_u32_e32 v4, s17, v9
	v_ashrrev_i32_e32 v5, 31, v4
	v_lshlrev_b64 v[2:3], 3, v[4:5]
	v_mov_b32_e32 v1, s25
	v_add_co_u32_e32 v0, vcc, s24, v2
	v_addc_co_u32_e32 v1, vcc, v1, v3, vcc
	flat_load_dwordx2 v[0:1], v[0:1]
	s_add_i32 s17, s16, -1
	s_and_b64 s[26:27], s[26:27], exec
	s_cselect_b32 s17, 0, s17
	s_add_i32 s22, s23, s17
	s_ashr_i32 s23, s22, 31
	s_ashr_i32 s17, s16, 31
	s_lshl_b64 s[20:21], s[20:21], 2
	s_lshl_b64 s[22:23], s[22:23], 2
	s_add_u32 s19, s20, s22
	s_addc_u32 s21, s21, s23
	s_add_u32 s20, s42, s19
	s_addc_u32 s21, s43, s21
	s_ashr_i32 s19, s18, 31
	s_lshl_b64 s[22:23], s[18:19], 2
	s_lshl_b64 s[26:27], s[16:17], 2
	v_add_u32_e32 v4, s18, v4
	s_add_u32 s17, s26, 20
	v_ashrrev_i32_e32 v5, 31, v4
	s_addc_u32 s30, s27, 0
	v_lshlrev_b64 v[4:5], 3, v[4:5]
	s_lshl_b64 s[26:27], s[18:19], 3
	s_mov_b64 s[18:19], s[24:25]
.LBB166_24:                             ;   Parent Loop BB166_12 Depth=1
                                        ; =>  This Inner Loop Header: Depth=2
	s_add_u32 s34, s20, s17
	v_mov_b32_e32 v11, s19
	v_add_co_u32_e32 v14, vcc, s18, v4
	s_addc_u32 s35, s21, s30
	global_load_dword v12, v10, s[20:21] offset:16
	v_addc_co_u32_e32 v15, vcc, v11, v5, vcc
	global_load_dword v16, v10, s[34:35]
	flat_load_dwordx2 v[18:19], v[14:15]
	s_add_i32 s16, s16, -1
	s_add_u32 s20, s20, s22
	s_addc_u32 s21, s21, s23
	v_add_co_u32_e32 v14, vcc, s18, v2
	s_add_u32 s18, s18, s26
	v_addc_co_u32_e32 v15, vcc, v11, v3, vcc
	s_addc_u32 s19, s19, s27
	s_cmp_eq_u32 s16, 0
	s_waitcnt vmcnt(0) lgkmcnt(0)
	v_mul_f32_e32 v11, v18, v16
	v_mul_f32_e32 v13, v19, v16
	v_pk_mul_f32 v[16:17], v[0:1], v[16:17] op_sel_hi:[1,0]
	v_fma_f32 v20, v0, v12, -v11
	v_fma_f32 v21, v1, v12, -v13
	v_pk_fma_f32 v[0:1], v[18:19], v[12:13], v[16:17] op_sel_hi:[1,0,1]
	flat_store_dwordx2 v[14:15], v[20:21]
	s_cbranch_scc0 .LBB166_24
	s_branch .LBB166_9
.LBB166_25:
	s_endpgm
	.section	.rodata,"a",@progbits
	.p2align	6, 0x0
	.amdhsa_kernel _ZN9rocsolver6v33100L12bdsqr_rotateI19rocblas_complex_numIfEfPS3_PKS4_S6_EEviiiiT1_iilT2_iilT3_iiliPiPT0_ilSA_
		.amdhsa_group_segment_fixed_size 0
		.amdhsa_private_segment_fixed_size 0
		.amdhsa_kernarg_size 392
		.amdhsa_user_sgpr_count 6
		.amdhsa_user_sgpr_private_segment_buffer 1
		.amdhsa_user_sgpr_dispatch_ptr 0
		.amdhsa_user_sgpr_queue_ptr 0
		.amdhsa_user_sgpr_kernarg_segment_ptr 1
		.amdhsa_user_sgpr_dispatch_id 0
		.amdhsa_user_sgpr_flat_scratch_init 0
		.amdhsa_user_sgpr_kernarg_preload_length 0
		.amdhsa_user_sgpr_kernarg_preload_offset 0
		.amdhsa_user_sgpr_private_segment_size 0
		.amdhsa_uses_dynamic_stack 0
		.amdhsa_system_sgpr_private_segment_wavefront_offset 0
		.amdhsa_system_sgpr_workgroup_id_x 1
		.amdhsa_system_sgpr_workgroup_id_y 1
		.amdhsa_system_sgpr_workgroup_id_z 1
		.amdhsa_system_sgpr_workgroup_info 0
		.amdhsa_system_vgpr_workitem_id 0
		.amdhsa_next_free_vgpr 22
		.amdhsa_next_free_sgpr 48
		.amdhsa_accum_offset 24
		.amdhsa_reserve_vcc 1
		.amdhsa_reserve_flat_scratch 0
		.amdhsa_float_round_mode_32 0
		.amdhsa_float_round_mode_16_64 0
		.amdhsa_float_denorm_mode_32 3
		.amdhsa_float_denorm_mode_16_64 3
		.amdhsa_dx10_clamp 1
		.amdhsa_ieee_mode 1
		.amdhsa_fp16_overflow 0
		.amdhsa_tg_split 0
		.amdhsa_exception_fp_ieee_invalid_op 0
		.amdhsa_exception_fp_denorm_src 0
		.amdhsa_exception_fp_ieee_div_zero 0
		.amdhsa_exception_fp_ieee_overflow 0
		.amdhsa_exception_fp_ieee_underflow 0
		.amdhsa_exception_fp_ieee_inexact 0
		.amdhsa_exception_int_div_zero 0
	.end_amdhsa_kernel
	.section	.text._ZN9rocsolver6v33100L12bdsqr_rotateI19rocblas_complex_numIfEfPS3_PKS4_S6_EEviiiiT1_iilT2_iilT3_iiliPiPT0_ilSA_,"axG",@progbits,_ZN9rocsolver6v33100L12bdsqr_rotateI19rocblas_complex_numIfEfPS3_PKS4_S6_EEviiiiT1_iilT2_iilT3_iiliPiPT0_ilSA_,comdat
.Lfunc_end166:
	.size	_ZN9rocsolver6v33100L12bdsqr_rotateI19rocblas_complex_numIfEfPS3_PKS4_S6_EEviiiiT1_iilT2_iilT3_iiliPiPT0_ilSA_, .Lfunc_end166-_ZN9rocsolver6v33100L12bdsqr_rotateI19rocblas_complex_numIfEfPS3_PKS4_S6_EEviiiiT1_iilT2_iilT3_iiliPiPT0_ilSA_
                                        ; -- End function
	.section	.AMDGPU.csdata,"",@progbits
; Kernel info:
; codeLenInByte = 1632
; NumSgprs: 52
; NumVgprs: 22
; NumAgprs: 0
; TotalNumVgprs: 22
; ScratchSize: 0
; MemoryBound: 0
; FloatMode: 240
; IeeeMode: 1
; LDSByteSize: 0 bytes/workgroup (compile time only)
; SGPRBlocks: 6
; VGPRBlocks: 2
; NumSGPRsForWavesPerEU: 52
; NumVGPRsForWavesPerEU: 22
; AccumOffset: 24
; Occupancy: 8
; WaveLimiterHint : 1
; COMPUTE_PGM_RSRC2:SCRATCH_EN: 0
; COMPUTE_PGM_RSRC2:USER_SGPR: 6
; COMPUTE_PGM_RSRC2:TRAP_HANDLER: 0
; COMPUTE_PGM_RSRC2:TGID_X_EN: 1
; COMPUTE_PGM_RSRC2:TGID_Y_EN: 1
; COMPUTE_PGM_RSRC2:TGID_Z_EN: 1
; COMPUTE_PGM_RSRC2:TIDIG_COMP_CNT: 0
; COMPUTE_PGM_RSRC3_GFX90A:ACCUM_OFFSET: 5
; COMPUTE_PGM_RSRC3_GFX90A:TG_SPLIT: 0
	.section	.text._ZN9rocsolver6v33100L14bdsqr_finalizeI19rocblas_complex_numIfEfPS3_PKS4_S6_EEviiiiPT0_lS8_lT1_iilT2_iilT3_iilPiSC_SC_,"axG",@progbits,_ZN9rocsolver6v33100L14bdsqr_finalizeI19rocblas_complex_numIfEfPS3_PKS4_S6_EEviiiiPT0_lS8_lT1_iilT2_iilT3_iilPiSC_SC_,comdat
	.globl	_ZN9rocsolver6v33100L14bdsqr_finalizeI19rocblas_complex_numIfEfPS3_PKS4_S6_EEviiiiPT0_lS8_lT1_iilT2_iilT3_iilPiSC_SC_ ; -- Begin function _ZN9rocsolver6v33100L14bdsqr_finalizeI19rocblas_complex_numIfEfPS3_PKS4_S6_EEviiiiPT0_lS8_lT1_iilT2_iilT3_iilPiSC_SC_
	.p2align	8
	.type	_ZN9rocsolver6v33100L14bdsqr_finalizeI19rocblas_complex_numIfEfPS3_PKS4_S6_EEviiiiPT0_lS8_lT1_iilT2_iilT3_iilPiSC_SC_,@function
_ZN9rocsolver6v33100L14bdsqr_finalizeI19rocblas_complex_numIfEfPS3_PKS4_S6_EEviiiiPT0_lS8_lT1_iilT2_iilT3_iilPiSC_SC_: ; @_ZN9rocsolver6v33100L14bdsqr_finalizeI19rocblas_complex_numIfEfPS3_PKS4_S6_EEviiiiPT0_lS8_lT1_iilT2_iilT3_iilPiSC_SC_
; %bb.0:
	s_add_u32 flat_scratch_lo, s6, s10
	s_addc_u32 flat_scratch_hi, s7, 0
	s_load_dwordx2 s[6:7], s[4:5], 0x88
	s_add_u32 s0, s0, s10
	s_addc_u32 s1, s1, 0
	s_mov_b32 s12, s9
	s_ashr_i32 s13, s9, 31
	s_lshl_b64 s[26:27], s[12:13], 2
	s_waitcnt lgkmcnt(0)
	s_add_u32 s6, s6, s26
	s_addc_u32 s7, s7, s27
	s_load_dword s6, s[6:7], 0x8
	s_mov_b32 s32, 0
	s_waitcnt lgkmcnt(0)
	s_cmp_gt_i32 s6, 1
	s_cbranch_scc1 .LBB167_264
; %bb.1:
	s_load_dwordx2 s[6:7], s[4:5], 0x9c
	s_load_dwordx8 s[36:43], s[4:5], 0x30
	s_load_dwordx8 s[44:51], s[4:5], 0x10
	s_mov_b64 s[28:29], 0
	s_mov_b64 s[34:35], 0
	s_waitcnt lgkmcnt(0)
	s_and_b32 s7, s7, 0xffff
	s_cmp_eq_u64 s[36:37], 0
	s_cbranch_scc1 .LBB167_3
; %bb.2:
	s_mul_i32 s10, s12, s41
	s_mul_hi_u32 s11, s12, s40
	s_add_i32 s10, s11, s10
	s_mul_i32 s11, s13, s40
	s_add_i32 s11, s10, s11
	s_mul_i32 s10, s12, s40
	s_ashr_i32 s9, s38, 31
	s_lshl_b64 s[10:11], s[10:11], 3
	s_mov_b32 s8, s38
	s_add_u32 s10, s36, s10
	s_addc_u32 s11, s37, s11
	s_lshl_b64 s[8:9], s[8:9], 3
	s_add_u32 s34, s10, s8
	s_addc_u32 s35, s11, s9
.LBB167_3:
	s_load_dwordx2 s[36:37], s[4:5], 0x50
	s_cmp_eq_u64 s[42:43], 0
	s_cbranch_scc1 .LBB167_5
; %bb.4:
	s_lshl_b64 s[8:9], s[12:13], 3
	s_add_u32 s8, s42, s8
	s_addc_u32 s9, s43, s9
	s_load_dwordx2 s[8:9], s[8:9], 0x0
	s_waitcnt lgkmcnt(0)
	s_ashr_i32 s11, s36, 31
	s_mov_b32 s10, s36
	s_lshl_b64 s[10:11], s[10:11], 3
	s_add_u32 s28, s8, s10
	s_addc_u32 s29, s9, s11
.LBB167_5:
	s_load_dwordx4 s[56:59], s[4:5], 0x60
	s_load_dwordx4 s[40:43], s[4:5], 0x78
	s_mov_b64 s[60:61], 0
	s_waitcnt lgkmcnt(0)
	s_cmp_eq_u64 s[56:57], 0
	s_cbranch_scc1 .LBB167_7
; %bb.6:
	s_lshl_b64 s[8:9], s[12:13], 3
	s_add_u32 s8, s56, s8
	s_addc_u32 s9, s57, s9
	s_load_dwordx2 s[8:9], s[8:9], 0x0
	s_ashr_i32 s11, s58, 31
	s_mov_b32 s10, s58
	s_lshl_b64 s[10:11], s[10:11], 3
	s_waitcnt lgkmcnt(0)
	s_add_u32 s60, s8, s10
	s_addc_u32 s61, s9, s11
.LBB167_7:
	s_mul_i32 s8, s12, s47
	s_mul_hi_u32 s9, s12, s46
	s_add_i32 s8, s9, s8
	s_mul_i32 s9, s13, s46
	s_add_i32 s9, s8, s9
	s_mul_i32 s8, s12, s46
	s_lshl_b64 s[56:57], s[8:9], 2
	s_add_u32 s46, s44, s56
	s_load_dwordx4 s[52:55], s[4:5], 0x0
	s_addc_u32 s47, s45, s57
	s_lshr_b32 s8, s6, 16
	s_and_b32 s36, s6, 0xffff
	v_bfe_u32 v43, v0, 10, 10
	v_bfe_u32 v44, v0, 20, 10
	s_mul_i32 s58, s8, s36
	v_and_b32_e32 v42, 0x3ff, v0
	v_mul_u32_u24_e32 v1, s36, v43
	v_mul_lo_u32 v0, s58, v44
	v_add3_u32 v41, v1, v42, v0
	s_and_b32 s6, s7, 0xffff
	s_mul_i32 s58, s58, s6
	s_waitcnt lgkmcnt(0)
	s_cmp_lt_i32 s52, 1
	v_cmp_eq_u32_e64 s[6:7], 0, v41
	s_cbranch_scc1 .LBB167_22
; %bb.8:
	s_mul_i32 s8, s12, s51
	s_mul_hi_u32 s9, s12, s50
	s_add_i32 s8, s9, s8
	s_mul_i32 s9, s13, s50
	s_add_i32 s9, s8, s9
	s_mul_i32 s8, s12, s50
	s_lshl_b64 s[8:9], s[8:9], 2
	s_add_u32 s13, s48, s8
	s_addc_u32 s22, s49, s9
	s_add_i32 s23, s52, -1
	s_cmp_lg_u32 s53, 0
	s_cselect_b64 s[10:11], -1, 0
	s_mov_b32 s15, 0
	v_cndmask_b32_e64 v0, 0, 1, s[10:11]
	v_cmp_gt_u32_e64 s[8:9], s53, v41
	s_ashr_i32 s24, s39, 31
	s_mov_b32 s25, s39
	v_mov_b32_e32 v2, 0
	v_cmp_ne_u32_e64 s[10:11], 1, v0
	v_mov_b32_e32 v3, s35
	s_mov_b32 s14, s15
	s_mov_b32 s38, s15
	s_branch .LBB167_11
.LBB167_9:                              ;   in Loop: Header=BB167_11 Depth=1
	s_or_b64 exec, exec, s[18:19]
.LBB167_10:                             ;   in Loop: Header=BB167_11 Depth=1
	s_add_i32 s14, s14, 1
	s_cmp_eq_u32 s14, s52
	s_cbranch_scc1 .LBB167_23
.LBB167_11:                             ; =>This Loop Header: Depth=1
                                        ;     Child Loop BB167_18 Depth 2
	s_cmp_ge_i32 s14, s23
	s_cbranch_scc1 .LBB167_14
; %bb.12:                               ;   in Loop: Header=BB167_11 Depth=1
	s_lshl_b64 s[16:17], s[14:15], 2
	s_add_u32 s16, s13, s16
	s_addc_u32 s17, s22, s17
	global_load_dword v0, v2, s[16:17]
	s_waitcnt vmcnt(0)
	v_cmp_eq_f32_e32 vcc, 0, v0
	s_cbranch_vccnz .LBB167_14
; %bb.13:                               ;   in Loop: Header=BB167_11 Depth=1
	s_add_i32 s38, s38, 1
.LBB167_14:                             ;   in Loop: Header=BB167_11 Depth=1
	s_lshl_b64 s[16:17], s[14:15], 2
	s_add_u32 s16, s46, s16
	s_addc_u32 s17, s47, s17
	global_load_dword v0, v2, s[16:17]
	s_waitcnt vmcnt(0)
	v_cmp_ngt_f32_e32 vcc, 0, v0
	s_cbranch_vccnz .LBB167_10
; %bb.15:                               ;   in Loop: Header=BB167_11 Depth=1
	s_and_b64 vcc, exec, s[10:11]
	s_cbranch_vccnz .LBB167_20
; %bb.16:                               ;   in Loop: Header=BB167_11 Depth=1
	s_and_saveexec_b64 s[18:19], s[8:9]
	s_cbranch_execz .LBB167_19
; %bb.17:                               ;   in Loop: Header=BB167_11 Depth=1
	s_mov_b64 s[20:21], 0
	v_pk_mov_b32 v[0:1], s[14:15], s[14:15] op_sel:[0,1]
	v_mov_b32_e32 v4, v41
.LBB167_18:                             ;   Parent Loop BB167_11 Depth=1
                                        ; =>  This Inner Loop Header: Depth=2
	v_mad_u64_u32 v[6:7], s[30:31], v4, s25, v[0:1]
	v_mov_b32_e32 v8, v7
	v_mad_u64_u32 v[8:9], s[30:31], v4, s24, v[8:9]
	v_mov_b32_e32 v7, v8
	v_lshlrev_b64 v[6:7], 3, v[6:7]
	v_add_co_u32_e32 v6, vcc, s34, v6
	v_addc_co_u32_e32 v7, vcc, v3, v7, vcc
	flat_load_dwordx2 v[8:9], v[6:7]
	v_add_u32_e32 v4, s58, v4
	v_cmp_le_u32_e32 vcc, s53, v4
	s_or_b64 s[20:21], vcc, s[20:21]
	s_waitcnt vmcnt(0) lgkmcnt(0)
	v_pk_add_f32 v[8:9], v[8:9], 0 neg_lo:[1,1] neg_hi:[1,1]
	flat_store_dwordx2 v[6:7], v[8:9]
	s_andn2_b64 exec, exec, s[20:21]
	s_cbranch_execnz .LBB167_18
.LBB167_19:                             ;   in Loop: Header=BB167_11 Depth=1
	s_or_b64 exec, exec, s[18:19]
	s_waitcnt lgkmcnt(0)
	s_barrier
.LBB167_20:                             ;   in Loop: Header=BB167_11 Depth=1
	s_and_saveexec_b64 s[18:19], s[6:7]
	s_cbranch_execz .LBB167_9
; %bb.21:                               ;   in Loop: Header=BB167_11 Depth=1
	global_load_dword v0, v2, s[16:17]
	s_waitcnt vmcnt(0)
	v_xor_b32_e32 v0, 0x80000000, v0
	global_store_dword v2, v0, s[16:17]
	s_branch .LBB167_9
.LBB167_22:
	s_mov_b32 s38, 0
.LBB167_23:
	s_cmp_lt_i32 s38, 1
	s_mov_b64 s[6:7], -1
	s_cbranch_scc0 .LBB167_261
; %bb.24:
	s_mul_i32 s6, s12, s52
	s_lshl_b32 s6, s6, 1
	s_ashr_i32 s7, s6, 31
	s_lshl_b64 s[6:7], s[6:7], 2
	s_add_u32 s6, s42, s6
	s_addc_u32 s7, s43, s7
	s_cmp_lg_u64 s[42:43], 0
	s_cselect_b32 s49, s7, 0
	s_cselect_b32 s48, s6, 0
	s_mov_b64 s[62:63], 0
	s_cmp_lg_u64 s[48:49], 0
	s_barrier
	s_cbranch_scc0 .LBB167_40
; %bb.25:
	s_or_b32 s6, s54, s53
	s_or_b32 s8, s6, s55
	s_cmp_gt_i32 s52, 0
	s_cselect_b64 s[64:65], -1, 0
	s_cmp_lg_u64 s[44:45], 0
	s_cselect_b64 s[6:7], -1, 0
	s_and_b64 s[42:43], s[64:65], s[6:7]
	s_cmp_eq_u32 s8, 0
	s_cbranch_scc1 .LBB167_41
; %bb.26:
	s_mov_b64 s[66:67], -1
	s_mov_b64 s[50:51], 0
	s_and_b64 vcc, exec, s[42:43]
	s_cbranch_vccz .LBB167_119
; %bb.27:
	v_cmp_gt_u32_e32 vcc, s52, v41
	s_barrier
	s_and_saveexec_b64 s[6:7], vcc
	s_cbranch_execz .LBB167_30
; %bb.28:
	s_mov_b64 s[8:9], 0
	v_mov_b32_e32 v1, 0
	v_mov_b32_e32 v2, s49
	;; [unrolled: 1-line block ×3, first 2 shown]
.LBB167_29:                             ; =>This Inner Loop Header: Depth=1
	v_lshlrev_b64 v[4:5], 2, v[0:1]
	v_add_co_u32_e32 v4, vcc, s48, v4
	v_addc_co_u32_e32 v5, vcc, v2, v5, vcc
	global_store_dword v[4:5], v0, off
	v_add_u32_e32 v0, s58, v0
	v_cmp_le_u32_e32 vcc, s52, v0
	s_or_b64 s[8:9], vcc, s[8:9]
	s_andn2_b64 exec, exec, s[8:9]
	s_cbranch_execnz .LBB167_29
.LBB167_30:
	s_or_b64 exec, exec, s[6:7]
	v_or3_b32 v0, v43, v44, v42
	v_cmp_eq_u32_e32 vcc, 0, v0
	s_barrier
	s_and_saveexec_b64 s[6:7], vcc
	s_cbranch_execz .LBB167_103
; %bb.31:
	s_cmpk_lt_i32 s52, 0x2be
	s_cbranch_scc1 .LBB167_42
; %bb.32:
	s_add_u32 s8, s48, 0xaf4
	s_addc_u32 s9, s49, 0
	s_mov_b64 s[10:11], 0x2bd
	v_mov_b32_e32 v0, 0
	s_mov_b64 s[12:13], s[46:47]
	s_branch .LBB167_34
.LBB167_33:                             ;   in Loop: Header=BB167_34 Depth=1
	s_lshl_b64 s[14:15], s[14:15], 2
	s_add_u32 s16, s46, s14
	s_addc_u32 s17, s47, s15
	s_add_u32 s14, s48, s14
	s_addc_u32 s15, s49, s15
	s_add_u32 s10, s10, 1
	s_addc_u32 s11, s11, 0
	s_add_u32 s8, s8, 4
	s_addc_u32 s9, s9, 0
	s_add_u32 s12, s12, 4
	s_addc_u32 s13, s13, 0
	s_cmp_eq_u32 s10, s52
	global_store_dword v0, v2, s[16:17]
	global_store_dword v0, v1, s[14:15]
	s_cbranch_scc1 .LBB167_42
.LBB167_34:                             ; =>This Loop Header: Depth=1
                                        ;     Child Loop BB167_36 Depth 2
	s_lshl_b64 s[14:15], s[10:11], 2
	s_and_b32 s15, s15, 3
	s_add_u32 s16, s46, s14
	s_addc_u32 s17, s47, s15
	s_add_u32 s14, s48, s14
	s_addc_u32 s15, s49, s15
	global_load_dword v2, v0, s[16:17]
	global_load_dword v1, v0, s[14:15]
	s_mov_b64 s[16:17], s[12:13]
	s_mov_b64 s[18:19], s[8:9]
	;; [unrolled: 1-line block ×3, first 2 shown]
	s_branch .LBB167_36
.LBB167_35:                             ;   in Loop: Header=BB167_36 Depth=2
	global_load_dword v4, v0, s[18:19] offset:-2804
	s_add_u32 s30, s18, 0xfffff50c
	s_addc_u32 s31, s19, -1
	s_add_u32 s22, s14, 0xfffffd43
	s_addc_u32 s23, s15, -1
	global_store_dword v0, v3, s[16:17] offset:2804
	s_add_u32 s16, s16, 0xfffff50c
	s_addc_u32 s17, s17, -1
	s_cmpk_lt_i32 s14, 0x57a
	s_mov_b64 s[20:21], 0
	s_mov_b64 s[14:15], s[22:23]
	s_cselect_b64 s[24:25], -1, 0
	s_waitcnt vmcnt(1)
	global_store_dword v0, v4, s[18:19]
	s_mov_b64 s[18:19], s[30:31]
	s_andn2_b64 vcc, exec, s[24:25]
	s_cbranch_vccz .LBB167_38
.LBB167_36:                             ;   Parent Loop BB167_34 Depth=1
                                        ; =>  This Inner Loop Header: Depth=2
	global_load_dword v3, v0, s[16:17]
	s_mov_b64 s[20:21], -1
	s_waitcnt vmcnt(0)
	v_cmp_nlt_f32_e32 vcc, v3, v2
	s_cbranch_vccz .LBB167_35
; %bb.37:                               ;   in Loop: Header=BB167_34 Depth=1
                                        ; implicit-def: $sgpr18_sgpr19
                                        ; implicit-def: $sgpr16_sgpr17
                                        ; implicit-def: $sgpr22_sgpr23
.LBB167_38:                             ;   in Loop: Header=BB167_34 Depth=1
	s_andn2_b64 vcc, exec, s[20:21]
	s_cbranch_vccz .LBB167_33
; %bb.39:                               ;   in Loop: Header=BB167_34 Depth=1
	s_bfe_i64 s[14:15], s[22:23], 0x200000
	s_branch .LBB167_33
.LBB167_40:
	s_branch .LBB167_237
.LBB167_41:
	s_mov_b64 s[50:51], 0
	s_cbranch_execnz .LBB167_144
	s_branch .LBB167_232
.LBB167_42:
	s_cmpk_lt_i32 s52, 0x12e
	s_cbranch_scc1 .LBB167_51
; %bb.43:
	s_add_u32 s8, s48, 0x4b4
	s_addc_u32 s9, s49, 0
	s_mov_b64 s[10:11], 0x12d
	v_mov_b32_e32 v0, 0
	s_mov_b64 s[12:13], s[46:47]
	s_branch .LBB167_45
.LBB167_44:                             ;   in Loop: Header=BB167_45 Depth=1
	s_lshl_b64 s[14:15], s[14:15], 2
	s_add_u32 s16, s46, s14
	s_addc_u32 s17, s47, s15
	s_add_u32 s14, s48, s14
	s_addc_u32 s15, s49, s15
	;; [unrolled: 2-line block ×5, first 2 shown]
	s_cmp_lg_u32 s10, s52
	global_store_dword v0, v2, s[16:17]
	global_store_dword v0, v1, s[14:15]
	s_cbranch_scc0 .LBB167_51
.LBB167_45:                             ; =>This Loop Header: Depth=1
                                        ;     Child Loop BB167_47 Depth 2
	s_lshl_b64 s[14:15], s[10:11], 2
	s_and_b32 s15, s15, 3
	s_add_u32 s16, s46, s14
	s_addc_u32 s17, s47, s15
	s_add_u32 s14, s48, s14
	s_addc_u32 s15, s49, s15
	global_load_dword v2, v0, s[16:17]
	global_load_dword v1, v0, s[14:15]
	s_mov_b64 s[16:17], s[12:13]
	s_mov_b64 s[18:19], s[8:9]
	;; [unrolled: 1-line block ×3, first 2 shown]
	s_branch .LBB167_47
.LBB167_46:                             ;   in Loop: Header=BB167_47 Depth=2
	global_load_dword v4, v0, s[18:19] offset:-1204
	s_add_u32 s30, s18, 0xfffffb4c
	s_addc_u32 s31, s19, -1
	s_add_u32 s22, s14, 0xfffffed3
	s_addc_u32 s23, s15, -1
	global_store_dword v0, v3, s[16:17] offset:1204
	s_add_u32 s16, s16, 0xfffffb4c
	s_addc_u32 s17, s17, -1
	s_cmpk_lt_i32 s14, 0x25a
	s_mov_b64 s[20:21], 0
	s_mov_b64 s[14:15], s[22:23]
	s_cselect_b64 s[24:25], -1, 0
	s_waitcnt vmcnt(1)
	global_store_dword v0, v4, s[18:19]
	s_mov_b64 s[18:19], s[30:31]
	s_andn2_b64 vcc, exec, s[24:25]
	s_cbranch_vccz .LBB167_49
.LBB167_47:                             ;   Parent Loop BB167_45 Depth=1
                                        ; =>  This Inner Loop Header: Depth=2
	global_load_dword v3, v0, s[16:17]
	s_mov_b64 s[20:21], -1
	s_waitcnt vmcnt(0)
	v_cmp_nlt_f32_e32 vcc, v3, v2
	s_cbranch_vccz .LBB167_46
; %bb.48:                               ;   in Loop: Header=BB167_45 Depth=1
                                        ; implicit-def: $sgpr18_sgpr19
                                        ; implicit-def: $sgpr16_sgpr17
                                        ; implicit-def: $sgpr22_sgpr23
.LBB167_49:                             ;   in Loop: Header=BB167_45 Depth=1
	s_andn2_b64 vcc, exec, s[20:21]
	s_cbranch_vccz .LBB167_44
; %bb.50:                               ;   in Loop: Header=BB167_45 Depth=1
	s_bfe_i64 s[14:15], s[22:23], 0x200000
	s_branch .LBB167_44
.LBB167_51:
	s_cmpk_lt_i32 s52, 0x85
	s_cbranch_scc1 .LBB167_60
; %bb.52:
	s_add_u32 s8, s48, 0x210
	s_addc_u32 s9, s49, 0
	s_mov_b64 s[10:11], 0x84
	v_mov_b32_e32 v0, 0
	s_mov_b64 s[12:13], s[46:47]
	s_branch .LBB167_54
.LBB167_53:                             ;   in Loop: Header=BB167_54 Depth=1
	s_lshl_b64 s[14:15], s[14:15], 2
	s_add_u32 s16, s46, s14
	s_addc_u32 s17, s47, s15
	s_add_u32 s14, s48, s14
	s_addc_u32 s15, s49, s15
	;; [unrolled: 2-line block ×5, first 2 shown]
	s_cmp_lg_u32 s10, s52
	global_store_dword v0, v2, s[16:17]
	global_store_dword v0, v1, s[14:15]
	s_cbranch_scc0 .LBB167_60
.LBB167_54:                             ; =>This Loop Header: Depth=1
                                        ;     Child Loop BB167_56 Depth 2
	s_lshl_b64 s[14:15], s[10:11], 2
	s_and_b32 s15, s15, 3
	s_add_u32 s16, s46, s14
	s_addc_u32 s17, s47, s15
	s_add_u32 s14, s48, s14
	s_addc_u32 s15, s49, s15
	global_load_dword v2, v0, s[16:17]
	global_load_dword v1, v0, s[14:15]
	s_mov_b64 s[16:17], s[12:13]
	s_mov_b64 s[18:19], s[8:9]
	;; [unrolled: 1-line block ×3, first 2 shown]
	s_branch .LBB167_56
.LBB167_55:                             ;   in Loop: Header=BB167_56 Depth=2
	global_load_dword v4, v0, s[18:19] offset:-528
	s_add_u32 s30, s18, 0xfffffdf0
	s_addc_u32 s31, s19, -1
	s_add_u32 s22, s14, 0xffffff7c
	s_addc_u32 s23, s15, -1
	global_store_dword v0, v3, s[16:17] offset:528
	s_add_u32 s16, s16, 0xfffffdf0
	s_addc_u32 s17, s17, -1
	s_cmpk_lt_i32 s14, 0x108
	s_mov_b64 s[20:21], 0
	s_mov_b64 s[14:15], s[22:23]
	s_cselect_b64 s[24:25], -1, 0
	s_waitcnt vmcnt(1)
	global_store_dword v0, v4, s[18:19]
	s_mov_b64 s[18:19], s[30:31]
	s_andn2_b64 vcc, exec, s[24:25]
	s_cbranch_vccz .LBB167_58
.LBB167_56:                             ;   Parent Loop BB167_54 Depth=1
                                        ; =>  This Inner Loop Header: Depth=2
	global_load_dword v3, v0, s[16:17]
	s_mov_b64 s[20:21], -1
	s_waitcnt vmcnt(0)
	v_cmp_nlt_f32_e32 vcc, v3, v2
	s_cbranch_vccz .LBB167_55
; %bb.57:                               ;   in Loop: Header=BB167_54 Depth=1
                                        ; implicit-def: $sgpr18_sgpr19
                                        ; implicit-def: $sgpr16_sgpr17
                                        ; implicit-def: $sgpr22_sgpr23
.LBB167_58:                             ;   in Loop: Header=BB167_54 Depth=1
	s_andn2_b64 vcc, exec, s[20:21]
	s_cbranch_vccz .LBB167_53
; %bb.59:                               ;   in Loop: Header=BB167_54 Depth=1
	s_bfe_i64 s[14:15], s[22:23], 0x200000
	s_branch .LBB167_53
.LBB167_60:
	s_cmp_lt_i32 s52, 58
	s_cbranch_scc1 .LBB167_69
; %bb.61:
	s_add_u32 s8, s48, 0xe4
	s_addc_u32 s9, s49, 0
	s_mov_b64 s[10:11], 57
	v_mov_b32_e32 v0, 0
	s_mov_b64 s[12:13], s[46:47]
	s_branch .LBB167_63
.LBB167_62:                             ;   in Loop: Header=BB167_63 Depth=1
	s_lshl_b64 s[14:15], s[14:15], 2
	s_add_u32 s16, s46, s14
	s_addc_u32 s17, s47, s15
	s_add_u32 s14, s48, s14
	s_addc_u32 s15, s49, s15
	;; [unrolled: 2-line block ×5, first 2 shown]
	s_cmp_lg_u32 s10, s52
	global_store_dword v0, v2, s[16:17]
	global_store_dword v0, v1, s[14:15]
	s_cbranch_scc0 .LBB167_69
.LBB167_63:                             ; =>This Loop Header: Depth=1
                                        ;     Child Loop BB167_65 Depth 2
	s_lshl_b64 s[14:15], s[10:11], 2
	s_and_b32 s15, s15, 3
	s_add_u32 s16, s46, s14
	s_addc_u32 s17, s47, s15
	s_add_u32 s14, s48, s14
	s_addc_u32 s15, s49, s15
	global_load_dword v2, v0, s[16:17]
	global_load_dword v1, v0, s[14:15]
	s_mov_b64 s[16:17], s[12:13]
	s_mov_b64 s[18:19], s[8:9]
	;; [unrolled: 1-line block ×3, first 2 shown]
	s_branch .LBB167_65
.LBB167_64:                             ;   in Loop: Header=BB167_65 Depth=2
	global_load_dword v4, v0, s[18:19] offset:-228
	s_add_u32 s30, s18, 0xffffff1c
	s_addc_u32 s31, s19, -1
	s_add_u32 s22, s14, 0xffffffc7
	s_addc_u32 s23, s15, -1
	global_store_dword v0, v3, s[16:17] offset:228
	s_add_u32 s16, s16, 0xffffff1c
	s_addc_u32 s17, s17, -1
	s_cmpk_lt_i32 s14, 0x72
	s_mov_b64 s[20:21], 0
	s_mov_b64 s[14:15], s[22:23]
	s_cselect_b64 s[24:25], -1, 0
	s_waitcnt vmcnt(1)
	global_store_dword v0, v4, s[18:19]
	s_mov_b64 s[18:19], s[30:31]
	s_andn2_b64 vcc, exec, s[24:25]
	s_cbranch_vccz .LBB167_67
.LBB167_65:                             ;   Parent Loop BB167_63 Depth=1
                                        ; =>  This Inner Loop Header: Depth=2
	global_load_dword v3, v0, s[16:17]
	s_mov_b64 s[20:21], -1
	s_waitcnt vmcnt(0)
	v_cmp_nlt_f32_e32 vcc, v3, v2
	s_cbranch_vccz .LBB167_64
; %bb.66:                               ;   in Loop: Header=BB167_63 Depth=1
                                        ; implicit-def: $sgpr18_sgpr19
                                        ; implicit-def: $sgpr16_sgpr17
                                        ; implicit-def: $sgpr22_sgpr23
.LBB167_67:                             ;   in Loop: Header=BB167_63 Depth=1
	s_andn2_b64 vcc, exec, s[20:21]
	s_cbranch_vccz .LBB167_62
; %bb.68:                               ;   in Loop: Header=BB167_63 Depth=1
	s_bfe_i64 s[14:15], s[22:23], 0x200000
	s_branch .LBB167_62
.LBB167_69:
	s_cmp_lt_i32 s52, 24
	s_cbranch_scc1 .LBB167_78
; %bb.70:
	s_add_u32 s8, s48, 0x5c
	s_addc_u32 s9, s49, 0
	s_mov_b64 s[10:11], 23
	v_mov_b32_e32 v0, 0
	s_mov_b64 s[12:13], s[46:47]
	s_branch .LBB167_72
.LBB167_71:                             ;   in Loop: Header=BB167_72 Depth=1
	s_lshl_b64 s[14:15], s[14:15], 2
	s_add_u32 s16, s46, s14
	s_addc_u32 s17, s47, s15
	s_add_u32 s14, s48, s14
	s_addc_u32 s15, s49, s15
	;; [unrolled: 2-line block ×5, first 2 shown]
	s_cmp_lg_u32 s10, s52
	global_store_dword v0, v2, s[16:17]
	global_store_dword v0, v1, s[14:15]
	s_cbranch_scc0 .LBB167_78
.LBB167_72:                             ; =>This Loop Header: Depth=1
                                        ;     Child Loop BB167_74 Depth 2
	s_lshl_b64 s[14:15], s[10:11], 2
	s_and_b32 s15, s15, 3
	s_add_u32 s16, s46, s14
	s_addc_u32 s17, s47, s15
	s_add_u32 s14, s48, s14
	s_addc_u32 s15, s49, s15
	global_load_dword v2, v0, s[16:17]
	global_load_dword v1, v0, s[14:15]
	s_mov_b64 s[16:17], s[12:13]
	s_mov_b64 s[18:19], s[8:9]
	;; [unrolled: 1-line block ×3, first 2 shown]
	s_branch .LBB167_74
.LBB167_73:                             ;   in Loop: Header=BB167_74 Depth=2
	global_load_dword v4, v0, s[18:19] offset:-92
	s_add_u32 s30, s18, 0xffffffa4
	s_addc_u32 s31, s19, -1
	s_add_u32 s22, s14, 0xffffffe9
	s_addc_u32 s23, s15, -1
	global_store_dword v0, v3, s[16:17] offset:92
	s_add_u32 s16, s16, 0xffffffa4
	s_addc_u32 s17, s17, -1
	s_cmp_lt_i32 s14, 46
	s_mov_b64 s[20:21], 0
	s_mov_b64 s[14:15], s[22:23]
	s_cselect_b64 s[24:25], -1, 0
	s_waitcnt vmcnt(1)
	global_store_dword v0, v4, s[18:19]
	s_mov_b64 s[18:19], s[30:31]
	s_andn2_b64 vcc, exec, s[24:25]
	s_cbranch_vccz .LBB167_76
.LBB167_74:                             ;   Parent Loop BB167_72 Depth=1
                                        ; =>  This Inner Loop Header: Depth=2
	global_load_dword v3, v0, s[16:17]
	s_mov_b64 s[20:21], -1
	s_waitcnt vmcnt(0)
	v_cmp_nlt_f32_e32 vcc, v3, v2
	s_cbranch_vccz .LBB167_73
; %bb.75:                               ;   in Loop: Header=BB167_72 Depth=1
                                        ; implicit-def: $sgpr18_sgpr19
                                        ; implicit-def: $sgpr16_sgpr17
                                        ; implicit-def: $sgpr22_sgpr23
.LBB167_76:                             ;   in Loop: Header=BB167_72 Depth=1
	s_andn2_b64 vcc, exec, s[20:21]
	s_cbranch_vccz .LBB167_71
; %bb.77:                               ;   in Loop: Header=BB167_72 Depth=1
	s_bfe_i64 s[14:15], s[22:23], 0x200000
	s_branch .LBB167_71
.LBB167_78:
	s_cmp_lt_i32 s52, 11
	s_cbranch_scc1 .LBB167_87
; %bb.79:
	s_add_u32 s8, s48, 40
	s_addc_u32 s9, s49, 0
	s_mov_b64 s[10:11], 10
	v_mov_b32_e32 v0, 0
	s_mov_b64 s[12:13], s[46:47]
	s_branch .LBB167_81
.LBB167_80:                             ;   in Loop: Header=BB167_81 Depth=1
	s_lshl_b64 s[14:15], s[14:15], 2
	s_add_u32 s16, s46, s14
	s_addc_u32 s17, s47, s15
	s_add_u32 s14, s48, s14
	s_addc_u32 s15, s49, s15
	;; [unrolled: 2-line block ×5, first 2 shown]
	s_cmp_lg_u32 s10, s52
	global_store_dword v0, v2, s[16:17]
	global_store_dword v0, v1, s[14:15]
	s_cbranch_scc0 .LBB167_87
.LBB167_81:                             ; =>This Loop Header: Depth=1
                                        ;     Child Loop BB167_83 Depth 2
	s_lshl_b64 s[14:15], s[10:11], 2
	s_and_b32 s15, s15, 3
	s_add_u32 s16, s46, s14
	s_addc_u32 s17, s47, s15
	s_add_u32 s14, s48, s14
	s_addc_u32 s15, s49, s15
	global_load_dword v2, v0, s[16:17]
	global_load_dword v1, v0, s[14:15]
	s_mov_b64 s[16:17], s[12:13]
	s_mov_b64 s[18:19], s[8:9]
	;; [unrolled: 1-line block ×3, first 2 shown]
	s_branch .LBB167_83
.LBB167_82:                             ;   in Loop: Header=BB167_83 Depth=2
	global_load_dword v4, v0, s[18:19] offset:-40
	s_add_u32 s30, s18, 0xffffffd8
	s_addc_u32 s31, s19, -1
	s_add_u32 s22, s14, -10
	s_addc_u32 s23, s15, -1
	global_store_dword v0, v3, s[16:17] offset:40
	s_add_u32 s16, s16, 0xffffffd8
	s_addc_u32 s17, s17, -1
	s_cmp_lt_i32 s14, 20
	s_mov_b64 s[20:21], 0
	s_mov_b64 s[14:15], s[22:23]
	s_cselect_b64 s[24:25], -1, 0
	s_waitcnt vmcnt(1)
	global_store_dword v0, v4, s[18:19]
	s_mov_b64 s[18:19], s[30:31]
	s_andn2_b64 vcc, exec, s[24:25]
	s_cbranch_vccz .LBB167_85
.LBB167_83:                             ;   Parent Loop BB167_81 Depth=1
                                        ; =>  This Inner Loop Header: Depth=2
	global_load_dword v3, v0, s[16:17]
	s_mov_b64 s[20:21], -1
	s_waitcnt vmcnt(0)
	v_cmp_nlt_f32_e32 vcc, v3, v2
	s_cbranch_vccz .LBB167_82
; %bb.84:                               ;   in Loop: Header=BB167_81 Depth=1
                                        ; implicit-def: $sgpr18_sgpr19
                                        ; implicit-def: $sgpr16_sgpr17
                                        ; implicit-def: $sgpr22_sgpr23
.LBB167_85:                             ;   in Loop: Header=BB167_81 Depth=1
	s_andn2_b64 vcc, exec, s[20:21]
	s_cbranch_vccz .LBB167_80
; %bb.86:                               ;   in Loop: Header=BB167_81 Depth=1
	s_bfe_i64 s[14:15], s[22:23], 0x200000
	s_branch .LBB167_80
.LBB167_87:
	s_cmp_lt_i32 s52, 5
	s_cbranch_scc1 .LBB167_96
; %bb.88:
	s_add_u32 s8, s48, 16
	s_addc_u32 s9, s49, 0
	s_add_u32 s10, s56, s44
	s_addc_u32 s11, s57, s45
	s_add_u32 s10, s10, 16
	s_addc_u32 s11, s11, 0
	s_mov_b64 s[12:13], 4
	v_mov_b32_e32 v0, 0
	s_branch .LBB167_90
.LBB167_89:                             ;   in Loop: Header=BB167_90 Depth=1
	s_lshl_b64 s[14:15], s[14:15], 2
	s_add_u32 s16, s46, s14
	s_addc_u32 s17, s47, s15
	s_add_u32 s14, s48, s14
	s_addc_u32 s15, s49, s15
	;; [unrolled: 2-line block ×5, first 2 shown]
	s_cmp_lg_u32 s12, s52
	global_store_dword v0, v2, s[16:17]
	global_store_dword v0, v1, s[14:15]
	s_cbranch_scc0 .LBB167_96
.LBB167_90:                             ; =>This Loop Header: Depth=1
                                        ;     Child Loop BB167_92 Depth 2
	s_lshl_b64 s[14:15], s[12:13], 2
	s_and_b32 s15, s15, 3
	s_add_u32 s16, s46, s14
	s_addc_u32 s17, s47, s15
	s_add_u32 s14, s48, s14
	s_addc_u32 s15, s49, s15
	global_load_dword v2, v0, s[16:17]
	global_load_dword v1, v0, s[14:15]
	s_mov_b64 s[18:19], s[10:11]
	s_mov_b64 s[16:17], s[8:9]
	;; [unrolled: 1-line block ×3, first 2 shown]
	s_branch .LBB167_92
.LBB167_91:                             ;   in Loop: Header=BB167_92 Depth=2
	global_load_dword v4, v0, s[16:17] offset:-16
	s_mov_b64 s[20:21], 0
	global_store_dword v0, v3, s[18:19]
	s_add_u32 s18, s16, -16
	s_addc_u32 s19, s17, -1
	s_add_u32 s22, s14, -4
	s_addc_u32 s23, s15, -1
	s_cmp_lt_i32 s14, 8
	s_mov_b64 s[14:15], s[22:23]
	s_cselect_b64 s[30:31], -1, 0
	s_waitcnt vmcnt(1)
	global_store_dword v0, v4, s[16:17]
	s_mov_b64 s[16:17], s[18:19]
	s_mov_b64 s[18:19], s[24:25]
	s_andn2_b64 vcc, exec, s[30:31]
	s_cbranch_vccz .LBB167_94
.LBB167_92:                             ;   Parent Loop BB167_90 Depth=1
                                        ; =>  This Inner Loop Header: Depth=2
	global_load_dword v3, v0, s[18:19] offset:-16
	s_add_u32 s24, s18, -16
	s_addc_u32 s25, s19, -1
	s_mov_b64 s[20:21], -1
	s_waitcnt vmcnt(0)
	v_cmp_nlt_f32_e32 vcc, v3, v2
	s_cbranch_vccz .LBB167_91
; %bb.93:                               ;   in Loop: Header=BB167_90 Depth=1
                                        ; implicit-def: $sgpr16_sgpr17
                                        ; implicit-def: $sgpr18_sgpr19
                                        ; implicit-def: $sgpr22_sgpr23
.LBB167_94:                             ;   in Loop: Header=BB167_90 Depth=1
	s_andn2_b64 vcc, exec, s[20:21]
	s_cbranch_vccz .LBB167_89
; %bb.95:                               ;   in Loop: Header=BB167_90 Depth=1
	s_bfe_i64 s[14:15], s[22:23], 0x200000
	s_branch .LBB167_89
.LBB167_96:
	s_cmp_lt_i32 s52, 2
	s_cbranch_scc1 .LBB167_103
; %bb.97:
	s_add_u32 s8, s48, 4
	s_addc_u32 s9, s49, 0
	s_add_u32 s10, s56, s44
	s_addc_u32 s11, s57, s45
	;; [unrolled: 2-line block ×3, first 2 shown]
	s_mov_b64 s[12:13], 1
	v_mov_b32_e32 v0, 0
	s_branch .LBB167_99
.LBB167_98:                             ;   in Loop: Header=BB167_99 Depth=1
	s_lshl_b64 s[14:15], s[22:23], 2
	s_add_u32 s16, s46, s14
	s_addc_u32 s17, s47, s15
	s_add_u32 s14, s48, s14
	s_addc_u32 s15, s49, s15
	;; [unrolled: 2-line block ×5, first 2 shown]
	s_cmp_eq_u32 s12, s52
	global_store_dword v0, v2, s[16:17]
	global_store_dword v0, v1, s[14:15]
	s_cbranch_scc1 .LBB167_103
.LBB167_99:                             ; =>This Loop Header: Depth=1
                                        ;     Child Loop BB167_101 Depth 2
	s_lshl_b64 s[14:15], s[12:13], 2
	s_and_b32 s15, s15, 3
	s_add_u32 s16, s46, s14
	s_addc_u32 s17, s47, s15
	s_add_u32 s14, s48, s14
	s_addc_u32 s15, s49, s15
	global_load_dword v2, v0, s[16:17]
	global_load_dword v1, v0, s[14:15]
	s_mov_b64 s[18:19], s[10:11]
	s_mov_b64 s[14:15], s[8:9]
	;; [unrolled: 1-line block ×3, first 2 shown]
	s_branch .LBB167_101
.LBB167_100:                            ;   in Loop: Header=BB167_101 Depth=2
	global_load_dword v4, v0, s[14:15] offset:-4
	s_mov_b64 s[22:23], 0
	global_store_dword v0, v3, s[18:19]
	s_add_u32 s18, s14, -4
	s_addc_u32 s19, s15, -1
	s_add_u32 s24, s16, -1
	s_addc_u32 s25, s17, -1
	s_cmp_lt_i32 s16, 2
	s_mov_b64 s[16:17], s[24:25]
	s_cselect_b64 s[24:25], -1, 0
	s_waitcnt vmcnt(1)
	global_store_dword v0, v4, s[14:15]
	s_mov_b64 s[14:15], s[18:19]
	s_mov_b64 s[18:19], s[20:21]
	s_andn2_b64 vcc, exec, s[24:25]
	s_cbranch_vccz .LBB167_98
.LBB167_101:                            ;   Parent Loop BB167_99 Depth=1
                                        ; =>  This Inner Loop Header: Depth=2
	global_load_dword v3, v0, s[18:19] offset:-4
	s_add_u32 s20, s18, -4
	s_addc_u32 s21, s19, -1
	s_mov_b64 s[24:25], -1
	s_waitcnt vmcnt(0)
	v_cmp_nlt_f32_e32 vcc, v3, v2
	s_cbranch_vccz .LBB167_100
; %bb.102:                              ;   in Loop: Header=BB167_101 Depth=2
                                        ; implicit-def: $sgpr14_sgpr15
                                        ; implicit-def: $sgpr18_sgpr19
	s_mov_b64 s[22:23], s[16:17]
	s_andn2_b64 vcc, exec, s[24:25]
	s_cbranch_vccnz .LBB167_101
	s_branch .LBB167_98
.LBB167_103:
	s_or_b64 exec, exec, s[6:7]
	s_cmp_lt_i32 s52, 2
	s_cselect_b64 s[10:11], -1, 0
	s_mov_b64 s[66:67], 0
	s_and_b64 vcc, exec, s[10:11]
	s_barrier
	s_cbranch_vccnz .LBB167_111
; %bb.104:
	s_add_i32 s20, s52, -1
	v_cmp_gt_u32_e32 vcc, s20, v41
	s_mov_b64 s[10:11], -1
	s_mov_b64 s[6:7], 0
	s_and_saveexec_b64 s[8:9], vcc
	s_cbranch_execz .LBB167_113
; %bb.105:
	s_add_u32 s21, s46, 4
	s_addc_u32 s22, s47, 0
	s_mov_b64 s[10:11], 0
	v_mov_b32_e32 v1, 0
	v_mov_b32_e32 v2, s47
	;; [unrolled: 1-line block ×3, first 2 shown]
                                        ; implicit-def: $sgpr12_sgpr13
	s_branch .LBB167_107
.LBB167_106:                            ;   in Loop: Header=BB167_107 Depth=1
	s_or_b64 exec, exec, s[18:19]
	s_xor_b64 s[14:15], s[14:15], -1
	s_and_b64 s[6:7], exec, s[6:7]
	s_or_b64 s[10:11], s[6:7], s[10:11]
	s_andn2_b64 s[6:7], s[12:13], exec
	s_and_b64 s[12:13], s[14:15], exec
	s_or_b64 s[12:13], s[6:7], s[12:13]
	s_andn2_b64 exec, exec, s[10:11]
	s_cbranch_execz .LBB167_112
.LBB167_107:                            ; =>This Inner Loop Header: Depth=1
	v_lshlrev_b64 v[4:5], 2, v[0:1]
	v_add_co_u32_e32 v4, vcc, s46, v4
	v_addc_co_u32_e32 v5, vcc, v2, v5, vcc
	global_load_dword v3, v[4:5], off
                                        ; implicit-def: $sgpr14_sgpr15
	s_waitcnt vmcnt(0)
	v_cmp_u_f32_e64 s[16:17], v3, v3
	v_cmp_o_f32_e32 vcc, v3, v3
	s_and_saveexec_b64 s[18:19], vcc
	s_cbranch_execz .LBB167_109
; %bb.108:                              ;   in Loop: Header=BB167_107 Depth=1
	v_ashrrev_i32_e32 v5, 31, v0
	v_mov_b32_e32 v4, v0
	v_lshlrev_b64 v[4:5], 2, v[4:5]
	v_mov_b32_e32 v6, s22
	v_add_co_u32_e32 v4, vcc, s21, v4
	v_addc_co_u32_e32 v5, vcc, v6, v5, vcc
	global_load_dword v4, v[4:5], off
	s_andn2_b64 s[16:17], s[16:17], exec
	s_mov_b64 s[14:15], -1
	s_waitcnt vmcnt(0)
	v_cmp_u_f32_e32 vcc, v4, v4
	v_cmp_ge_f32_e64 s[6:7], v3, v4
	s_or_b64 s[6:7], vcc, s[6:7]
	s_and_b64 s[6:7], s[6:7], exec
	s_or_b64 s[16:17], s[16:17], s[6:7]
.LBB167_109:                            ;   in Loop: Header=BB167_107 Depth=1
	s_or_b64 exec, exec, s[18:19]
	s_mov_b64 s[6:7], -1
	s_and_saveexec_b64 s[18:19], s[16:17]
	s_cbranch_execz .LBB167_106
; %bb.110:                              ;   in Loop: Header=BB167_107 Depth=1
	v_add_u32_e32 v0, s58, v0
	v_cmp_le_u32_e32 vcc, s20, v0
	s_andn2_b64 s[14:15], s[14:15], exec
	s_orn2_b64 s[6:7], vcc, exec
	s_branch .LBB167_106
.LBB167_111:
	s_mov_b64 s[6:7], 0
	s_branch .LBB167_114
.LBB167_112:
	s_or_b64 exec, exec, s[10:11]
	s_mov_b64 s[6:7], exec
	s_orn2_b64 s[10:11], s[12:13], exec
.LBB167_113:
	s_or_b64 exec, exec, s[8:9]
.LBB167_114:
	s_and_saveexec_b64 s[8:9], s[10:11]
	s_cbranch_execz .LBB167_116
; %bb.115:
	s_mov_b64 s[66:67], exec
	s_barrier
	s_andn2_b64 s[6:7], s[6:7], exec
.LBB167_116:
	s_or_b64 exec, exec, s[8:9]
	s_mov_b64 s[62:63], 0
	s_and_saveexec_b64 s[68:69], s[6:7]
	s_cbranch_execz .LBB167_118
; %bb.117:
	s_add_u32 s8, s4, 0x90
	s_addc_u32 s9, s5, 0
	s_getpc_b64 s[6:7]
	s_add_u32 s6, s6, __PRETTY_FUNCTION__._ZN9rocsolver6v33100L21shell_sort_descendingIfiEEvT0_PT_PS2_@rel32@lo+4
	s_addc_u32 s7, s7, __PRETTY_FUNCTION__._ZN9rocsolver6v33100L21shell_sort_descendingIfiEEvT0_PT_PS2_@rel32@hi+12
	v_mov_b32_e32 v0, s6
	v_mov_b32_e32 v1, s7
	s_getpc_b64 s[10:11]
	s_add_u32 s10, s10, __assert_fail@rel32@lo+4
	s_addc_u32 s11, s11, __assert_fail@rel32@hi+12
	s_mov_b64 s[62:63], s[4:5]
	s_swappc_b64 s[30:31], s[10:11]
	s_mov_b64 s[4:5], s[62:63]
	s_mov_b64 s[62:63], exec
.LBB167_118:
	s_or_b64 exec, exec, s[68:69]
.LBB167_119:
	s_and_saveexec_b64 s[20:21], s[66:67]
	s_cbranch_execz .LBB167_143
; %bb.120:
	s_andn2_b64 vcc, exec, s[64:65]
	s_barrier
	s_cbranch_vccnz .LBB167_142
; %bb.121:
	s_cmp_gt_i32 s53, 0
	s_cselect_b64 s[14:15], -1, 0
	s_ashr_i32 s33, s39, 31
	s_cmp_gt_i32 s54, 0
	s_cselect_b64 s[16:17], -1, 0
	s_cmp_gt_i32 s55, 0
	v_cndmask_b32_e64 v0, 0, 1, s[14:15]
	s_cselect_b64 s[18:19], -1, 0
	v_cmp_ne_u32_e64 s[14:15], 1, v0
	v_cndmask_b32_e64 v0, 0, 1, s[16:17]
	s_mov_b32 s23, 0
	v_cmp_ne_u32_e64 s[16:17], 1, v0
	v_cndmask_b32_e64 v0, 0, 1, s[18:19]
	v_cmp_eq_u32_e64 s[6:7], 0, v41
	v_cmp_gt_u32_e64 s[8:9], s53, v41
	s_mov_b32 s72, s39
	v_cmp_gt_u32_e64 s[10:11], s54, v41
	s_mov_b32 s73, s37
	v_cmp_gt_u32_e64 s[12:13], s55, v41
	s_ashr_i32 s74, s59, 31
	s_mov_b32 s75, s59
	v_mov_b32_e32 v1, 0
	v_cmp_ne_u32_e64 s[18:19], 1, v0
	s_mov_b32 s22, s23
	s_branch .LBB167_123
.LBB167_122:                            ;   in Loop: Header=BB167_123 Depth=1
	s_add_i32 s22, s22, 1
	s_cmp_eq_u32 s22, s52
	s_cbranch_scc1 .LBB167_142
.LBB167_123:                            ; =>This Loop Header: Depth=1
                                        ;     Child Loop BB167_126 Depth 2
                                        ;       Child Loop BB167_131 Depth 3
                                        ;       Child Loop BB167_136 Depth 3
	;; [unrolled: 1-line block ×3, first 2 shown]
	s_lshl_b64 s[24:25], s[22:23], 2
	s_add_u32 s24, s48, s24
	s_addc_u32 s25, s49, s25
	global_load_dword v0, v1, s[24:25]
	s_waitcnt vmcnt(0)
	v_cmp_eq_u32_e32 vcc, s22, v0
	v_readfirstlane_b32 s30, v0
	s_cbranch_vccz .LBB167_126
	s_branch .LBB167_122
.LBB167_124:                            ;   in Loop: Header=BB167_126 Depth=2
	s_or_b64 exec, exec, s[64:65]
	s_waitcnt lgkmcnt(0)
	s_barrier
.LBB167_125:                            ;   in Loop: Header=BB167_126 Depth=2
	global_load_dword v0, v1, s[24:25]
	s_waitcnt vmcnt(0)
	v_cmp_ne_u32_e32 vcc, s22, v0
	v_readfirstlane_b32 s30, v0
	s_cbranch_vccz .LBB167_122
.LBB167_126:                            ;   Parent Loop BB167_123 Depth=1
                                        ; =>  This Loop Header: Depth=2
                                        ;       Child Loop BB167_131 Depth 3
                                        ;       Child Loop BB167_136 Depth 3
	;; [unrolled: 1-line block ×3, first 2 shown]
	s_ashr_i32 s31, s30, 31
	s_lshl_b64 s[50:51], s[30:31], 2
	s_add_u32 s64, s48, s50
	s_addc_u32 s65, s49, s51
	global_load_dword v0, v1, s[64:65]
	s_barrier
	s_waitcnt vmcnt(0)
	v_readfirstlane_b32 s50, v0
	s_and_saveexec_b64 s[66:67], s[6:7]
	s_cbranch_execz .LBB167_128
; %bb.127:                              ;   in Loop: Header=BB167_126 Depth=2
	v_mov_b32_e32 v0, s30
	global_store_dword v1, v0, s[64:65]
	v_mov_b32_e32 v0, s50
	global_store_dword v1, v0, s[24:25]
.LBB167_128:                            ;   in Loop: Header=BB167_126 Depth=2
	s_or_b64 exec, exec, s[66:67]
	s_and_b64 vcc, exec, s[14:15]
	s_barrier
	s_cbranch_vccnz .LBB167_133
; %bb.129:                              ;   in Loop: Header=BB167_126 Depth=2
	s_and_saveexec_b64 s[64:65], s[8:9]
	s_cbranch_execz .LBB167_132
; %bb.130:                              ;   in Loop: Header=BB167_126 Depth=2
	s_ashr_i32 s51, s50, 31
	s_mov_b64 s[66:67], 0
	s_lshl_b64 s[68:69], s[30:31], 3
	s_lshl_b64 s[70:71], s[50:51], 3
	v_mov_b32_e32 v0, v41
.LBB167_131:                            ;   Parent Loop BB167_123 Depth=1
                                        ;     Parent Loop BB167_126 Depth=2
                                        ; =>    This Inner Loop Header: Depth=3
	v_mad_u64_u32 v[2:3], s[76:77], v0, s72, 0
	v_mov_b32_e32 v4, v3
	v_mad_u64_u32 v[4:5], s[76:77], v0, s33, v[4:5]
	v_mov_b32_e32 v3, v4
	v_lshlrev_b64 v[2:3], 3, v[2:3]
	v_mov_b32_e32 v6, s35
	v_add_co_u32_e32 v4, vcc, s34, v2
	v_addc_co_u32_e32 v5, vcc, v6, v3, vcc
	v_mov_b32_e32 v7, s69
	v_add_co_u32_e32 v2, vcc, s68, v4
	v_addc_co_u32_e32 v3, vcc, v5, v7, vcc
	;; [unrolled: 3-line block ×3, first 2 shown]
	flat_load_dwordx2 v[6:7], v[4:5]
	flat_load_dwordx2 v[8:9], v[2:3]
	v_add_u32_e32 v0, s58, v0
	v_cmp_le_u32_e32 vcc, s53, v0
	s_or_b64 s[66:67], vcc, s[66:67]
	s_waitcnt vmcnt(0) lgkmcnt(0)
	flat_store_dwordx2 v[2:3], v[6:7]
	flat_store_dwordx2 v[4:5], v[8:9]
	s_andn2_b64 exec, exec, s[66:67]
	s_cbranch_execnz .LBB167_131
.LBB167_132:                            ;   in Loop: Header=BB167_126 Depth=2
	s_or_b64 exec, exec, s[64:65]
	s_waitcnt lgkmcnt(0)
	s_barrier
.LBB167_133:                            ;   in Loop: Header=BB167_126 Depth=2
	s_and_b64 vcc, exec, s[16:17]
	s_cbranch_vccnz .LBB167_138
; %bb.134:                              ;   in Loop: Header=BB167_126 Depth=2
	s_and_saveexec_b64 s[64:65], s[10:11]
	s_cbranch_execz .LBB167_137
; %bb.135:                              ;   in Loop: Header=BB167_126 Depth=2
	s_mul_hi_i32 s67, s30, s73
	s_mul_i32 s66, s30, s73
	s_lshl_b64 s[66:67], s[66:67], 3
	s_add_u32 s51, s28, s66
	s_addc_u32 s69, s29, s67
	s_mul_hi_i32 s67, s50, s73
	s_mul_i32 s66, s50, s73
	s_lshl_b64 s[66:67], s[66:67], 3
	s_add_u32 s68, s28, s66
	s_addc_u32 s70, s29, s67
	s_mov_b64 s[66:67], 0
	v_mov_b32_e32 v2, s69
	v_mov_b32_e32 v3, s70
	;; [unrolled: 1-line block ×3, first 2 shown]
.LBB167_136:                            ;   Parent Loop BB167_123 Depth=1
                                        ;     Parent Loop BB167_126 Depth=2
                                        ; =>    This Inner Loop Header: Depth=3
	v_lshlrev_b64 v[4:5], 3, v[0:1]
	v_add_co_u32_e32 v6, vcc, s51, v4
	v_addc_co_u32_e32 v7, vcc, v2, v5, vcc
	v_add_co_u32_e32 v4, vcc, s68, v4
	v_addc_co_u32_e32 v5, vcc, v3, v5, vcc
	flat_load_dwordx2 v[8:9], v[4:5]
	flat_load_dwordx2 v[10:11], v[6:7]
	v_add_u32_e32 v0, s58, v0
	v_cmp_le_u32_e32 vcc, s54, v0
	s_or_b64 s[66:67], vcc, s[66:67]
	s_waitcnt vmcnt(0) lgkmcnt(0)
	flat_store_dwordx2 v[6:7], v[8:9]
	flat_store_dwordx2 v[4:5], v[10:11]
	s_andn2_b64 exec, exec, s[66:67]
	s_cbranch_execnz .LBB167_136
.LBB167_137:                            ;   in Loop: Header=BB167_126 Depth=2
	s_or_b64 exec, exec, s[64:65]
	s_waitcnt lgkmcnt(0)
	s_barrier
.LBB167_138:                            ;   in Loop: Header=BB167_126 Depth=2
	s_and_b64 vcc, exec, s[18:19]
	s_cbranch_vccnz .LBB167_125
; %bb.139:                              ;   in Loop: Header=BB167_126 Depth=2
	s_and_saveexec_b64 s[64:65], s[12:13]
	s_cbranch_execz .LBB167_124
; %bb.140:                              ;   in Loop: Header=BB167_126 Depth=2
	s_ashr_i32 s51, s50, 31
	s_mov_b64 s[66:67], 0
	s_lshl_b64 s[50:51], s[50:51], 3
	v_mov_b32_e32 v0, v41
.LBB167_141:                            ;   Parent Loop BB167_123 Depth=1
                                        ;     Parent Loop BB167_126 Depth=2
                                        ; =>    This Inner Loop Header: Depth=3
	v_mad_u64_u32 v[2:3], s[68:69], v0, s75, 0
	v_mov_b32_e32 v4, v3
	v_mad_u64_u32 v[4:5], s[70:71], v0, s74, v[4:5]
	v_mov_b32_e32 v3, v4
	v_lshlrev_b64 v[2:3], 3, v[2:3]
	v_mov_b32_e32 v6, s61
	v_add_co_u32_e32 v4, vcc, s60, v2
	s_lshl_b64 s[68:69], s[30:31], 3
	v_addc_co_u32_e32 v5, vcc, v6, v3, vcc
	v_mov_b32_e32 v8, s69
	v_add_co_u32_e32 v2, vcc, s68, v4
	v_addc_co_u32_e32 v3, vcc, v5, v8, vcc
	v_mov_b32_e32 v7, s51
	v_add_co_u32_e32 v4, vcc, s50, v4
	v_addc_co_u32_e32 v5, vcc, v5, v7, vcc
	flat_load_dwordx2 v[6:7], v[4:5]
	flat_load_dwordx2 v[8:9], v[2:3]
	v_add_u32_e32 v0, s58, v0
	v_cmp_le_u32_e32 vcc, s55, v0
	s_or_b64 s[66:67], vcc, s[66:67]
	s_waitcnt vmcnt(0) lgkmcnt(0)
	flat_store_dwordx2 v[2:3], v[6:7]
	flat_store_dwordx2 v[4:5], v[8:9]
	s_andn2_b64 exec, exec, s[66:67]
	s_cbranch_execnz .LBB167_141
	s_branch .LBB167_124
.LBB167_142:
	s_mov_b64 s[50:51], exec
.LBB167_143:
	s_or_b64 exec, exec, s[20:21]
	s_branch .LBB167_232
.LBB167_144:
	s_mov_b64 s[50:51], -1
	s_and_b64 vcc, exec, s[42:43]
	s_cbranch_vccz .LBB167_232
; %bb.145:
	v_or3_b32 v0, v43, v44, v42
	v_cmp_eq_u32_e32 vcc, 0, v0
	s_barrier
	s_barrier
	s_and_saveexec_b64 s[6:7], vcc
	s_cbranch_execz .LBB167_216
; %bb.146:
	s_cmpk_lt_u32 s52, 0x2be
	s_cbranch_scc1 .LBB167_155
; %bb.147:
	s_mov_b64 s[8:9], 0x2bd
	s_mov_b32 s11, 0
	v_mov_b32_e32 v0, 0
	s_mov_b64 s[12:13], s[46:47]
	s_branch .LBB167_149
.LBB167_148:                            ;   in Loop: Header=BB167_149 Depth=1
	s_lshl_b64 s[14:15], s[14:15], 2
	s_add_u32 s14, s46, s14
	s_addc_u32 s15, s47, s15
	s_add_u32 s8, s8, 1
	s_addc_u32 s9, s9, 0
	;; [unrolled: 2-line block ×3, first 2 shown]
	s_cmp_eq_u32 s8, s52
	global_store_dword v0, v1, s[14:15]
	s_cbranch_scc1 .LBB167_155
.LBB167_149:                            ; =>This Loop Header: Depth=1
                                        ;     Child Loop BB167_151 Depth 2
	s_mov_b32 s10, s8
	s_lshl_b64 s[14:15], s[10:11], 2
	s_add_u32 s14, s46, s14
	s_addc_u32 s15, s47, s15
	global_load_dword v1, v0, s[14:15]
	s_mov_b64 s[16:17], s[12:13]
	s_mov_b64 s[14:15], s[8:9]
	s_branch .LBB167_151
.LBB167_150:                            ;   in Loop: Header=BB167_151 Depth=2
	s_add_u32 s18, s14, 0xfffffd43
	s_addc_u32 s19, s15, -1
	global_store_dword v0, v2, s[16:17] offset:2804
	s_add_u32 s16, s16, 0xfffff50c
	s_addc_u32 s17, s17, -1
	s_cmpk_lt_i32 s14, 0x57a
	s_mov_b64 s[20:21], 0
	s_cselect_b64 s[22:23], -1, 0
	s_mov_b64 s[14:15], s[18:19]
	s_andn2_b64 vcc, exec, s[22:23]
	s_cbranch_vccz .LBB167_153
.LBB167_151:                            ;   Parent Loop BB167_149 Depth=1
                                        ; =>  This Inner Loop Header: Depth=2
	global_load_dword v2, v0, s[16:17]
	s_mov_b64 s[20:21], -1
	s_waitcnt vmcnt(0)
	v_cmp_nlt_f32_e32 vcc, v2, v1
	s_cbranch_vccz .LBB167_150
; %bb.152:                              ;   in Loop: Header=BB167_149 Depth=1
                                        ; implicit-def: $sgpr16_sgpr17
                                        ; implicit-def: $sgpr18_sgpr19
.LBB167_153:                            ;   in Loop: Header=BB167_149 Depth=1
	s_andn2_b64 vcc, exec, s[20:21]
	s_cbranch_vccz .LBB167_148
; %bb.154:                              ;   in Loop: Header=BB167_149 Depth=1
	s_bfe_i64 s[14:15], s[18:19], 0x200000
	s_branch .LBB167_148
.LBB167_155:
	s_cmpk_lt_i32 s52, 0x12e
	s_cbranch_scc1 .LBB167_164
; %bb.156:
	s_mov_b64 s[8:9], 0x12d
	s_mov_b32 s11, 0
	v_mov_b32_e32 v0, 0
	s_mov_b64 s[12:13], s[46:47]
	s_branch .LBB167_158
.LBB167_157:                            ;   in Loop: Header=BB167_158 Depth=1
	s_lshl_b64 s[14:15], s[14:15], 2
	s_add_u32 s14, s46, s14
	s_addc_u32 s15, s47, s15
	s_add_u32 s8, s8, 1
	s_addc_u32 s9, s9, 0
	;; [unrolled: 2-line block ×3, first 2 shown]
	s_cmp_lg_u32 s8, s52
	global_store_dword v0, v1, s[14:15]
	s_cbranch_scc0 .LBB167_164
.LBB167_158:                            ; =>This Loop Header: Depth=1
                                        ;     Child Loop BB167_160 Depth 2
	s_mov_b32 s10, s8
	s_lshl_b64 s[14:15], s[10:11], 2
	s_add_u32 s14, s46, s14
	s_addc_u32 s15, s47, s15
	global_load_dword v1, v0, s[14:15]
	s_mov_b64 s[16:17], s[12:13]
	s_mov_b64 s[14:15], s[8:9]
	s_branch .LBB167_160
.LBB167_159:                            ;   in Loop: Header=BB167_160 Depth=2
	s_add_u32 s18, s14, 0xfffffed3
	s_addc_u32 s19, s15, -1
	global_store_dword v0, v2, s[16:17] offset:1204
	s_add_u32 s16, s16, 0xfffffb4c
	s_addc_u32 s17, s17, -1
	s_cmpk_lt_i32 s14, 0x25a
	s_mov_b64 s[20:21], 0
	s_cselect_b64 s[22:23], -1, 0
	s_mov_b64 s[14:15], s[18:19]
	s_andn2_b64 vcc, exec, s[22:23]
	s_cbranch_vccz .LBB167_162
.LBB167_160:                            ;   Parent Loop BB167_158 Depth=1
                                        ; =>  This Inner Loop Header: Depth=2
	global_load_dword v2, v0, s[16:17]
	s_mov_b64 s[20:21], -1
	s_waitcnt vmcnt(0)
	v_cmp_nlt_f32_e32 vcc, v2, v1
	s_cbranch_vccz .LBB167_159
; %bb.161:                              ;   in Loop: Header=BB167_158 Depth=1
                                        ; implicit-def: $sgpr16_sgpr17
                                        ; implicit-def: $sgpr18_sgpr19
.LBB167_162:                            ;   in Loop: Header=BB167_158 Depth=1
	s_andn2_b64 vcc, exec, s[20:21]
	s_cbranch_vccz .LBB167_157
; %bb.163:                              ;   in Loop: Header=BB167_158 Depth=1
	s_bfe_i64 s[14:15], s[18:19], 0x200000
	s_branch .LBB167_157
.LBB167_164:
	s_cmpk_lt_i32 s52, 0x85
	s_cbranch_scc1 .LBB167_173
; %bb.165:
	s_mov_b64 s[8:9], 0x84
	s_mov_b32 s11, 0
	v_mov_b32_e32 v0, 0
	s_mov_b64 s[12:13], s[46:47]
	s_branch .LBB167_167
.LBB167_166:                            ;   in Loop: Header=BB167_167 Depth=1
	s_lshl_b64 s[14:15], s[14:15], 2
	s_add_u32 s14, s46, s14
	s_addc_u32 s15, s47, s15
	s_add_u32 s8, s8, 1
	s_addc_u32 s9, s9, 0
	;; [unrolled: 2-line block ×3, first 2 shown]
	s_cmp_lg_u32 s8, s52
	global_store_dword v0, v1, s[14:15]
	s_cbranch_scc0 .LBB167_173
.LBB167_167:                            ; =>This Loop Header: Depth=1
                                        ;     Child Loop BB167_169 Depth 2
	s_mov_b32 s10, s8
	s_lshl_b64 s[14:15], s[10:11], 2
	s_add_u32 s14, s46, s14
	s_addc_u32 s15, s47, s15
	global_load_dword v1, v0, s[14:15]
	s_mov_b64 s[16:17], s[12:13]
	s_mov_b64 s[14:15], s[8:9]
	s_branch .LBB167_169
.LBB167_168:                            ;   in Loop: Header=BB167_169 Depth=2
	s_add_u32 s18, s14, 0xffffff7c
	s_addc_u32 s19, s15, -1
	global_store_dword v0, v2, s[16:17] offset:528
	s_add_u32 s16, s16, 0xfffffdf0
	s_addc_u32 s17, s17, -1
	s_cmpk_lt_i32 s14, 0x108
	s_mov_b64 s[20:21], 0
	s_cselect_b64 s[22:23], -1, 0
	s_mov_b64 s[14:15], s[18:19]
	s_andn2_b64 vcc, exec, s[22:23]
	s_cbranch_vccz .LBB167_171
.LBB167_169:                            ;   Parent Loop BB167_167 Depth=1
                                        ; =>  This Inner Loop Header: Depth=2
	global_load_dword v2, v0, s[16:17]
	s_mov_b64 s[20:21], -1
	s_waitcnt vmcnt(0)
	v_cmp_nlt_f32_e32 vcc, v2, v1
	s_cbranch_vccz .LBB167_168
; %bb.170:                              ;   in Loop: Header=BB167_167 Depth=1
                                        ; implicit-def: $sgpr16_sgpr17
                                        ; implicit-def: $sgpr18_sgpr19
.LBB167_171:                            ;   in Loop: Header=BB167_167 Depth=1
	s_andn2_b64 vcc, exec, s[20:21]
	s_cbranch_vccz .LBB167_166
; %bb.172:                              ;   in Loop: Header=BB167_167 Depth=1
	s_bfe_i64 s[14:15], s[18:19], 0x200000
	s_branch .LBB167_166
.LBB167_173:
	s_cmp_lt_i32 s52, 58
	s_cbranch_scc1 .LBB167_182
; %bb.174:
	s_mov_b64 s[8:9], 57
	s_mov_b32 s11, 0
	v_mov_b32_e32 v0, 0
	s_mov_b64 s[12:13], s[46:47]
	s_branch .LBB167_176
.LBB167_175:                            ;   in Loop: Header=BB167_176 Depth=1
	s_lshl_b64 s[14:15], s[14:15], 2
	s_add_u32 s14, s46, s14
	s_addc_u32 s15, s47, s15
	s_add_u32 s8, s8, 1
	s_addc_u32 s9, s9, 0
	;; [unrolled: 2-line block ×3, first 2 shown]
	s_cmp_lg_u32 s8, s52
	global_store_dword v0, v1, s[14:15]
	s_cbranch_scc0 .LBB167_182
.LBB167_176:                            ; =>This Loop Header: Depth=1
                                        ;     Child Loop BB167_178 Depth 2
	s_mov_b32 s10, s8
	s_lshl_b64 s[14:15], s[10:11], 2
	s_add_u32 s14, s46, s14
	s_addc_u32 s15, s47, s15
	global_load_dword v1, v0, s[14:15]
	s_mov_b64 s[16:17], s[12:13]
	s_mov_b64 s[14:15], s[8:9]
	s_branch .LBB167_178
.LBB167_177:                            ;   in Loop: Header=BB167_178 Depth=2
	s_add_u32 s18, s14, 0xffffffc7
	s_addc_u32 s19, s15, -1
	global_store_dword v0, v2, s[16:17] offset:228
	s_add_u32 s16, s16, 0xffffff1c
	s_addc_u32 s17, s17, -1
	s_cmpk_lt_i32 s14, 0x72
	s_mov_b64 s[20:21], 0
	s_cselect_b64 s[22:23], -1, 0
	s_mov_b64 s[14:15], s[18:19]
	s_andn2_b64 vcc, exec, s[22:23]
	s_cbranch_vccz .LBB167_180
.LBB167_178:                            ;   Parent Loop BB167_176 Depth=1
                                        ; =>  This Inner Loop Header: Depth=2
	global_load_dword v2, v0, s[16:17]
	s_mov_b64 s[20:21], -1
	s_waitcnt vmcnt(0)
	v_cmp_nlt_f32_e32 vcc, v2, v1
	s_cbranch_vccz .LBB167_177
; %bb.179:                              ;   in Loop: Header=BB167_176 Depth=1
                                        ; implicit-def: $sgpr16_sgpr17
                                        ; implicit-def: $sgpr18_sgpr19
.LBB167_180:                            ;   in Loop: Header=BB167_176 Depth=1
	s_andn2_b64 vcc, exec, s[20:21]
	s_cbranch_vccz .LBB167_175
; %bb.181:                              ;   in Loop: Header=BB167_176 Depth=1
	s_bfe_i64 s[14:15], s[18:19], 0x200000
	s_branch .LBB167_175
.LBB167_182:
	s_cmp_lt_i32 s52, 24
	s_cbranch_scc1 .LBB167_191
; %bb.183:
	s_mov_b64 s[8:9], 23
	s_mov_b32 s11, 0
	v_mov_b32_e32 v0, 0
	s_mov_b64 s[12:13], s[46:47]
	s_branch .LBB167_185
.LBB167_184:                            ;   in Loop: Header=BB167_185 Depth=1
	s_lshl_b64 s[14:15], s[14:15], 2
	s_add_u32 s14, s46, s14
	s_addc_u32 s15, s47, s15
	s_add_u32 s8, s8, 1
	s_addc_u32 s9, s9, 0
	s_add_u32 s12, s12, 4
	s_addc_u32 s13, s13, 0
	s_cmp_lg_u32 s8, s52
	global_store_dword v0, v1, s[14:15]
	s_cbranch_scc0 .LBB167_191
.LBB167_185:                            ; =>This Loop Header: Depth=1
                                        ;     Child Loop BB167_187 Depth 2
	s_mov_b32 s10, s8
	s_lshl_b64 s[14:15], s[10:11], 2
	s_add_u32 s14, s46, s14
	s_addc_u32 s15, s47, s15
	global_load_dword v1, v0, s[14:15]
	s_mov_b64 s[16:17], s[12:13]
	s_mov_b64 s[14:15], s[8:9]
	s_branch .LBB167_187
.LBB167_186:                            ;   in Loop: Header=BB167_187 Depth=2
	s_add_u32 s18, s14, 0xffffffe9
	s_addc_u32 s19, s15, -1
	global_store_dword v0, v2, s[16:17] offset:92
	s_add_u32 s16, s16, 0xffffffa4
	s_addc_u32 s17, s17, -1
	s_cmp_lt_i32 s14, 46
	s_mov_b64 s[20:21], 0
	s_cselect_b64 s[22:23], -1, 0
	s_mov_b64 s[14:15], s[18:19]
	s_andn2_b64 vcc, exec, s[22:23]
	s_cbranch_vccz .LBB167_189
.LBB167_187:                            ;   Parent Loop BB167_185 Depth=1
                                        ; =>  This Inner Loop Header: Depth=2
	global_load_dword v2, v0, s[16:17]
	s_mov_b64 s[20:21], -1
	s_waitcnt vmcnt(0)
	v_cmp_nlt_f32_e32 vcc, v2, v1
	s_cbranch_vccz .LBB167_186
; %bb.188:                              ;   in Loop: Header=BB167_185 Depth=1
                                        ; implicit-def: $sgpr16_sgpr17
                                        ; implicit-def: $sgpr18_sgpr19
.LBB167_189:                            ;   in Loop: Header=BB167_185 Depth=1
	s_andn2_b64 vcc, exec, s[20:21]
	s_cbranch_vccz .LBB167_184
; %bb.190:                              ;   in Loop: Header=BB167_185 Depth=1
	s_bfe_i64 s[14:15], s[18:19], 0x200000
	s_branch .LBB167_184
.LBB167_191:
	s_cmp_lt_i32 s52, 11
	s_cbranch_scc1 .LBB167_200
; %bb.192:
	s_mov_b64 s[8:9], 10
	s_mov_b32 s11, 0
	v_mov_b32_e32 v0, 0
	s_mov_b64 s[12:13], s[46:47]
	s_branch .LBB167_194
.LBB167_193:                            ;   in Loop: Header=BB167_194 Depth=1
	s_lshl_b64 s[14:15], s[14:15], 2
	s_add_u32 s14, s46, s14
	s_addc_u32 s15, s47, s15
	s_add_u32 s8, s8, 1
	s_addc_u32 s9, s9, 0
	;; [unrolled: 2-line block ×3, first 2 shown]
	s_cmp_lg_u32 s8, s52
	global_store_dword v0, v1, s[14:15]
	s_cbranch_scc0 .LBB167_200
.LBB167_194:                            ; =>This Loop Header: Depth=1
                                        ;     Child Loop BB167_196 Depth 2
	s_mov_b32 s10, s8
	s_lshl_b64 s[14:15], s[10:11], 2
	s_add_u32 s14, s46, s14
	s_addc_u32 s15, s47, s15
	global_load_dword v1, v0, s[14:15]
	s_mov_b64 s[16:17], s[12:13]
	s_mov_b64 s[14:15], s[8:9]
	s_branch .LBB167_196
.LBB167_195:                            ;   in Loop: Header=BB167_196 Depth=2
	s_add_u32 s18, s14, -10
	s_addc_u32 s19, s15, -1
	global_store_dword v0, v2, s[16:17] offset:40
	s_add_u32 s16, s16, 0xffffffd8
	s_addc_u32 s17, s17, -1
	s_cmp_lt_i32 s14, 20
	s_mov_b64 s[20:21], 0
	s_cselect_b64 s[22:23], -1, 0
	s_mov_b64 s[14:15], s[18:19]
	s_andn2_b64 vcc, exec, s[22:23]
	s_cbranch_vccz .LBB167_198
.LBB167_196:                            ;   Parent Loop BB167_194 Depth=1
                                        ; =>  This Inner Loop Header: Depth=2
	global_load_dword v2, v0, s[16:17]
	s_mov_b64 s[20:21], -1
	s_waitcnt vmcnt(0)
	v_cmp_nlt_f32_e32 vcc, v2, v1
	s_cbranch_vccz .LBB167_195
; %bb.197:                              ;   in Loop: Header=BB167_194 Depth=1
                                        ; implicit-def: $sgpr16_sgpr17
                                        ; implicit-def: $sgpr18_sgpr19
.LBB167_198:                            ;   in Loop: Header=BB167_194 Depth=1
	s_andn2_b64 vcc, exec, s[20:21]
	s_cbranch_vccz .LBB167_193
; %bb.199:                              ;   in Loop: Header=BB167_194 Depth=1
	s_bfe_i64 s[14:15], s[18:19], 0x200000
	s_branch .LBB167_193
.LBB167_200:
	s_cmp_lt_i32 s52, 5
	s_cbranch_scc1 .LBB167_209
; %bb.201:
	s_add_u32 s8, s56, s44
	s_addc_u32 s9, s57, s45
	s_add_u32 s8, s8, 16
	s_addc_u32 s9, s9, 0
	s_mov_b64 s[10:11], 4
	s_mov_b32 s13, 0
	v_mov_b32_e32 v0, 0
	s_branch .LBB167_203
.LBB167_202:                            ;   in Loop: Header=BB167_203 Depth=1
	s_lshl_b64 s[14:15], s[14:15], 2
	s_add_u32 s14, s46, s14
	s_addc_u32 s15, s47, s15
	s_add_u32 s10, s10, 1
	s_addc_u32 s11, s11, 0
	;; [unrolled: 2-line block ×3, first 2 shown]
	s_cmp_lg_u32 s10, s52
	global_store_dword v0, v1, s[14:15]
	s_cbranch_scc0 .LBB167_209
.LBB167_203:                            ; =>This Loop Header: Depth=1
                                        ;     Child Loop BB167_205 Depth 2
	s_mov_b32 s12, s10
	s_lshl_b64 s[14:15], s[12:13], 2
	s_add_u32 s14, s46, s14
	s_addc_u32 s15, s47, s15
	global_load_dword v1, v0, s[14:15]
	s_mov_b64 s[16:17], s[8:9]
	s_mov_b64 s[14:15], s[10:11]
	s_branch .LBB167_205
.LBB167_204:                            ;   in Loop: Header=BB167_205 Depth=2
	s_add_u32 s20, s14, -4
	s_addc_u32 s21, s15, -1
	s_cmp_lt_i32 s14, 8
	global_store_dword v0, v2, s[16:17]
	s_mov_b64 s[18:19], 0
	s_cselect_b64 s[24:25], -1, 0
	s_mov_b64 s[14:15], s[20:21]
	s_mov_b64 s[16:17], s[22:23]
	s_andn2_b64 vcc, exec, s[24:25]
	s_cbranch_vccz .LBB167_207
.LBB167_205:                            ;   Parent Loop BB167_203 Depth=1
                                        ; =>  This Inner Loop Header: Depth=2
	global_load_dword v2, v0, s[16:17] offset:-16
	s_add_u32 s22, s16, -16
	s_addc_u32 s23, s17, -1
	s_mov_b64 s[18:19], -1
	s_waitcnt vmcnt(0)
	v_cmp_nlt_f32_e32 vcc, v2, v1
	s_cbranch_vccz .LBB167_204
; %bb.206:                              ;   in Loop: Header=BB167_203 Depth=1
                                        ; implicit-def: $sgpr16_sgpr17
                                        ; implicit-def: $sgpr20_sgpr21
.LBB167_207:                            ;   in Loop: Header=BB167_203 Depth=1
	s_andn2_b64 vcc, exec, s[18:19]
	s_cbranch_vccz .LBB167_202
; %bb.208:                              ;   in Loop: Header=BB167_203 Depth=1
	s_bfe_i64 s[14:15], s[20:21], 0x200000
	s_branch .LBB167_202
.LBB167_209:
	s_cmp_lt_i32 s52, 2
	s_cbranch_scc1 .LBB167_216
; %bb.210:
	s_add_u32 s8, s56, s44
	s_addc_u32 s9, s57, s45
	s_add_u32 s8, s8, 4
	s_addc_u32 s9, s9, 0
	s_mov_b64 s[10:11], 1
	s_mov_b32 s13, 0
	v_mov_b32_e32 v0, 0
	s_branch .LBB167_212
.LBB167_211:                            ;   in Loop: Header=BB167_212 Depth=1
	s_lshl_b64 s[14:15], s[18:19], 2
	s_add_u32 s14, s46, s14
	s_addc_u32 s15, s47, s15
	s_add_u32 s10, s10, 1
	s_addc_u32 s11, s11, 0
	;; [unrolled: 2-line block ×3, first 2 shown]
	s_cmp_eq_u32 s10, s52
	global_store_dword v0, v1, s[14:15]
	s_cbranch_scc1 .LBB167_216
.LBB167_212:                            ; =>This Loop Header: Depth=1
                                        ;     Child Loop BB167_214 Depth 2
	s_mov_b32 s12, s10
	s_lshl_b64 s[14:15], s[12:13], 2
	s_add_u32 s14, s46, s14
	s_addc_u32 s15, s47, s15
	global_load_dword v1, v0, s[14:15]
	s_mov_b64 s[16:17], s[8:9]
	s_mov_b64 s[14:15], s[10:11]
	s_branch .LBB167_214
.LBB167_213:                            ;   in Loop: Header=BB167_214 Depth=2
	global_store_dword v0, v2, s[16:17]
	s_add_u32 s16, s14, -1
	s_addc_u32 s17, s15, -1
	s_cmp_lt_i32 s14, 2
	s_mov_b64 s[18:19], 0
	s_cselect_b64 s[20:21], -1, 0
	s_mov_b64 s[14:15], s[16:17]
	s_mov_b64 s[16:17], s[22:23]
	s_andn2_b64 vcc, exec, s[20:21]
	s_cbranch_vccz .LBB167_211
.LBB167_214:                            ;   Parent Loop BB167_212 Depth=1
                                        ; =>  This Inner Loop Header: Depth=2
	global_load_dword v2, v0, s[16:17] offset:-4
	s_add_u32 s22, s16, -4
	s_addc_u32 s23, s17, -1
	s_mov_b64 s[20:21], -1
	s_waitcnt vmcnt(0)
	v_cmp_nlt_f32_e32 vcc, v2, v1
	s_cbranch_vccz .LBB167_213
; %bb.215:                              ;   in Loop: Header=BB167_214 Depth=2
                                        ; implicit-def: $sgpr16_sgpr17
	s_mov_b64 s[18:19], s[14:15]
	s_andn2_b64 vcc, exec, s[20:21]
	s_cbranch_vccnz .LBB167_214
	s_branch .LBB167_211
.LBB167_216:
	s_or_b64 exec, exec, s[6:7]
	s_cmp_lt_i32 s52, 2
	s_cselect_b64 s[10:11], -1, 0
	s_mov_b64 s[50:51], 0
	s_and_b64 vcc, exec, s[10:11]
	s_barrier
	s_cbranch_vccnz .LBB167_224
; %bb.217:
	s_add_i32 s20, s52, -1
	v_cmp_gt_u32_e32 vcc, s20, v41
	s_mov_b64 s[10:11], -1
	s_mov_b64 s[6:7], 0
	s_and_saveexec_b64 s[8:9], vcc
	s_cbranch_execz .LBB167_226
; %bb.218:
	s_add_u32 s21, s46, 4
	s_addc_u32 s22, s47, 0
	s_mov_b64 s[10:11], 0
	v_mov_b32_e32 v1, 0
	v_mov_b32_e32 v2, s47
	;; [unrolled: 1-line block ×3, first 2 shown]
                                        ; implicit-def: $sgpr12_sgpr13
	s_branch .LBB167_220
.LBB167_219:                            ;   in Loop: Header=BB167_220 Depth=1
	s_or_b64 exec, exec, s[18:19]
	s_xor_b64 s[14:15], s[14:15], -1
	s_and_b64 s[6:7], exec, s[6:7]
	s_or_b64 s[10:11], s[6:7], s[10:11]
	s_andn2_b64 s[6:7], s[12:13], exec
	s_and_b64 s[12:13], s[14:15], exec
	s_or_b64 s[12:13], s[6:7], s[12:13]
	s_andn2_b64 exec, exec, s[10:11]
	s_cbranch_execz .LBB167_225
.LBB167_220:                            ; =>This Inner Loop Header: Depth=1
	v_lshlrev_b64 v[4:5], 2, v[0:1]
	v_add_co_u32_e32 v4, vcc, s46, v4
	v_addc_co_u32_e32 v5, vcc, v2, v5, vcc
	global_load_dword v3, v[4:5], off
                                        ; implicit-def: $sgpr14_sgpr15
	s_waitcnt vmcnt(0)
	v_cmp_u_f32_e64 s[16:17], v3, v3
	v_cmp_o_f32_e32 vcc, v3, v3
	s_and_saveexec_b64 s[18:19], vcc
	s_cbranch_execz .LBB167_222
; %bb.221:                              ;   in Loop: Header=BB167_220 Depth=1
	v_ashrrev_i32_e32 v5, 31, v0
	v_mov_b32_e32 v4, v0
	v_lshlrev_b64 v[4:5], 2, v[4:5]
	v_mov_b32_e32 v6, s22
	v_add_co_u32_e32 v4, vcc, s21, v4
	v_addc_co_u32_e32 v5, vcc, v6, v5, vcc
	global_load_dword v4, v[4:5], off
	s_andn2_b64 s[16:17], s[16:17], exec
	s_mov_b64 s[14:15], -1
	s_waitcnt vmcnt(0)
	v_cmp_u_f32_e32 vcc, v4, v4
	v_cmp_ge_f32_e64 s[6:7], v3, v4
	s_or_b64 s[6:7], vcc, s[6:7]
	s_and_b64 s[6:7], s[6:7], exec
	s_or_b64 s[16:17], s[16:17], s[6:7]
.LBB167_222:                            ;   in Loop: Header=BB167_220 Depth=1
	s_or_b64 exec, exec, s[18:19]
	s_mov_b64 s[6:7], -1
	s_and_saveexec_b64 s[18:19], s[16:17]
	s_cbranch_execz .LBB167_219
; %bb.223:                              ;   in Loop: Header=BB167_220 Depth=1
	v_add_u32_e32 v0, s58, v0
	v_cmp_le_u32_e32 vcc, s20, v0
	s_andn2_b64 s[14:15], s[14:15], exec
	s_orn2_b64 s[6:7], vcc, exec
	s_branch .LBB167_219
.LBB167_224:
	s_mov_b64 s[6:7], 0
	s_branch .LBB167_227
.LBB167_225:
	s_or_b64 exec, exec, s[10:11]
	s_mov_b64 s[6:7], exec
	s_orn2_b64 s[10:11], s[12:13], exec
.LBB167_226:
	s_or_b64 exec, exec, s[8:9]
.LBB167_227:
	s_and_saveexec_b64 s[8:9], s[10:11]
	s_cbranch_execz .LBB167_229
; %bb.228:
	s_mov_b64 s[50:51], exec
	s_barrier
	s_andn2_b64 s[6:7], s[6:7], exec
.LBB167_229:
	s_or_b64 exec, exec, s[8:9]
	s_and_saveexec_b64 s[42:43], s[6:7]
	s_cbranch_execz .LBB167_231
; %bb.230:
	s_add_u32 s8, s4, 0x90
	s_addc_u32 s9, s5, 0
	s_getpc_b64 s[4:5]
	s_add_u32 s4, s4, __PRETTY_FUNCTION__._ZN9rocsolver6v33100L21shell_sort_descendingIfiEEvT0_PT_PS2_@rel32@lo+4
	s_addc_u32 s5, s5, __PRETTY_FUNCTION__._ZN9rocsolver6v33100L21shell_sort_descendingIfiEEvT0_PT_PS2_@rel32@hi+12
	v_mov_b32_e32 v0, s4
	v_mov_b32_e32 v1, s5
	s_getpc_b64 s[6:7]
	s_add_u32 s6, s6, __assert_fail@rel32@lo+4
	s_addc_u32 s7, s7, __assert_fail@rel32@hi+12
	s_swappc_b64 s[30:31], s[6:7]
	s_or_b64 s[62:63], s[62:63], exec
.LBB167_231:
	s_or_b64 exec, exec, s[42:43]
.LBB167_232:
	s_and_saveexec_b64 s[4:5], s[62:63]
; %bb.233:
	; divergent unreachable
; %bb.234:
	s_or_b64 exec, exec, s[4:5]
	s_and_saveexec_b64 s[4:5], s[50:51]
	s_cbranch_execz .LBB167_236
; %bb.235:
	s_barrier
.LBB167_236:
	s_or_b64 exec, exec, s[4:5]
	s_cbranch_execnz .LBB167_260
.LBB167_237:
	s_cmp_lt_i32 s52, 2
	s_cbranch_scc1 .LBB167_260
; %bb.238:
	s_cmp_lg_u32 s53, 0
	s_cselect_b64 s[12:13], -1, 0
	s_cmp_lg_u32 s54, 0
	s_cselect_b64 s[14:15], -1, 0
	;; [unrolled: 2-line block ×3, first 2 shown]
	s_add_i32 s33, s52, -2
	s_add_u32 s18, s56, s44
	v_cndmask_b32_e64 v3, 0, 1, s[12:13]
	s_addc_u32 s21, s57, s45
	v_cmp_ne_u32_e64 s[12:13], 1, v3
	v_cndmask_b32_e64 v3, 0, 1, s[14:15]
	s_add_u32 s20, s18, 4
	v_cmp_ne_u32_e64 s[14:15], 1, v3
	v_cndmask_b32_e64 v3, 0, 1, s[16:17]
	s_mov_b32 s19, 0
	v_cmp_eq_u32_e64 s[4:5], 0, v41
	v_cmp_gt_i32_e64 s[6:7], s53, v41
	v_cmp_gt_i32_e64 s[8:9], s54, v41
	;; [unrolled: 1-line block ×3, first 2 shown]
	s_addc_u32 s21, s21, 0
	v_mul_lo_u32 v0, s39, v41
	s_mul_i32 s39, s39, s36
	v_mul_lo_u32 v1, s59, v41
	s_mul_i32 s42, s59, s36
	v_mov_b32_e32 v2, 0
	v_cmp_ne_u32_e64 s[16:17], 1, v3
	s_mov_b32 s43, 0
	s_mov_b32 s44, 0
	s_branch .LBB167_241
.LBB167_239:                            ;   in Loop: Header=BB167_241 Depth=1
	s_or_b64 exec, exec, s[24:25]
	s_waitcnt lgkmcnt(0)
	s_barrier
.LBB167_240:                            ;   in Loop: Header=BB167_241 Depth=1
	s_add_u32 s20, s20, 4
	s_addc_u32 s21, s21, 0
	s_add_i32 s43, s43, s37
	s_cmp_eq_u32 s18, s33
	s_cbranch_scc1 .LBB167_260
.LBB167_241:                            ; =>This Loop Header: Depth=1
                                        ;     Child Loop BB167_242 Depth 2
                                        ;     Child Loop BB167_249 Depth 2
                                        ;     Child Loop BB167_254 Depth 2
                                        ;     Child Loop BB167_259 Depth 2
	s_mov_b32 s18, s44
	s_lshl_b64 s[22:23], s[18:19], 2
	s_add_u32 s24, s46, s22
	s_addc_u32 s25, s47, s23
	global_load_dword v3, v2, s[24:25]
	s_add_i32 s44, s44, 1
	s_mov_b64 s[30:31], s[20:21]
	s_mov_b32 s23, s44
	s_mov_b32 s22, s18
.LBB167_242:                            ;   Parent Loop BB167_241 Depth=1
                                        ; =>  This Inner Loop Header: Depth=2
	global_load_dword v4, v2, s[30:31]
	s_waitcnt vmcnt(0)
	v_cmp_gt_f32_e32 vcc, v4, v3
	s_and_b64 s[48:49], vcc, exec
	s_cselect_b32 s22, s23, s22
	s_add_i32 s23, s23, 1
	s_add_u32 s30, s30, 4
	s_addc_u32 s31, s31, 0
	v_cndmask_b32_e32 v3, v3, v4, vcc
	s_cmp_lt_i32 s23, s52
	s_cbranch_scc1 .LBB167_242
; %bb.243:                              ;   in Loop: Header=BB167_241 Depth=1
	s_cmp_eq_u32 s22, s18
	s_barrier
	s_cbranch_scc1 .LBB167_240
; %bb.244:                              ;   in Loop: Header=BB167_241 Depth=1
	s_and_saveexec_b64 s[30:31], s[4:5]
	s_cbranch_execz .LBB167_246
; %bb.245:                              ;   in Loop: Header=BB167_241 Depth=1
	global_load_dword v4, v2, s[24:25]
	s_ashr_i32 s23, s22, 31
	s_lshl_b64 s[48:49], s[22:23], 2
	s_add_u32 s48, s46, s48
	s_addc_u32 s49, s47, s49
	s_waitcnt vmcnt(0)
	global_store_dword v2, v4, s[48:49]
	global_store_dword v2, v3, s[24:25]
.LBB167_246:                            ;   in Loop: Header=BB167_241 Depth=1
	s_or_b64 exec, exec, s[30:31]
	s_and_b64 vcc, exec, s[12:13]
	s_cbranch_vccnz .LBB167_251
; %bb.247:                              ;   in Loop: Header=BB167_241 Depth=1
	s_and_saveexec_b64 s[24:25], s[6:7]
	s_cbranch_execz .LBB167_250
; %bb.248:                              ;   in Loop: Header=BB167_241 Depth=1
	s_mov_b64 s[30:31], 0
	v_mov_b32_e32 v3, v0
	v_mov_b32_e32 v4, v41
.LBB167_249:                            ;   Parent Loop BB167_241 Depth=1
                                        ; =>  This Inner Loop Header: Depth=2
	v_add_u32_e32 v6, s22, v3
	v_ashrrev_i32_e32 v7, 31, v6
	v_add_u32_e32 v8, s18, v3
	v_lshlrev_b64 v[6:7], 3, v[6:7]
	v_mov_b32_e32 v5, s35
	v_ashrrev_i32_e32 v9, 31, v8
	v_add_co_u32_e32 v6, vcc, s34, v6
	v_lshlrev_b64 v[8:9], 3, v[8:9]
	v_addc_co_u32_e32 v7, vcc, v5, v7, vcc
	v_add_co_u32_e32 v8, vcc, s34, v8
	v_addc_co_u32_e32 v9, vcc, v5, v9, vcc
	flat_load_dwordx2 v[10:11], v[8:9]
	flat_load_dwordx2 v[12:13], v[6:7]
	v_add_u32_e32 v4, s36, v4
	v_cmp_le_i32_e32 vcc, s53, v4
	v_add_u32_e32 v3, s39, v3
	s_or_b64 s[30:31], vcc, s[30:31]
	s_waitcnt vmcnt(0) lgkmcnt(0)
	flat_store_dwordx2 v[6:7], v[10:11]
	flat_store_dwordx2 v[8:9], v[12:13]
	s_andn2_b64 exec, exec, s[30:31]
	s_cbranch_execnz .LBB167_249
.LBB167_250:                            ;   in Loop: Header=BB167_241 Depth=1
	s_or_b64 exec, exec, s[24:25]
	s_waitcnt lgkmcnt(0)
	s_barrier
.LBB167_251:                            ;   in Loop: Header=BB167_241 Depth=1
	s_and_b64 vcc, exec, s[14:15]
	s_cbranch_vccnz .LBB167_256
; %bb.252:                              ;   in Loop: Header=BB167_241 Depth=1
	s_and_saveexec_b64 s[24:25], s[8:9]
	s_cbranch_execz .LBB167_255
; %bb.253:                              ;   in Loop: Header=BB167_241 Depth=1
	s_mul_i32 s23, s22, s37
	s_mov_b64 s[30:31], 0
	v_mov_b32_e32 v3, v41
.LBB167_254:                            ;   Parent Loop BB167_241 Depth=1
                                        ; =>  This Inner Loop Header: Depth=2
	v_add_u32_e32 v4, s23, v3
	v_ashrrev_i32_e32 v5, 31, v4
	v_add_u32_e32 v6, s43, v3
	v_lshlrev_b64 v[4:5], 3, v[4:5]
	v_mov_b32_e32 v8, s29
	v_ashrrev_i32_e32 v7, 31, v6
	v_add_co_u32_e32 v4, vcc, s28, v4
	v_lshlrev_b64 v[6:7], 3, v[6:7]
	v_addc_co_u32_e32 v5, vcc, v8, v5, vcc
	v_add_co_u32_e32 v6, vcc, s28, v6
	v_addc_co_u32_e32 v7, vcc, v8, v7, vcc
	flat_load_dwordx2 v[8:9], v[6:7]
	flat_load_dwordx2 v[10:11], v[4:5]
	v_add_u32_e32 v3, s36, v3
	v_cmp_le_i32_e32 vcc, s54, v3
	s_or_b64 s[30:31], vcc, s[30:31]
	s_waitcnt vmcnt(0) lgkmcnt(0)
	flat_store_dwordx2 v[4:5], v[8:9]
	flat_store_dwordx2 v[6:7], v[10:11]
	s_andn2_b64 exec, exec, s[30:31]
	s_cbranch_execnz .LBB167_254
.LBB167_255:                            ;   in Loop: Header=BB167_241 Depth=1
	s_or_b64 exec, exec, s[24:25]
	s_waitcnt lgkmcnt(0)
	s_barrier
.LBB167_256:                            ;   in Loop: Header=BB167_241 Depth=1
	s_and_b64 vcc, exec, s[16:17]
	s_cbranch_vccnz .LBB167_240
; %bb.257:                              ;   in Loop: Header=BB167_241 Depth=1
	s_and_saveexec_b64 s[24:25], s[10:11]
	s_cbranch_execz .LBB167_239
; %bb.258:                              ;   in Loop: Header=BB167_241 Depth=1
	s_mov_b64 s[30:31], 0
	v_mov_b32_e32 v3, v1
	v_mov_b32_e32 v4, v41
.LBB167_259:                            ;   Parent Loop BB167_241 Depth=1
                                        ; =>  This Inner Loop Header: Depth=2
	v_add_u32_e32 v6, s22, v3
	v_ashrrev_i32_e32 v7, 31, v6
	v_add_u32_e32 v8, s18, v3
	v_lshlrev_b64 v[6:7], 3, v[6:7]
	v_mov_b32_e32 v5, s61
	v_ashrrev_i32_e32 v9, 31, v8
	v_add_co_u32_e32 v6, vcc, s60, v6
	v_lshlrev_b64 v[8:9], 3, v[8:9]
	v_addc_co_u32_e32 v7, vcc, v5, v7, vcc
	v_add_co_u32_e32 v8, vcc, s60, v8
	v_addc_co_u32_e32 v9, vcc, v5, v9, vcc
	flat_load_dwordx2 v[10:11], v[8:9]
	flat_load_dwordx2 v[12:13], v[6:7]
	v_add_u32_e32 v4, s36, v4
	v_cmp_le_i32_e32 vcc, s55, v4
	v_add_u32_e32 v3, s42, v3
	s_or_b64 s[30:31], vcc, s[30:31]
	s_waitcnt vmcnt(0) lgkmcnt(0)
	flat_store_dwordx2 v[6:7], v[10:11]
	flat_store_dwordx2 v[8:9], v[12:13]
	s_andn2_b64 exec, exec, s[30:31]
	s_cbranch_execnz .LBB167_259
	s_branch .LBB167_239
.LBB167_260:
	s_mov_b64 s[6:7], 0
.LBB167_261:
	s_andn2_b64 vcc, exec, s[6:7]
	s_cbranch_vccnz .LBB167_264
; %bb.262:
	v_cmp_eq_u32_e32 vcc, 0, v41
	s_and_saveexec_b64 s[4:5], vcc
	s_cbranch_execz .LBB167_264
; %bb.263:
	s_add_u32 s4, s40, s26
	s_addc_u32 s5, s41, s27
	v_mov_b32_e32 v0, 0
	v_mov_b32_e32 v1, s38
	global_store_dword v0, v1, s[4:5]
.LBB167_264:
	s_endpgm
	.section	.rodata,"a",@progbits
	.p2align	6, 0x0
	.amdhsa_kernel _ZN9rocsolver6v33100L14bdsqr_finalizeI19rocblas_complex_numIfEfPS3_PKS4_S6_EEviiiiPT0_lS8_lT1_iilT2_iilT3_iilPiSC_SC_
		.amdhsa_group_segment_fixed_size 0
		.amdhsa_private_segment_fixed_size 64
		.amdhsa_kernarg_size 400
		.amdhsa_user_sgpr_count 8
		.amdhsa_user_sgpr_private_segment_buffer 1
		.amdhsa_user_sgpr_dispatch_ptr 0
		.amdhsa_user_sgpr_queue_ptr 0
		.amdhsa_user_sgpr_kernarg_segment_ptr 1
		.amdhsa_user_sgpr_dispatch_id 0
		.amdhsa_user_sgpr_flat_scratch_init 1
		.amdhsa_user_sgpr_kernarg_preload_length 0
		.amdhsa_user_sgpr_kernarg_preload_offset 0
		.amdhsa_user_sgpr_private_segment_size 0
		.amdhsa_uses_dynamic_stack 0
		.amdhsa_system_sgpr_private_segment_wavefront_offset 1
		.amdhsa_system_sgpr_workgroup_id_x 1
		.amdhsa_system_sgpr_workgroup_id_y 1
		.amdhsa_system_sgpr_workgroup_id_z 0
		.amdhsa_system_sgpr_workgroup_info 0
		.amdhsa_system_vgpr_workitem_id 2
		.amdhsa_next_free_vgpr 45
		.amdhsa_next_free_sgpr 78
		.amdhsa_accum_offset 48
		.amdhsa_reserve_vcc 1
		.amdhsa_reserve_flat_scratch 1
		.amdhsa_float_round_mode_32 0
		.amdhsa_float_round_mode_16_64 0
		.amdhsa_float_denorm_mode_32 3
		.amdhsa_float_denorm_mode_16_64 3
		.amdhsa_dx10_clamp 1
		.amdhsa_ieee_mode 1
		.amdhsa_fp16_overflow 0
		.amdhsa_tg_split 0
		.amdhsa_exception_fp_ieee_invalid_op 0
		.amdhsa_exception_fp_denorm_src 0
		.amdhsa_exception_fp_ieee_div_zero 0
		.amdhsa_exception_fp_ieee_overflow 0
		.amdhsa_exception_fp_ieee_underflow 0
		.amdhsa_exception_fp_ieee_inexact 0
		.amdhsa_exception_int_div_zero 0
	.end_amdhsa_kernel
	.section	.text._ZN9rocsolver6v33100L14bdsqr_finalizeI19rocblas_complex_numIfEfPS3_PKS4_S6_EEviiiiPT0_lS8_lT1_iilT2_iilT3_iilPiSC_SC_,"axG",@progbits,_ZN9rocsolver6v33100L14bdsqr_finalizeI19rocblas_complex_numIfEfPS3_PKS4_S6_EEviiiiPT0_lS8_lT1_iilT2_iilT3_iilPiSC_SC_,comdat
.Lfunc_end167:
	.size	_ZN9rocsolver6v33100L14bdsqr_finalizeI19rocblas_complex_numIfEfPS3_PKS4_S6_EEviiiiPT0_lS8_lT1_iilT2_iilT3_iilPiSC_SC_, .Lfunc_end167-_ZN9rocsolver6v33100L14bdsqr_finalizeI19rocblas_complex_numIfEfPS3_PKS4_S6_EEviiiiPT0_lS8_lT1_iilT2_iilT3_iilPiSC_SC_
                                        ; -- End function
	.section	.AMDGPU.csdata,"",@progbits
; Kernel info:
; codeLenInByte = 7688
; NumSgprs: 84
; NumVgprs: 45
; NumAgprs: 0
; TotalNumVgprs: 45
; ScratchSize: 64
; MemoryBound: 0
; FloatMode: 240
; IeeeMode: 1
; LDSByteSize: 0 bytes/workgroup (compile time only)
; SGPRBlocks: 10
; VGPRBlocks: 5
; NumSGPRsForWavesPerEU: 84
; NumVGPRsForWavesPerEU: 45
; AccumOffset: 48
; Occupancy: 8
; WaveLimiterHint : 1
; COMPUTE_PGM_RSRC2:SCRATCH_EN: 1
; COMPUTE_PGM_RSRC2:USER_SGPR: 8
; COMPUTE_PGM_RSRC2:TRAP_HANDLER: 0
; COMPUTE_PGM_RSRC2:TGID_X_EN: 1
; COMPUTE_PGM_RSRC2:TGID_Y_EN: 1
; COMPUTE_PGM_RSRC2:TGID_Z_EN: 0
; COMPUTE_PGM_RSRC2:TIDIG_COMP_CNT: 2
; COMPUTE_PGM_RSRC3_GFX90A:ACCUM_OFFSET: 11
; COMPUTE_PGM_RSRC3_GFX90A:TG_SPLIT: 0
	.section	.text._ZN9rocsolver6v33100L8copy_matI19rocblas_complex_numIfEPKPS3_S4_NS0_7no_maskEEEviiT0_iilT1_iilT2_13rocblas_fill_17rocblas_diagonal_,"axG",@progbits,_ZN9rocsolver6v33100L8copy_matI19rocblas_complex_numIfEPKPS3_S4_NS0_7no_maskEEEviiT0_iilT1_iilT2_13rocblas_fill_17rocblas_diagonal_,comdat
	.globl	_ZN9rocsolver6v33100L8copy_matI19rocblas_complex_numIfEPKPS3_S4_NS0_7no_maskEEEviiT0_iilT1_iilT2_13rocblas_fill_17rocblas_diagonal_ ; -- Begin function _ZN9rocsolver6v33100L8copy_matI19rocblas_complex_numIfEPKPS3_S4_NS0_7no_maskEEEviiT0_iilT1_iilT2_13rocblas_fill_17rocblas_diagonal_
	.p2align	8
	.type	_ZN9rocsolver6v33100L8copy_matI19rocblas_complex_numIfEPKPS3_S4_NS0_7no_maskEEEviiT0_iilT1_iilT2_13rocblas_fill_17rocblas_diagonal_,@function
_ZN9rocsolver6v33100L8copy_matI19rocblas_complex_numIfEPKPS3_S4_NS0_7no_maskEEEviiT0_iilT1_iilT2_13rocblas_fill_17rocblas_diagonal_: ; @_ZN9rocsolver6v33100L8copy_matI19rocblas_complex_numIfEPKPS3_S4_NS0_7no_maskEEEviiT0_iilT1_iilT2_13rocblas_fill_17rocblas_diagonal_
; %bb.0:
	s_load_dword s2, s[4:5], 0x54
	s_load_dwordx2 s[0:1], s[4:5], 0x0
	v_bfe_u32 v1, v0, 10, 10
	v_and_b32_e32 v0, 0x3ff, v0
	s_waitcnt lgkmcnt(0)
	s_lshr_b32 s3, s2, 16
	s_and_b32 s2, s2, 0xffff
	s_mul_i32 s7, s7, s3
	s_mul_i32 s6, s6, s2
	v_add_u32_e32 v1, s7, v1
	v_add_u32_e32 v0, s6, v0
	v_cmp_gt_u32_e32 vcc, s0, v0
	v_cmp_gt_u32_e64 s[0:1], s1, v1
	s_and_b64 s[0:1], s[0:1], vcc
	s_and_saveexec_b64 s[2:3], s[0:1]
	s_cbranch_execz .LBB168_14
; %bb.1:
	s_load_dwordx2 s[2:3], s[4:5], 0x3c
	s_waitcnt lgkmcnt(0)
	s_cmpk_lt_i32 s2, 0x7a
	s_cbranch_scc1 .LBB168_4
; %bb.2:
	s_cmpk_gt_i32 s2, 0x7a
	s_cbranch_scc0 .LBB168_5
; %bb.3:
	s_cmpk_lg_i32 s2, 0x7b
	s_mov_b64 s[6:7], -1
	s_cselect_b64 s[10:11], -1, 0
	s_cbranch_execz .LBB168_6
	s_branch .LBB168_7
.LBB168_4:
	s_mov_b64 s[10:11], 0
	s_mov_b64 s[6:7], 0
	s_cbranch_execnz .LBB168_8
	s_branch .LBB168_10
.LBB168_5:
	s_mov_b64 s[6:7], 0
	s_mov_b64 s[10:11], 0
.LBB168_6:
	v_cmp_gt_u32_e32 vcc, v0, v1
	v_cmp_le_u32_e64 s[0:1], v0, v1
	s_andn2_b64 s[6:7], s[6:7], exec
	s_and_b64 s[12:13], vcc, exec
	s_andn2_b64 s[10:11], s[10:11], exec
	s_and_b64 s[0:1], s[0:1], exec
	s_or_b64 s[6:7], s[6:7], s[12:13]
	s_or_b64 s[10:11], s[10:11], s[0:1]
.LBB168_7:
	s_branch .LBB168_10
.LBB168_8:
	s_cmpk_eq_i32 s2, 0x79
	s_mov_b64 s[10:11], -1
	s_cbranch_scc0 .LBB168_10
; %bb.9:
	v_cmp_gt_u32_e32 vcc, v1, v0
	v_cmp_le_u32_e64 s[0:1], v1, v0
	s_andn2_b64 s[6:7], s[6:7], exec
	s_and_b64 s[10:11], vcc, exec
	s_or_b64 s[6:7], s[6:7], s[10:11]
	s_orn2_b64 s[10:11], s[0:1], exec
.LBB168_10:
	s_and_saveexec_b64 s[0:1], s[10:11]
; %bb.11:
	s_cmpk_eq_i32 s3, 0x83
	s_cselect_b64 s[2:3], -1, 0
	v_cmp_eq_u32_e32 vcc, v0, v1
	s_and_b64 s[2:3], s[2:3], vcc
	s_andn2_b64 s[6:7], s[6:7], exec
	s_and_b64 s[2:3], s[2:3], exec
	s_or_b64 s[6:7], s[6:7], s[2:3]
; %bb.12:
	s_or_b64 exec, exec, s[0:1]
	s_and_b64 exec, exec, s[6:7]
	s_cbranch_execz .LBB168_14
; %bb.13:
	s_load_dwordx4 s[12:15], s[4:5], 0x8
	s_load_dwordx4 s[0:3], s[4:5], 0x20
	s_mov_b32 s9, 0
	s_lshl_b64 s[6:7], s[8:9], 3
	s_load_dwordx2 s[4:5], s[4:5], 0x30
	s_waitcnt lgkmcnt(0)
	s_ashr_i32 s11, s14, 31
	s_add_u32 s6, s12, s6
	s_addc_u32 s7, s13, s7
	s_load_dwordx2 s[6:7], s[6:7], 0x0
	s_mov_b32 s10, s14
	v_mad_u64_u32 v[2:3], s[12:13], v1, s15, v[0:1]
	s_lshl_b64 s[10:11], s[10:11], 3
	v_mov_b32_e32 v3, 0
	s_waitcnt lgkmcnt(0)
	s_add_u32 s6, s6, s10
	s_addc_u32 s7, s7, s11
	v_lshlrev_b64 v[4:5], 3, v[2:3]
	v_mov_b32_e32 v2, s7
	v_add_co_u32_e32 v4, vcc, s6, v4
	v_addc_co_u32_e32 v5, vcc, v2, v5, vcc
	global_load_dwordx2 v[4:5], v[4:5], off
	s_ashr_i32 s7, s2, 31
	s_mov_b32 s6, s2
	s_mul_i32 s2, s8, s5
	s_mul_hi_u32 s5, s8, s4
	s_add_i32 s5, s5, s2
	s_mul_i32 s4, s8, s4
	s_lshl_b64 s[4:5], s[4:5], 3
	s_add_u32 s2, s0, s4
	s_addc_u32 s4, s1, s5
	s_lshl_b64 s[0:1], s[6:7], 3
	s_add_u32 s2, s2, s0
	s_addc_u32 s4, s4, s1
	v_mad_u64_u32 v[0:1], s[0:1], v1, s3, v[0:1]
	v_mov_b32_e32 v1, v3
	v_lshlrev_b64 v[0:1], 3, v[0:1]
	v_mov_b32_e32 v2, s4
	v_add_co_u32_e32 v0, vcc, s2, v0
	v_addc_co_u32_e32 v1, vcc, v2, v1, vcc
	s_waitcnt vmcnt(0)
	global_store_dwordx2 v[0:1], v[4:5], off
.LBB168_14:
	s_endpgm
	.section	.rodata,"a",@progbits
	.p2align	6, 0x0
	.amdhsa_kernel _ZN9rocsolver6v33100L8copy_matI19rocblas_complex_numIfEPKPS3_S4_NS0_7no_maskEEEviiT0_iilT1_iilT2_13rocblas_fill_17rocblas_diagonal_
		.amdhsa_group_segment_fixed_size 0
		.amdhsa_private_segment_fixed_size 0
		.amdhsa_kernarg_size 328
		.amdhsa_user_sgpr_count 6
		.amdhsa_user_sgpr_private_segment_buffer 1
		.amdhsa_user_sgpr_dispatch_ptr 0
		.amdhsa_user_sgpr_queue_ptr 0
		.amdhsa_user_sgpr_kernarg_segment_ptr 1
		.amdhsa_user_sgpr_dispatch_id 0
		.amdhsa_user_sgpr_flat_scratch_init 0
		.amdhsa_user_sgpr_kernarg_preload_length 0
		.amdhsa_user_sgpr_kernarg_preload_offset 0
		.amdhsa_user_sgpr_private_segment_size 0
		.amdhsa_uses_dynamic_stack 0
		.amdhsa_system_sgpr_private_segment_wavefront_offset 0
		.amdhsa_system_sgpr_workgroup_id_x 1
		.amdhsa_system_sgpr_workgroup_id_y 1
		.amdhsa_system_sgpr_workgroup_id_z 1
		.amdhsa_system_sgpr_workgroup_info 0
		.amdhsa_system_vgpr_workitem_id 1
		.amdhsa_next_free_vgpr 6
		.amdhsa_next_free_sgpr 16
		.amdhsa_accum_offset 8
		.amdhsa_reserve_vcc 1
		.amdhsa_reserve_flat_scratch 0
		.amdhsa_float_round_mode_32 0
		.amdhsa_float_round_mode_16_64 0
		.amdhsa_float_denorm_mode_32 3
		.amdhsa_float_denorm_mode_16_64 3
		.amdhsa_dx10_clamp 1
		.amdhsa_ieee_mode 1
		.amdhsa_fp16_overflow 0
		.amdhsa_tg_split 0
		.amdhsa_exception_fp_ieee_invalid_op 0
		.amdhsa_exception_fp_denorm_src 0
		.amdhsa_exception_fp_ieee_div_zero 0
		.amdhsa_exception_fp_ieee_overflow 0
		.amdhsa_exception_fp_ieee_underflow 0
		.amdhsa_exception_fp_ieee_inexact 0
		.amdhsa_exception_int_div_zero 0
	.end_amdhsa_kernel
	.section	.text._ZN9rocsolver6v33100L8copy_matI19rocblas_complex_numIfEPKPS3_S4_NS0_7no_maskEEEviiT0_iilT1_iilT2_13rocblas_fill_17rocblas_diagonal_,"axG",@progbits,_ZN9rocsolver6v33100L8copy_matI19rocblas_complex_numIfEPKPS3_S4_NS0_7no_maskEEEviiT0_iilT1_iilT2_13rocblas_fill_17rocblas_diagonal_,comdat
.Lfunc_end168:
	.size	_ZN9rocsolver6v33100L8copy_matI19rocblas_complex_numIfEPKPS3_S4_NS0_7no_maskEEEviiT0_iilT1_iilT2_13rocblas_fill_17rocblas_diagonal_, .Lfunc_end168-_ZN9rocsolver6v33100L8copy_matI19rocblas_complex_numIfEPKPS3_S4_NS0_7no_maskEEEviiT0_iilT1_iilT2_13rocblas_fill_17rocblas_diagonal_
                                        ; -- End function
	.section	.AMDGPU.csdata,"",@progbits
; Kernel info:
; codeLenInByte = 496
; NumSgprs: 20
; NumVgprs: 6
; NumAgprs: 0
; TotalNumVgprs: 6
; ScratchSize: 0
; MemoryBound: 0
; FloatMode: 240
; IeeeMode: 1
; LDSByteSize: 0 bytes/workgroup (compile time only)
; SGPRBlocks: 2
; VGPRBlocks: 0
; NumSGPRsForWavesPerEU: 20
; NumVGPRsForWavesPerEU: 6
; AccumOffset: 8
; Occupancy: 8
; WaveLimiterHint : 1
; COMPUTE_PGM_RSRC2:SCRATCH_EN: 0
; COMPUTE_PGM_RSRC2:USER_SGPR: 6
; COMPUTE_PGM_RSRC2:TRAP_HANDLER: 0
; COMPUTE_PGM_RSRC2:TGID_X_EN: 1
; COMPUTE_PGM_RSRC2:TGID_Y_EN: 1
; COMPUTE_PGM_RSRC2:TGID_Z_EN: 1
; COMPUTE_PGM_RSRC2:TIDIG_COMP_CNT: 1
; COMPUTE_PGM_RSRC3_GFX90A:ACCUM_OFFSET: 1
; COMPUTE_PGM_RSRC3_GFX90A:TG_SPLIT: 0
	.section	.text._ZN9rocsolver6v33100L16org2r_init_identI19rocblas_complex_numIfEPS3_EEviiiT0_iil,"axG",@progbits,_ZN9rocsolver6v33100L16org2r_init_identI19rocblas_complex_numIfEPS3_EEviiiT0_iil,comdat
	.globl	_ZN9rocsolver6v33100L16org2r_init_identI19rocblas_complex_numIfEPS3_EEviiiT0_iil ; -- Begin function _ZN9rocsolver6v33100L16org2r_init_identI19rocblas_complex_numIfEPS3_EEviiiT0_iil
	.p2align	8
	.type	_ZN9rocsolver6v33100L16org2r_init_identI19rocblas_complex_numIfEPS3_EEviiiT0_iil,@function
_ZN9rocsolver6v33100L16org2r_init_identI19rocblas_complex_numIfEPS3_EEviiiT0_iil: ; @_ZN9rocsolver6v33100L16org2r_init_identI19rocblas_complex_numIfEPS3_EEviiiT0_iil
; %bb.0:
	s_load_dword s0, s[4:5], 0x34
	s_load_dwordx4 s[12:15], s[4:5], 0x0
	v_bfe_u32 v1, v0, 10, 10
	v_and_b32_e32 v0, 0x3ff, v0
	s_waitcnt lgkmcnt(0)
	s_lshr_b32 s1, s0, 16
	s_and_b32 s0, s0, 0xffff
	s_mul_i32 s7, s7, s1
	s_mul_i32 s6, s6, s0
	v_add_u32_e32 v2, s7, v1
	v_add_u32_e32 v4, s6, v0
	v_cmp_gt_u32_e32 vcc, s12, v4
	v_cmp_gt_u32_e64 s[0:1], s13, v2
	s_and_b64 s[0:1], vcc, s[0:1]
	s_and_saveexec_b64 s[2:3], s[0:1]
	s_cbranch_execz .LBB169_5
; %bb.1:
	s_load_dwordx4 s[0:3], s[4:5], 0x10
	s_load_dwordx2 s[6:7], s[4:5], 0x20
	v_cmp_ne_u32_e32 vcc, v4, v2
                                        ; implicit-def: $vgpr0_vgpr1
	s_waitcnt lgkmcnt(0)
	s_ashr_i32 s5, s2, 31
	s_mov_b32 s4, s2
	s_mul_i32 s2, s8, s7
	s_mul_hi_u32 s7, s8, s6
	s_add_i32 s7, s7, s2
	s_mul_i32 s6, s8, s6
	s_lshl_b64 s[6:7], s[6:7], 3
	s_add_u32 s2, s0, s6
	s_addc_u32 s6, s1, s7
	s_lshl_b64 s[0:1], s[4:5], 3
	s_add_u32 s2, s2, s0
	s_addc_u32 s10, s6, s1
	s_mov_b64 s[4:5], 0
	s_and_saveexec_b64 s[0:1], vcc
	s_xor_b64 s[0:1], exec, s[0:1]
	s_cbranch_execnz .LBB169_6
; %bb.2:
	s_andn2_saveexec_b64 s[0:1], s[0:1]
	s_cbranch_execnz .LBB169_13
.LBB169_3:
	s_or_b64 exec, exec, s[0:1]
	s_and_b64 exec, exec, s[4:5]
	s_cbranch_execz .LBB169_5
.LBB169_4:
	v_mov_b32_e32 v2, 0
	global_store_dword v[0:1], v2, off
.LBB169_5:
	s_endpgm
.LBB169_6:
	v_cmp_le_u32_e32 vcc, v2, v4
                                        ; implicit-def: $vgpr0_vgpr1
	s_and_saveexec_b64 s[6:7], vcc
	s_xor_b64 s[6:7], exec, s[6:7]
	s_cbranch_execz .LBB169_10
; %bb.7:
	v_cmp_le_u32_e32 vcc, s14, v2
                                        ; implicit-def: $vgpr0_vgpr1
	s_and_saveexec_b64 s[8:9], vcc
	s_xor_b64 s[8:9], exec, s[8:9]
	s_cbranch_execz .LBB169_9
; %bb.8:
	v_mad_u64_u32 v[2:3], s[12:13], v2, s3, v[4:5]
	v_mov_b32_e32 v3, 0
	v_lshlrev_b64 v[0:1], 3, v[2:3]
	v_mov_b32_e32 v2, s10
	v_add_co_u32_e32 v4, vcc, s2, v0
	v_addc_co_u32_e32 v5, vcc, v2, v1, vcc
	v_add_co_u32_e32 v0, vcc, 4, v4
	s_mov_b64 s[4:5], exec
	v_addc_co_u32_e32 v1, vcc, 0, v5, vcc
	global_store_dword v[4:5], v3, off
.LBB169_9:
	s_or_b64 exec, exec, s[8:9]
	s_and_b64 s[4:5], s[4:5], exec
                                        ; implicit-def: $vgpr4
                                        ; implicit-def: $vgpr2
.LBB169_10:
	s_andn2_saveexec_b64 s[6:7], s[6:7]
	s_cbranch_execz .LBB169_12
; %bb.11:
	v_mad_u64_u32 v[0:1], s[8:9], v2, s3, v[4:5]
	v_mov_b32_e32 v1, 0
	v_lshlrev_b64 v[2:3], 3, v[0:1]
	v_mov_b32_e32 v0, s10
	v_add_co_u32_e32 v2, vcc, s2, v2
	v_addc_co_u32_e32 v3, vcc, v0, v3, vcc
	v_add_co_u32_e32 v0, vcc, 4, v2
	global_store_dword v[2:3], v1, off
	v_addc_co_u32_e32 v1, vcc, 0, v3, vcc
	s_or_b64 s[4:5], s[4:5], exec
.LBB169_12:
	s_or_b64 exec, exec, s[6:7]
	s_and_b64 s[4:5], s[4:5], exec
                                        ; implicit-def: $vgpr2
	s_andn2_saveexec_b64 s[0:1], s[0:1]
	s_cbranch_execz .LBB169_3
.LBB169_13:
	v_mad_u64_u32 v[0:1], s[6:7], v2, s3, v[2:3]
	v_mov_b32_e32 v1, 0
	v_lshlrev_b64 v[0:1], 3, v[0:1]
	v_mov_b32_e32 v2, s10
	v_add_co_u32_e32 v0, vcc, s2, v0
	v_addc_co_u32_e32 v1, vcc, v2, v1, vcc
	v_mov_b32_e32 v2, 1.0
	global_store_dword v[0:1], v2, off
	v_add_co_u32_e32 v0, vcc, 4, v0
	v_addc_co_u32_e32 v1, vcc, 0, v1, vcc
	s_or_b64 s[4:5], s[4:5], exec
	s_or_b64 exec, exec, s[0:1]
	s_and_b64 exec, exec, s[4:5]
	s_cbranch_execnz .LBB169_4
	s_branch .LBB169_5
	.section	.rodata,"a",@progbits
	.p2align	6, 0x0
	.amdhsa_kernel _ZN9rocsolver6v33100L16org2r_init_identI19rocblas_complex_numIfEPS3_EEviiiT0_iil
		.amdhsa_group_segment_fixed_size 0
		.amdhsa_private_segment_fixed_size 0
		.amdhsa_kernarg_size 296
		.amdhsa_user_sgpr_count 6
		.amdhsa_user_sgpr_private_segment_buffer 1
		.amdhsa_user_sgpr_dispatch_ptr 0
		.amdhsa_user_sgpr_queue_ptr 0
		.amdhsa_user_sgpr_kernarg_segment_ptr 1
		.amdhsa_user_sgpr_dispatch_id 0
		.amdhsa_user_sgpr_flat_scratch_init 0
		.amdhsa_user_sgpr_kernarg_preload_length 0
		.amdhsa_user_sgpr_kernarg_preload_offset 0
		.amdhsa_user_sgpr_private_segment_size 0
		.amdhsa_uses_dynamic_stack 0
		.amdhsa_system_sgpr_private_segment_wavefront_offset 0
		.amdhsa_system_sgpr_workgroup_id_x 1
		.amdhsa_system_sgpr_workgroup_id_y 1
		.amdhsa_system_sgpr_workgroup_id_z 1
		.amdhsa_system_sgpr_workgroup_info 0
		.amdhsa_system_vgpr_workitem_id 1
		.amdhsa_next_free_vgpr 6
		.amdhsa_next_free_sgpr 16
		.amdhsa_accum_offset 8
		.amdhsa_reserve_vcc 1
		.amdhsa_reserve_flat_scratch 0
		.amdhsa_float_round_mode_32 0
		.amdhsa_float_round_mode_16_64 0
		.amdhsa_float_denorm_mode_32 3
		.amdhsa_float_denorm_mode_16_64 3
		.amdhsa_dx10_clamp 1
		.amdhsa_ieee_mode 1
		.amdhsa_fp16_overflow 0
		.amdhsa_tg_split 0
		.amdhsa_exception_fp_ieee_invalid_op 0
		.amdhsa_exception_fp_denorm_src 0
		.amdhsa_exception_fp_ieee_div_zero 0
		.amdhsa_exception_fp_ieee_overflow 0
		.amdhsa_exception_fp_ieee_underflow 0
		.amdhsa_exception_fp_ieee_inexact 0
		.amdhsa_exception_int_div_zero 0
	.end_amdhsa_kernel
	.section	.text._ZN9rocsolver6v33100L16org2r_init_identI19rocblas_complex_numIfEPS3_EEviiiT0_iil,"axG",@progbits,_ZN9rocsolver6v33100L16org2r_init_identI19rocblas_complex_numIfEPS3_EEviiiT0_iil,comdat
.Lfunc_end169:
	.size	_ZN9rocsolver6v33100L16org2r_init_identI19rocblas_complex_numIfEPS3_EEviiiT0_iil, .Lfunc_end169-_ZN9rocsolver6v33100L16org2r_init_identI19rocblas_complex_numIfEPS3_EEviiiT0_iil
                                        ; -- End function
	.section	.AMDGPU.csdata,"",@progbits
; Kernel info:
; codeLenInByte = 452
; NumSgprs: 20
; NumVgprs: 6
; NumAgprs: 0
; TotalNumVgprs: 6
; ScratchSize: 0
; MemoryBound: 0
; FloatMode: 240
; IeeeMode: 1
; LDSByteSize: 0 bytes/workgroup (compile time only)
; SGPRBlocks: 2
; VGPRBlocks: 0
; NumSGPRsForWavesPerEU: 20
; NumVGPRsForWavesPerEU: 6
; AccumOffset: 8
; Occupancy: 8
; WaveLimiterHint : 0
; COMPUTE_PGM_RSRC2:SCRATCH_EN: 0
; COMPUTE_PGM_RSRC2:USER_SGPR: 6
; COMPUTE_PGM_RSRC2:TRAP_HANDLER: 0
; COMPUTE_PGM_RSRC2:TGID_X_EN: 1
; COMPUTE_PGM_RSRC2:TGID_Y_EN: 1
; COMPUTE_PGM_RSRC2:TGID_Z_EN: 1
; COMPUTE_PGM_RSRC2:TIDIG_COMP_CNT: 1
; COMPUTE_PGM_RSRC3_GFX90A:ACCUM_OFFSET: 1
; COMPUTE_PGM_RSRC3_GFX90A:TG_SPLIT: 0
	.section	.text._ZN9rocsolver6v33100L16larf_left_kernelILi1024E19rocblas_complex_numIfEiPS3_EEvT1_S5_T2_lS5_lPKT0_lS6_lS5_l,"axG",@progbits,_ZN9rocsolver6v33100L16larf_left_kernelILi1024E19rocblas_complex_numIfEiPS3_EEvT1_S5_T2_lS5_lPKT0_lS6_lS5_l,comdat
	.globl	_ZN9rocsolver6v33100L16larf_left_kernelILi1024E19rocblas_complex_numIfEiPS3_EEvT1_S5_T2_lS5_lPKT0_lS6_lS5_l ; -- Begin function _ZN9rocsolver6v33100L16larf_left_kernelILi1024E19rocblas_complex_numIfEiPS3_EEvT1_S5_T2_lS5_lPKT0_lS6_lS5_l
	.p2align	8
	.type	_ZN9rocsolver6v33100L16larf_left_kernelILi1024E19rocblas_complex_numIfEiPS3_EEvT1_S5_T2_lS5_lPKT0_lS6_lS5_l,@function
_ZN9rocsolver6v33100L16larf_left_kernelILi1024E19rocblas_complex_numIfEiPS3_EEvT1_S5_T2_lS5_lPKT0_lS6_lS5_l: ; @_ZN9rocsolver6v33100L16larf_left_kernelILi1024E19rocblas_complex_numIfEiPS3_EEvT1_S5_T2_lS5_lPKT0_lS6_lS5_l
; %bb.0:
	s_load_dwordx2 s[0:1], s[4:5], 0x50
	s_load_dwordx2 s[2:3], s[4:5], 0x40
	s_load_dword s6, s[4:5], 0x48
	s_load_dword s9, s[4:5], 0x0
	s_load_dwordx8 s[12:19], s[4:5], 0x20
	s_ashr_i32 s22, s8, 31
	s_waitcnt lgkmcnt(0)
	s_mul_i32 s1, s8, s1
	s_mul_hi_u32 s10, s8, s0
	s_add_i32 s1, s10, s1
	s_mul_i32 s10, s22, s0
	v_mov_b32_e32 v5, 0
	s_add_i32 s11, s1, s10
	s_mul_i32 s10, s8, s0
	s_mul_hi_i32 s21, s6, s7
	s_mul_i32 s20, s6, s7
	v_cmp_gt_i32_e64 s[0:1], s9, v0
	v_mov_b32_e32 v4, v5
	s_and_saveexec_b64 s[6:7], s[0:1]
	s_cbranch_execz .LBB170_6
; %bb.1:
	s_load_dword s28, s[4:5], 0x18
	s_load_dwordx4 s[24:27], s[4:5], 0x8
	s_sub_i32 s4, 1, s9
	s_mul_hi_u32 s30, s12, s8
	s_mul_i32 s13, s13, s8
	s_waitcnt lgkmcnt(0)
	s_ashr_i32 s29, s28, 31
	s_mul_i32 s23, s4, s28
	v_cmp_lt_i64_e64 s[4:5], s[28:29], 1
	s_and_b64 s[4:5], s[4:5], exec
	s_cselect_b32 s4, s23, 0
	s_mul_i32 s23, s12, s22
	s_add_i32 s23, s30, s23
	s_ashr_i32 s5, s4, 31
	s_add_i32 s13, s23, s13
	s_mul_i32 s12, s12, s8
	s_lshl_b64 s[12:13], s[12:13], 3
	s_lshl_b64 s[26:27], s[26:27], 3
	;; [unrolled: 1-line block ×3, first 2 shown]
	s_add_u32 s4, s24, s4
	s_addc_u32 s5, s25, s5
	s_add_u32 s4, s4, s26
	s_addc_u32 s5, s5, s27
	v_mad_i64_i32 v[2:3], s[30:31], s28, v0, 0
	s_add_u32 s4, s4, s12
	v_lshl_add_u32 v1, v0, 3, 0
	v_lshlrev_b64 v[2:3], 3, v[2:3]
	s_addc_u32 s5, s5, s13
	v_add_u32_e32 v1, 0x80, v1
	v_mov_b32_e32 v4, s5
	v_add_co_u32_e32 v2, vcc, s4, v2
	s_lshl_b64 s[12:13], s[28:29], 13
	v_addc_co_u32_e32 v3, vcc, v4, v3, vcc
	s_mov_b64 s[4:5], 0
	v_mov_b32_e32 v4, s13
	v_mov_b32_e32 v5, v1
	;; [unrolled: 1-line block ×3, first 2 shown]
.LBB170_2:                              ; =>This Inner Loop Header: Depth=1
	global_load_dwordx2 v[8:9], v[2:3], off
	v_add_co_u32_e32 v2, vcc, s12, v2
	v_add_u32_e32 v6, 0x400, v6
	v_addc_co_u32_e32 v3, vcc, v3, v4, vcc
	v_cmp_le_i32_e32 vcc, s9, v6
	s_or_b64 s[4:5], vcc, s[4:5]
	s_waitcnt vmcnt(0)
	ds_write_b64 v5, v[8:9]
	v_add_u32_e32 v5, 0x2000, v5
	s_andn2_b64 exec, exec, s[4:5]
	s_cbranch_execnz .LBB170_2
; %bb.3:
	s_or_b64 exec, exec, s[4:5]
	s_lshl_b64 s[4:5], s[10:11], 3
	s_lshl_b64 s[12:13], s[20:21], 3
	s_add_u32 s12, s4, s12
	s_addc_u32 s13, s5, s13
	s_lshl_b64 s[4:5], s[2:3], 3
	s_add_u32 s4, s12, s4
	s_addc_u32 s5, s13, s5
	s_add_u32 s4, s18, s4
	v_lshlrev_b32_e32 v2, 3, v0
	s_addc_u32 s5, s19, s5
	v_mov_b32_e32 v3, s5
	v_add_co_u32_e32 v4, vcc, s4, v2
	v_mov_b32_e32 v2, 0
	v_addc_co_u32_e32 v5, vcc, 0, v3, vcc
	s_mov_b64 s[4:5], 0
	v_mov_b32_e32 v6, v0
	v_mov_b32_e32 v3, v2
.LBB170_4:                              ; =>This Inner Loop Header: Depth=1
	global_load_dwordx2 v[8:9], v[4:5], off
	ds_read_b64 v[10:11], v1
	v_add_co_u32_e32 v4, vcc, 0x2000, v4
	v_add_u32_e32 v6, 0x400, v6
	v_addc_co_u32_e32 v5, vcc, 0, v5, vcc
	v_cmp_le_i32_e32 vcc, s9, v6
	v_add_u32_e32 v1, 0x2000, v1
	s_or_b64 s[4:5], vcc, s[4:5]
	s_waitcnt vmcnt(0)
	v_mov_b32_e32 v12, v9
	s_waitcnt lgkmcnt(0)
	v_pk_mul_f32 v[14:15], v[8:9], v[10:11] op_sel:[0,1] op_sel_hi:[1,0]
	v_pk_mul_f32 v[12:13], v[12:13], v[10:11] op_sel:[0,1] op_sel_hi:[1,0]
	v_mov_b32_e32 v14, v15
	v_pk_fma_f32 v[12:13], v[8:9], v[10:11], v[12:13]
	v_pk_fma_f32 v[8:9], v[8:9], v[10:11], v[14:15] op_sel:[0,1,0] op_sel_hi:[1,0,1] neg_lo:[0,0,1] neg_hi:[0,0,1]
	v_mov_b32_e32 v9, v12
	v_pk_add_f32 v[2:3], v[2:3], v[8:9]
	s_andn2_b64 exec, exec, s[4:5]
	s_cbranch_execnz .LBB170_4
; %bb.5:
	s_or_b64 exec, exec, s[4:5]
	v_mov_b32_e32 v5, v2
	v_mov_b32_e32 v4, v3
.LBB170_6:
	s_or_b64 exec, exec, s[6:7]
	v_mbcnt_lo_u32_b32 v1, -1, 0
	v_mbcnt_hi_u32_b32 v1, -1, v1
	v_and_b32_e32 v6, 63, v1
	v_cmp_ne_u32_e32 vcc, 63, v6
	v_addc_co_u32_e32 v2, vcc, 0, v1, vcc
	v_lshlrev_b32_e32 v3, 2, v2
	ds_bpermute_b32 v2, v3, v4
	ds_bpermute_b32 v3, v3, v5
	v_cmp_gt_u32_e32 vcc, 62, v6
	v_cndmask_b32_e64 v7, 0, 1, vcc
	v_lshlrev_b32_e32 v7, 1, v7
	v_add_lshl_u32 v7, v7, v1, 2
	s_waitcnt lgkmcnt(0)
	v_pk_add_f32 v[2:3], v[4:5], v[2:3]
	ds_bpermute_b32 v4, v7, v2
	ds_bpermute_b32 v5, v7, v3
	v_cmp_gt_u32_e32 vcc, 60, v6
	v_cndmask_b32_e64 v7, 0, 1, vcc
	v_lshlrev_b32_e32 v7, 2, v7
	v_add_lshl_u32 v7, v7, v1, 2
	s_waitcnt lgkmcnt(0)
	v_pk_add_f32 v[2:3], v[2:3], v[4:5]
	;; [unrolled: 8-line block ×5, first 2 shown]
	ds_bpermute_b32 v4, v1, v2
	ds_bpermute_b32 v5, v1, v3
	v_and_b32_e32 v1, 63, v0
	v_cmp_eq_u32_e32 vcc, 0, v1
	s_waitcnt lgkmcnt(0)
	v_pk_add_f32 v[2:3], v[2:3], v[4:5]
	s_and_saveexec_b64 s[4:5], vcc
	s_cbranch_execz .LBB170_8
; %bb.7:
	v_lshrrev_b32_e32 v1, 3, v0
	v_add_u32_e32 v1, 0, v1
	ds_write2_b32 v1, v2, v3 offset1:1
.LBB170_8:
	s_or_b64 exec, exec, s[4:5]
	v_cmp_eq_u32_e32 vcc, 0, v0
	s_waitcnt lgkmcnt(0)
	s_barrier
	s_and_saveexec_b64 s[4:5], vcc
	s_cbranch_execz .LBB170_10
; %bb.9:
	v_mov_b32_e32 v1, 0
	ds_read2_b64 v[4:7], v1 offset0:1 offset1:2
	ds_read2_b64 v[8:11], v1 offset0:3 offset1:4
	;; [unrolled: 1-line block ×4, first 2 shown]
	s_waitcnt lgkmcnt(3)
	v_pk_add_f32 v[2:3], v[2:3], v[4:5]
	v_pk_add_f32 v[2:3], v[2:3], v[6:7]
	s_waitcnt lgkmcnt(2)
	v_pk_add_f32 v[2:3], v[2:3], v[8:9]
	v_pk_add_f32 v[2:3], v[2:3], v[10:11]
	s_waitcnt lgkmcnt(1)
	v_pk_add_f32 v[6:7], v[2:3], v[12:13]
	ds_read2_b64 v[2:5], v1 offset0:9 offset1:10
	v_pk_add_f32 v[6:7], v[6:7], v[14:15]
	s_waitcnt lgkmcnt(1)
	v_pk_add_f32 v[6:7], v[6:7], v[16:17]
	v_pk_add_f32 v[10:11], v[6:7], v[18:19]
	ds_read2_b64 v[6:9], v1 offset0:11 offset1:12
	s_waitcnt lgkmcnt(1)
	v_pk_add_f32 v[2:3], v[10:11], v[2:3]
	ds_read2_b64 v[10:13], v1 offset0:13 offset1:14
	v_pk_add_f32 v[2:3], v[2:3], v[4:5]
	ds_read_b64 v[4:5], v1 offset:120
	s_waitcnt lgkmcnt(2)
	v_pk_add_f32 v[2:3], v[2:3], v[6:7]
	v_pk_add_f32 v[2:3], v[2:3], v[8:9]
	s_waitcnt lgkmcnt(1)
	v_pk_add_f32 v[2:3], v[2:3], v[10:11]
	v_pk_add_f32 v[2:3], v[2:3], v[12:13]
	s_waitcnt lgkmcnt(0)
	v_pk_add_f32 v[2:3], v[2:3], v[4:5]
	ds_write_b64 v1, v[2:3]
.LBB170_10:
	s_or_b64 exec, exec, s[4:5]
	s_waitcnt lgkmcnt(0)
	s_barrier
	s_and_saveexec_b64 s[4:5], s[0:1]
	s_cbranch_execz .LBB170_20
; %bb.11:
	s_mul_i32 s0, s8, s17
	s_mul_hi_u32 s1, s8, s16
	s_add_i32 s0, s1, s0
	s_mul_i32 s1, s22, s16
	s_add_i32 s1, s0, s1
	s_mul_i32 s0, s8, s16
	s_lshl_b64 s[0:1], s[0:1], 3
	s_add_u32 s0, s14, s0
	s_addc_u32 s1, s15, s1
	v_mov_b32_e32 v7, 0
	s_load_dwordx2 s[0:1], s[0:1], 0x0
	ds_read_b64 v[4:5], v7
	s_mov_b64 s[4:5], 0
	s_waitcnt lgkmcnt(0)
	v_mul_f32_e32 v1, s1, v5
	v_fma_f32 v2, v4, -s0, -v1
	v_mul_f32_e32 v1, s1, v4
	v_fma_f32 v4, s0, v5, -v1
	v_xad_u32 v1, v0, -1, s9
	s_movk_i32 s0, 0x3ff
	v_cmp_lt_u32_e32 vcc, s0, v1
	s_and_saveexec_b64 s[0:1], vcc
	s_xor_b64 s[0:1], exec, s[0:1]
	s_cbranch_execnz .LBB170_14
; %bb.12:
	s_andn2_saveexec_b64 s[0:1], s[0:1]
	s_cbranch_execnz .LBB170_17
.LBB170_13:
	s_or_b64 exec, exec, s[0:1]
	s_and_b64 exec, exec, s[4:5]
	s_cbranch_execnz .LBB170_18
	s_branch .LBB170_20
.LBB170_14:
	s_lshl_b64 s[4:5], s[10:11], 3
	s_add_u32 s6, s18, s4
	s_addc_u32 s7, s19, s5
	s_lshl_b64 s[4:5], s[2:3], 3
	s_add_u32 s6, s6, s4
	v_lshrrev_b32_e32 v1, 10, v1
	s_addc_u32 s7, s7, s5
	s_lshl_b64 s[4:5], s[20:21], 3
	v_add_u32_e32 v10, 1, v1
	s_add_u32 s6, s6, s4
	s_addc_u32 s7, s7, s5
	v_and_b32_e32 v11, 0x7ffffe, v10
	v_or_b32_e32 v1, 0x400, v0
	v_lshl_add_u32 v6, v0, 3, 0
	v_mov_b32_e32 v3, v2
	v_mov_b32_e32 v5, v4
	v_add_u32_e32 v12, 0x80, v6
	s_mov_b64 s[4:5], 0
	v_mov_b32_e32 v13, s7
	v_mov_b32_e32 v14, v11
	v_pk_mov_b32 v[8:9], v[0:1], v[0:1] op_sel:[0,1]
.LBB170_15:                             ; =>This Inner Loop Header: Depth=1
	v_mov_b32_e32 v6, v8
	v_lshlrev_b64 v[16:17], 3, v[6:7]
	v_mov_b32_e32 v6, v9
	v_add_co_u32_e32 v20, vcc, s6, v16
	v_addc_co_u32_e32 v21, vcc, v13, v17, vcc
	v_lshlrev_b64 v[16:17], 3, v[6:7]
	v_add_co_u32_e32 v22, vcc, s6, v16
	v_addc_co_u32_e32 v23, vcc, v13, v17, vcc
	global_load_dwordx2 v[24:25], v[20:21], off
	global_load_dwordx2 v[26:27], v[22:23], off
	ds_read2st64_b64 v[16:19], v12 offset1:16
	v_add_u32_e32 v14, -2, v14
	v_cmp_eq_u32_e32 vcc, 0, v14
	v_add_u32_e32 v8, 0x800, v8
	v_add_u32_e32 v12, 0x4000, v12
	s_waitcnt lgkmcnt(0)
	v_mov_b32_e32 v29, v18
	v_mov_b32_e32 v18, v17
	;; [unrolled: 1-line block ×3, first 2 shown]
	v_pk_mul_f32 v[16:17], v[4:5], v[18:19]
	v_pk_mul_f32 v[18:19], v[2:3], v[18:19]
	v_pk_fma_f32 v[16:17], v[2:3], v[28:29], v[16:17] neg_lo:[0,0,1] neg_hi:[0,0,1]
	v_pk_fma_f32 v[18:19], v[4:5], v[28:29], v[18:19]
	v_add_u32_e32 v9, 0x800, v9
	s_or_b64 s[4:5], vcc, s[4:5]
	s_waitcnt vmcnt(1)
	v_mov_b32_e32 v28, v24
	s_waitcnt vmcnt(0)
	v_mov_b32_e32 v29, v26
	v_mov_b32_e32 v26, v25
	v_pk_add_f32 v[16:17], v[28:29], v[16:17]
	v_pk_add_f32 v[18:19], v[26:27], v[18:19]
	v_mov_b32_e32 v24, v16
	v_mov_b32_e32 v25, v18
	;; [unrolled: 1-line block ×3, first 2 shown]
	global_store_dwordx2 v[20:21], v[24:25], off
	global_store_dwordx2 v[22:23], v[18:19], off
	s_andn2_b64 exec, exec, s[4:5]
	s_cbranch_execnz .LBB170_15
; %bb.16:
	s_or_b64 exec, exec, s[4:5]
	v_cmp_ne_u32_e32 vcc, v10, v11
	v_lshl_or_b32 v0, v11, 10, v0
	s_and_b64 s[4:5], vcc, exec
	s_andn2_saveexec_b64 s[0:1], s[0:1]
	s_cbranch_execz .LBB170_13
.LBB170_17:
	s_or_b64 s[4:5], s[4:5], exec
	s_or_b64 exec, exec, s[0:1]
	s_and_b64 exec, exec, s[4:5]
	s_cbranch_execz .LBB170_20
.LBB170_18:
	s_lshl_b64 s[0:1], s[10:11], 3
	s_lshl_b64 s[4:5], s[20:21], 3
	s_add_u32 s4, s0, s4
	s_addc_u32 s5, s1, s5
	s_lshl_b64 s[0:1], s[2:3], 3
	s_add_u32 s0, s4, s0
	v_lshl_add_u32 v1, v0, 3, 0
	s_addc_u32 s1, s5, s1
	v_add_u32_e32 v8, 0x80, v1
	v_mov_b32_e32 v1, 0
	s_add_u32 s0, s18, s0
	v_lshlrev_b64 v[6:7], 3, v[0:1]
	s_addc_u32 s1, s19, s1
	v_mov_b32_e32 v1, s1
	v_add_co_u32_e32 v6, vcc, s0, v6
	v_mov_b32_e32 v5, v4
	v_mov_b32_e32 v3, v2
	v_addc_co_u32_e32 v7, vcc, v1, v7, vcc
	s_mov_b64 s[0:1], 0
.LBB170_19:                             ; =>This Inner Loop Header: Depth=1
	global_load_dwordx2 v[10:11], v[6:7], off
	ds_read_b64 v[12:13], v8
	v_add_u32_e32 v0, 0x400, v0
	v_cmp_le_i32_e32 vcc, s9, v0
	s_or_b64 s[0:1], vcc, s[0:1]
	v_add_u32_e32 v8, 0x2000, v8
	s_waitcnt lgkmcnt(0)
	v_pk_mul_f32 v[14:15], v[4:5], v[12:13]
	v_pk_fma_f32 v[16:17], v[2:3], v[12:13], v[14:15] op_sel:[0,0,1] op_sel_hi:[1,1,0] neg_lo:[0,0,1] neg_hi:[0,0,1]
	v_pk_fma_f32 v[12:13], v[2:3], v[12:13], v[14:15] op_sel:[0,0,1] op_sel_hi:[1,1,0]
	v_mov_b32_e32 v17, v13
	s_waitcnt vmcnt(0)
	v_pk_add_f32 v[10:11], v[10:11], v[16:17]
	global_store_dwordx2 v[6:7], v[10:11], off
	v_add_co_u32_e32 v6, vcc, 0x2000, v6
	v_addc_co_u32_e32 v7, vcc, 0, v7, vcc
	s_andn2_b64 exec, exec, s[0:1]
	s_cbranch_execnz .LBB170_19
.LBB170_20:
	s_endpgm
	.section	.rodata,"a",@progbits
	.p2align	6, 0x0
	.amdhsa_kernel _ZN9rocsolver6v33100L16larf_left_kernelILi1024E19rocblas_complex_numIfEiPS3_EEvT1_S5_T2_lS5_lPKT0_lS6_lS5_l
		.amdhsa_group_segment_fixed_size 0
		.amdhsa_private_segment_fixed_size 0
		.amdhsa_kernarg_size 88
		.amdhsa_user_sgpr_count 6
		.amdhsa_user_sgpr_private_segment_buffer 1
		.amdhsa_user_sgpr_dispatch_ptr 0
		.amdhsa_user_sgpr_queue_ptr 0
		.amdhsa_user_sgpr_kernarg_segment_ptr 1
		.amdhsa_user_sgpr_dispatch_id 0
		.amdhsa_user_sgpr_flat_scratch_init 0
		.amdhsa_user_sgpr_kernarg_preload_length 0
		.amdhsa_user_sgpr_kernarg_preload_offset 0
		.amdhsa_user_sgpr_private_segment_size 0
		.amdhsa_uses_dynamic_stack 0
		.amdhsa_system_sgpr_private_segment_wavefront_offset 0
		.amdhsa_system_sgpr_workgroup_id_x 1
		.amdhsa_system_sgpr_workgroup_id_y 1
		.amdhsa_system_sgpr_workgroup_id_z 1
		.amdhsa_system_sgpr_workgroup_info 0
		.amdhsa_system_vgpr_workitem_id 0
		.amdhsa_next_free_vgpr 30
		.amdhsa_next_free_sgpr 32
		.amdhsa_accum_offset 32
		.amdhsa_reserve_vcc 1
		.amdhsa_reserve_flat_scratch 0
		.amdhsa_float_round_mode_32 0
		.amdhsa_float_round_mode_16_64 0
		.amdhsa_float_denorm_mode_32 3
		.amdhsa_float_denorm_mode_16_64 3
		.amdhsa_dx10_clamp 1
		.amdhsa_ieee_mode 1
		.amdhsa_fp16_overflow 0
		.amdhsa_tg_split 0
		.amdhsa_exception_fp_ieee_invalid_op 0
		.amdhsa_exception_fp_denorm_src 0
		.amdhsa_exception_fp_ieee_div_zero 0
		.amdhsa_exception_fp_ieee_overflow 0
		.amdhsa_exception_fp_ieee_underflow 0
		.amdhsa_exception_fp_ieee_inexact 0
		.amdhsa_exception_int_div_zero 0
	.end_amdhsa_kernel
	.section	.text._ZN9rocsolver6v33100L16larf_left_kernelILi1024E19rocblas_complex_numIfEiPS3_EEvT1_S5_T2_lS5_lPKT0_lS6_lS5_l,"axG",@progbits,_ZN9rocsolver6v33100L16larf_left_kernelILi1024E19rocblas_complex_numIfEiPS3_EEvT1_S5_T2_lS5_lPKT0_lS6_lS5_l,comdat
.Lfunc_end170:
	.size	_ZN9rocsolver6v33100L16larf_left_kernelILi1024E19rocblas_complex_numIfEiPS3_EEvT1_S5_T2_lS5_lPKT0_lS6_lS5_l, .Lfunc_end170-_ZN9rocsolver6v33100L16larf_left_kernelILi1024E19rocblas_complex_numIfEiPS3_EEvT1_S5_T2_lS5_lPKT0_lS6_lS5_l
                                        ; -- End function
	.section	.AMDGPU.csdata,"",@progbits
; Kernel info:
; codeLenInByte = 1884
; NumSgprs: 36
; NumVgprs: 30
; NumAgprs: 0
; TotalNumVgprs: 30
; ScratchSize: 0
; MemoryBound: 0
; FloatMode: 240
; IeeeMode: 1
; LDSByteSize: 0 bytes/workgroup (compile time only)
; SGPRBlocks: 4
; VGPRBlocks: 3
; NumSGPRsForWavesPerEU: 36
; NumVGPRsForWavesPerEU: 30
; AccumOffset: 32
; Occupancy: 8
; WaveLimiterHint : 0
; COMPUTE_PGM_RSRC2:SCRATCH_EN: 0
; COMPUTE_PGM_RSRC2:USER_SGPR: 6
; COMPUTE_PGM_RSRC2:TRAP_HANDLER: 0
; COMPUTE_PGM_RSRC2:TGID_X_EN: 1
; COMPUTE_PGM_RSRC2:TGID_Y_EN: 1
; COMPUTE_PGM_RSRC2:TGID_Z_EN: 1
; COMPUTE_PGM_RSRC2:TIDIG_COMP_CNT: 0
; COMPUTE_PGM_RSRC3_GFX90A:ACCUM_OFFSET: 7
; COMPUTE_PGM_RSRC3_GFX90A:TG_SPLIT: 0
	.section	.text._ZN9rocsolver6v33100L17larf_right_kernelILi1024E19rocblas_complex_numIfEiPS3_EEvT1_S5_T2_lS5_lPKT0_lS6_lS5_l,"axG",@progbits,_ZN9rocsolver6v33100L17larf_right_kernelILi1024E19rocblas_complex_numIfEiPS3_EEvT1_S5_T2_lS5_lPKT0_lS6_lS5_l,comdat
	.globl	_ZN9rocsolver6v33100L17larf_right_kernelILi1024E19rocblas_complex_numIfEiPS3_EEvT1_S5_T2_lS5_lPKT0_lS6_lS5_l ; -- Begin function _ZN9rocsolver6v33100L17larf_right_kernelILi1024E19rocblas_complex_numIfEiPS3_EEvT1_S5_T2_lS5_lPKT0_lS6_lS5_l
	.p2align	8
	.type	_ZN9rocsolver6v33100L17larf_right_kernelILi1024E19rocblas_complex_numIfEiPS3_EEvT1_S5_T2_lS5_lPKT0_lS6_lS5_l,@function
_ZN9rocsolver6v33100L17larf_right_kernelILi1024E19rocblas_complex_numIfEiPS3_EEvT1_S5_T2_lS5_lPKT0_lS6_lS5_l: ; @_ZN9rocsolver6v33100L17larf_right_kernelILi1024E19rocblas_complex_numIfEiPS3_EEvT1_S5_T2_lS5_lPKT0_lS6_lS5_l
; %bb.0:
	s_load_dword s9, s[4:5], 0x4
	s_load_dwordx8 s[12:19], s[4:5], 0x20
	s_load_dwordx2 s[10:11], s[4:5], 0x40
	s_load_dword s2, s[4:5], 0x48
	s_load_dwordx2 s[0:1], s[4:5], 0x50
	s_ashr_i32 s27, s8, 31
	v_mov_b32_e32 v3, 0
	s_mov_b32 s6, s7
	s_ashr_i32 s7, s7, 31
	s_waitcnt lgkmcnt(0)
	v_cmp_gt_i32_e32 vcc, s9, v0
	v_lshl_add_u32 v1, v0, 3, 0
	s_mul_i32 s24, s0, s27
	s_mul_hi_u32 s25, s0, s8
	s_mul_i32 s26, s1, s8
	s_mul_i32 s20, s0, s8
	v_mov_b32_e32 v2, v3
	s_and_saveexec_b64 s[22:23], vcc
	s_cbranch_execz .LBB171_6
; %bb.1:
	s_load_dword s34, s[4:5], 0x18
	s_load_dwordx4 s[28:31], s[4:5], 0x8
	s_sub_i32 s0, 1, s9
	s_mul_hi_u32 s4, s12, s8
	v_add_u32_e32 v6, 0x80, v1
	s_waitcnt lgkmcnt(0)
	s_ashr_i32 s35, s34, 31
	s_mul_i32 s3, s0, s34
	v_cmp_lt_i64_e64 s[0:1], s[34:35], 1
	s_and_b64 s[0:1], s[0:1], exec
	s_cselect_b32 s0, s3, 0
	s_mul_i32 s3, s12, s27
	s_add_i32 s3, s4, s3
	s_mul_i32 s4, s13, s8
	s_ashr_i32 s1, s0, 31
	s_add_i32 s5, s3, s4
	s_mul_i32 s4, s12, s8
	v_mad_i64_i32 v[2:3], s[12:13], s34, v0, 0
	s_lshl_b64 s[4:5], s[4:5], 3
	s_lshl_b64 s[12:13], s[30:31], 3
	;; [unrolled: 1-line block ×3, first 2 shown]
	s_add_u32 s0, s28, s0
	s_addc_u32 s1, s29, s1
	s_add_u32 s0, s0, s12
	s_addc_u32 s1, s1, s13
	s_add_u32 s0, s0, s4
	v_lshlrev_b64 v[2:3], 3, v[2:3]
	s_addc_u32 s1, s1, s5
	v_mov_b32_e32 v4, s1
	v_add_co_u32_e64 v2, s[0:1], s0, v2
	s_lshl_b64 s[12:13], s[34:35], 13
	v_addc_co_u32_e64 v3, s[0:1], v4, v3, s[0:1]
	s_mov_b64 s[4:5], 0
	v_mov_b32_e32 v4, s13
	v_mov_b32_e32 v5, v6
	v_mov_b32_e32 v7, v0
.LBB171_2:                              ; =>This Inner Loop Header: Depth=1
	global_load_dwordx2 v[8:9], v[2:3], off
	v_add_co_u32_e64 v2, s[0:1], s12, v2
	v_add_u32_e32 v7, 0x400, v7
	v_addc_co_u32_e64 v3, s[0:1], v3, v4, s[0:1]
	v_cmp_le_i32_e64 s[0:1], s9, v7
	s_or_b64 s[4:5], s[0:1], s[4:5]
	s_waitcnt vmcnt(0)
	ds_write_b64 v5, v[8:9]
	v_add_u32_e32 v5, 0x2000, v5
	s_andn2_b64 exec, exec, s[4:5]
	s_cbranch_execnz .LBB171_2
; %bb.3:
	s_or_b64 exec, exec, s[4:5]
	s_add_i32 s0, s25, s24
	s_add_i32 s21, s0, s26
	v_mad_i64_i32 v[2:3], s[4:5], s2, v0, 0
	s_ashr_i32 s3, s2, 31
	s_lshl_b64 s[0:1], s[20:21], 3
	s_lshl_b64 s[4:5], s[10:11], 3
	;; [unrolled: 1-line block ×3, first 2 shown]
	s_add_u32 s12, s18, s12
	s_addc_u32 s13, s19, s13
	s_add_u32 s4, s12, s4
	s_addc_u32 s5, s13, s5
	s_add_u32 s0, s4, s0
	v_lshlrev_b64 v[2:3], 3, v[2:3]
	s_addc_u32 s1, s5, s1
	v_mov_b32_e32 v5, s1
	v_add_co_u32_e64 v4, s[0:1], s0, v2
	v_addc_co_u32_e64 v5, s[0:1], v5, v3, s[0:1]
	s_lshl_b64 s[12:13], s[2:3], 13
	v_mov_b32_e32 v3, 0
	s_mov_b64 s[4:5], 0
	v_mov_b32_e32 v7, s13
	v_mov_b32_e32 v8, v0
	;; [unrolled: 1-line block ×3, first 2 shown]
.LBB171_4:                              ; =>This Inner Loop Header: Depth=1
	global_load_dwordx2 v[10:11], v[4:5], off
	ds_read_b64 v[12:13], v6
	v_add_co_u32_e64 v4, s[0:1], s12, v4
	v_add_u32_e32 v8, 0x400, v8
	v_addc_co_u32_e64 v5, s[0:1], v5, v7, s[0:1]
	v_cmp_le_i32_e64 s[0:1], s9, v8
	v_add_u32_e32 v6, 0x2000, v6
	s_or_b64 s[4:5], s[0:1], s[4:5]
	s_waitcnt vmcnt(0) lgkmcnt(0)
	v_mul_f32_e32 v9, v13, v11
	v_mul_f32_e32 v11, v12, v11
	v_fma_f32 v9, v12, v10, -v9
	v_fmac_f32_e32 v11, v13, v10
	v_add_f32_e32 v2, v2, v9
	v_add_f32_e32 v3, v3, v11
	s_andn2_b64 exec, exec, s[4:5]
	s_cbranch_execnz .LBB171_4
; %bb.5:
	s_or_b64 exec, exec, s[4:5]
.LBB171_6:
	s_or_b64 exec, exec, s[22:23]
	v_mbcnt_lo_u32_b32 v4, -1, 0
	v_mbcnt_hi_u32_b32 v6, -1, v4
	v_and_b32_e32 v7, 63, v6
	v_cmp_ne_u32_e64 s[0:1], 63, v7
	v_addc_co_u32_e64 v4, s[0:1], 0, v6, s[0:1]
	v_lshlrev_b32_e32 v5, 2, v4
	ds_bpermute_b32 v4, v5, v2
	ds_bpermute_b32 v5, v5, v3
	v_cmp_gt_u32_e64 s[0:1], 62, v7
	v_cndmask_b32_e64 v8, 0, 1, s[0:1]
	v_lshlrev_b32_e32 v8, 1, v8
	v_add_lshl_u32 v8, v8, v6, 2
	s_waitcnt lgkmcnt(0)
	v_pk_add_f32 v[2:3], v[2:3], v[4:5]
	ds_bpermute_b32 v4, v8, v2
	ds_bpermute_b32 v5, v8, v3
	v_cmp_gt_u32_e64 s[0:1], 60, v7
	v_cndmask_b32_e64 v8, 0, 1, s[0:1]
	v_lshlrev_b32_e32 v8, 2, v8
	v_add_lshl_u32 v8, v8, v6, 2
	s_waitcnt lgkmcnt(0)
	v_pk_add_f32 v[2:3], v[2:3], v[4:5]
	;; [unrolled: 8-line block ×5, first 2 shown]
	ds_bpermute_b32 v4, v6, v2
	ds_bpermute_b32 v5, v6, v3
	s_waitcnt lgkmcnt(0)
	v_pk_add_f32 v[2:3], v[2:3], v[4:5]
	v_and_b32_e32 v4, 63, v0
	v_cmp_eq_u32_e64 s[0:1], 0, v4
	s_and_saveexec_b64 s[4:5], s[0:1]
	s_cbranch_execz .LBB171_8
; %bb.7:
	v_lshrrev_b32_e32 v4, 3, v0
	v_add_u32_e32 v4, 0, v4
	ds_write2_b32 v4, v2, v3 offset1:1
.LBB171_8:
	s_or_b64 exec, exec, s[4:5]
	v_cmp_eq_u32_e64 s[0:1], 0, v0
	s_waitcnt lgkmcnt(0)
	s_barrier
	s_and_saveexec_b64 s[4:5], s[0:1]
	s_cbranch_execz .LBB171_10
; %bb.9:
	v_mov_b32_e32 v20, 0
	ds_read2_b64 v[4:7], v20 offset0:1 offset1:2
	ds_read2_b64 v[8:11], v20 offset0:3 offset1:4
	;; [unrolled: 1-line block ×4, first 2 shown]
	s_waitcnt lgkmcnt(3)
	v_pk_add_f32 v[2:3], v[2:3], v[4:5]
	v_pk_add_f32 v[2:3], v[2:3], v[6:7]
	s_waitcnt lgkmcnt(2)
	v_pk_add_f32 v[2:3], v[2:3], v[8:9]
	v_pk_add_f32 v[2:3], v[2:3], v[10:11]
	s_waitcnt lgkmcnt(1)
	v_pk_add_f32 v[6:7], v[2:3], v[12:13]
	ds_read2_b64 v[2:5], v20 offset0:9 offset1:10
	v_pk_add_f32 v[6:7], v[6:7], v[14:15]
	s_waitcnt lgkmcnt(1)
	v_pk_add_f32 v[6:7], v[6:7], v[16:17]
	v_pk_add_f32 v[10:11], v[6:7], v[18:19]
	ds_read2_b64 v[6:9], v20 offset0:11 offset1:12
	s_waitcnt lgkmcnt(1)
	v_pk_add_f32 v[2:3], v[10:11], v[2:3]
	ds_read2_b64 v[10:13], v20 offset0:13 offset1:14
	v_pk_add_f32 v[2:3], v[2:3], v[4:5]
	ds_read_b64 v[4:5], v20 offset:120
	s_waitcnt lgkmcnt(2)
	v_pk_add_f32 v[2:3], v[2:3], v[6:7]
	v_pk_add_f32 v[2:3], v[2:3], v[8:9]
	s_waitcnt lgkmcnt(1)
	v_pk_add_f32 v[2:3], v[2:3], v[10:11]
	v_pk_add_f32 v[2:3], v[2:3], v[12:13]
	s_waitcnt lgkmcnt(0)
	v_pk_add_f32 v[2:3], v[2:3], v[4:5]
	ds_write_b64 v20, v[2:3]
.LBB171_10:
	s_or_b64 exec, exec, s[4:5]
	s_waitcnt lgkmcnt(0)
	s_barrier
	s_and_saveexec_b64 s[0:1], vcc
	s_cbranch_execz .LBB171_13
; %bb.11:
	s_mul_i32 s0, s8, s17
	s_mul_hi_u32 s1, s8, s16
	s_add_i32 s0, s1, s0
	s_mul_i32 s1, s27, s16
	s_add_i32 s1, s0, s1
	s_mul_i32 s0, s8, s16
	s_lshl_b64 s[0:1], s[0:1], 3
	s_add_u32 s0, s14, s0
	s_addc_u32 s1, s15, s1
	v_mov_b32_e32 v2, 0
	ds_read_b64 v[4:5], v2
	s_load_dwordx2 s[0:1], s[0:1], 0x0
	v_mad_i64_i32 v[6:7], s[4:5], s2, v0, 0
	s_ashr_i32 s3, s2, 31
	s_lshl_b64 s[4:5], s[10:11], 3
	s_waitcnt lgkmcnt(0)
	v_mul_f32_e32 v2, s0, v5
	v_mul_f32_e32 v3, s0, v4
	s_add_i32 s0, s25, s24
	s_add_i32 s21, s0, s26
	v_fma_f32 v2, v4, -s1, -v2
	v_fma_f32 v4, s1, v5, -v3
	s_lshl_b64 s[0:1], s[20:21], 3
	s_lshl_b64 s[6:7], s[6:7], 3
	s_add_u32 s6, s18, s6
	s_addc_u32 s7, s19, s7
	s_add_u32 s4, s6, s4
	s_addc_u32 s5, s7, s5
	s_add_u32 s0, s4, s0
	v_lshlrev_b64 v[6:7], 3, v[6:7]
	s_addc_u32 s1, s5, s1
	v_mov_b32_e32 v8, s1
	v_add_co_u32_e32 v6, vcc, s0, v6
	s_lshl_b64 s[0:1], s[2:3], 13
	v_mov_b32_e32 v3, v2
	v_mov_b32_e32 v5, v4
	v_add_u32_e32 v1, 0x80, v1
	v_addc_co_u32_e32 v7, vcc, v8, v7, vcc
	s_mov_b64 s[2:3], 0
	v_mov_b32_e32 v8, s1
.LBB171_12:                             ; =>This Inner Loop Header: Depth=1
	global_load_dwordx2 v[10:11], v[6:7], off
	ds_read_b64 v[12:13], v1
	v_add_u32_e32 v0, 0x400, v0
	v_cmp_le_i32_e32 vcc, s9, v0
	s_or_b64 s[2:3], vcc, s[2:3]
	v_add_u32_e32 v1, 0x2000, v1
	s_waitcnt lgkmcnt(0)
	v_pk_mul_f32 v[14:15], v[2:3], v[12:13]
	v_pk_fma_f32 v[16:17], v[4:5], v[12:13], v[14:15] op_sel:[0,0,1] op_sel_hi:[1,1,0]
	v_pk_fma_f32 v[12:13], v[4:5], v[12:13], v[14:15] op_sel:[0,0,1] op_sel_hi:[1,1,0] neg_lo:[1,0,0] neg_hi:[1,0,0]
	v_mov_b32_e32 v17, v13
	s_waitcnt vmcnt(0)
	v_pk_add_f32 v[10:11], v[10:11], v[16:17]
	global_store_dwordx2 v[6:7], v[10:11], off
	v_add_co_u32_e32 v6, vcc, s0, v6
	v_addc_co_u32_e32 v7, vcc, v7, v8, vcc
	s_andn2_b64 exec, exec, s[2:3]
	s_cbranch_execnz .LBB171_12
.LBB171_13:
	s_endpgm
	.section	.rodata,"a",@progbits
	.p2align	6, 0x0
	.amdhsa_kernel _ZN9rocsolver6v33100L17larf_right_kernelILi1024E19rocblas_complex_numIfEiPS3_EEvT1_S5_T2_lS5_lPKT0_lS6_lS5_l
		.amdhsa_group_segment_fixed_size 0
		.amdhsa_private_segment_fixed_size 0
		.amdhsa_kernarg_size 88
		.amdhsa_user_sgpr_count 6
		.amdhsa_user_sgpr_private_segment_buffer 1
		.amdhsa_user_sgpr_dispatch_ptr 0
		.amdhsa_user_sgpr_queue_ptr 0
		.amdhsa_user_sgpr_kernarg_segment_ptr 1
		.amdhsa_user_sgpr_dispatch_id 0
		.amdhsa_user_sgpr_flat_scratch_init 0
		.amdhsa_user_sgpr_kernarg_preload_length 0
		.amdhsa_user_sgpr_kernarg_preload_offset 0
		.amdhsa_user_sgpr_private_segment_size 0
		.amdhsa_uses_dynamic_stack 0
		.amdhsa_system_sgpr_private_segment_wavefront_offset 0
		.amdhsa_system_sgpr_workgroup_id_x 1
		.amdhsa_system_sgpr_workgroup_id_y 1
		.amdhsa_system_sgpr_workgroup_id_z 1
		.amdhsa_system_sgpr_workgroup_info 0
		.amdhsa_system_vgpr_workitem_id 0
		.amdhsa_next_free_vgpr 21
		.amdhsa_next_free_sgpr 36
		.amdhsa_accum_offset 24
		.amdhsa_reserve_vcc 1
		.amdhsa_reserve_flat_scratch 0
		.amdhsa_float_round_mode_32 0
		.amdhsa_float_round_mode_16_64 0
		.amdhsa_float_denorm_mode_32 3
		.amdhsa_float_denorm_mode_16_64 3
		.amdhsa_dx10_clamp 1
		.amdhsa_ieee_mode 1
		.amdhsa_fp16_overflow 0
		.amdhsa_tg_split 0
		.amdhsa_exception_fp_ieee_invalid_op 0
		.amdhsa_exception_fp_denorm_src 0
		.amdhsa_exception_fp_ieee_div_zero 0
		.amdhsa_exception_fp_ieee_overflow 0
		.amdhsa_exception_fp_ieee_underflow 0
		.amdhsa_exception_fp_ieee_inexact 0
		.amdhsa_exception_int_div_zero 0
	.end_amdhsa_kernel
	.section	.text._ZN9rocsolver6v33100L17larf_right_kernelILi1024E19rocblas_complex_numIfEiPS3_EEvT1_S5_T2_lS5_lPKT0_lS6_lS5_l,"axG",@progbits,_ZN9rocsolver6v33100L17larf_right_kernelILi1024E19rocblas_complex_numIfEiPS3_EEvT1_S5_T2_lS5_lPKT0_lS6_lS5_l,comdat
.Lfunc_end171:
	.size	_ZN9rocsolver6v33100L17larf_right_kernelILi1024E19rocblas_complex_numIfEiPS3_EEvT1_S5_T2_lS5_lPKT0_lS6_lS5_l, .Lfunc_end171-_ZN9rocsolver6v33100L17larf_right_kernelILi1024E19rocblas_complex_numIfEiPS3_EEvT1_S5_T2_lS5_lPKT0_lS6_lS5_l
                                        ; -- End function
	.section	.AMDGPU.csdata,"",@progbits
; Kernel info:
; codeLenInByte = 1528
; NumSgprs: 40
; NumVgprs: 21
; NumAgprs: 0
; TotalNumVgprs: 21
; ScratchSize: 0
; MemoryBound: 0
; FloatMode: 240
; IeeeMode: 1
; LDSByteSize: 0 bytes/workgroup (compile time only)
; SGPRBlocks: 4
; VGPRBlocks: 2
; NumSGPRsForWavesPerEU: 40
; NumVGPRsForWavesPerEU: 21
; AccumOffset: 24
; Occupancy: 8
; WaveLimiterHint : 0
; COMPUTE_PGM_RSRC2:SCRATCH_EN: 0
; COMPUTE_PGM_RSRC2:USER_SGPR: 6
; COMPUTE_PGM_RSRC2:TRAP_HANDLER: 0
; COMPUTE_PGM_RSRC2:TGID_X_EN: 1
; COMPUTE_PGM_RSRC2:TGID_Y_EN: 1
; COMPUTE_PGM_RSRC2:TGID_Z_EN: 1
; COMPUTE_PGM_RSRC2:TIDIG_COMP_CNT: 0
; COMPUTE_PGM_RSRC3_GFX90A:ACCUM_OFFSET: 5
; COMPUTE_PGM_RSRC3_GFX90A:TG_SPLIT: 0
	.section	.text._ZN9rocsolver6v33100L12subtract_tauI19rocblas_complex_numIfEPS3_EEviiT0_iilPT_l,"axG",@progbits,_ZN9rocsolver6v33100L12subtract_tauI19rocblas_complex_numIfEPS3_EEviiT0_iilPT_l,comdat
	.globl	_ZN9rocsolver6v33100L12subtract_tauI19rocblas_complex_numIfEPS3_EEviiT0_iilPT_l ; -- Begin function _ZN9rocsolver6v33100L12subtract_tauI19rocblas_complex_numIfEPS3_EEviiT0_iilPT_l
	.p2align	8
	.type	_ZN9rocsolver6v33100L12subtract_tauI19rocblas_complex_numIfEPS3_EEviiT0_iilPT_l,@function
_ZN9rocsolver6v33100L12subtract_tauI19rocblas_complex_numIfEPS3_EEviiT0_iilPT_l: ; @_ZN9rocsolver6v33100L12subtract_tauI19rocblas_complex_numIfEPS3_EEviiT0_iilPT_l
; %bb.0:
	s_load_dwordx2 s[12:13], s[4:5], 0x10
	s_load_dwordx4 s[0:3], s[4:5], 0x18
	s_load_dwordx4 s[8:11], s[4:5], 0x0
	s_load_dwordx2 s[14:15], s[4:5], 0x28
	v_mov_b32_e32 v2, 0
	s_waitcnt lgkmcnt(0)
	s_ashr_i32 s5, s12, 31
	s_mul_i32 s1, s6, s1
	s_mul_hi_u32 s7, s6, s0
	s_add_i32 s1, s7, s1
	s_mul_i32 s0, s6, s0
	s_lshl_b64 s[0:1], s[0:1], 3
	s_mov_b32 s4, s12
	s_add_u32 s7, s10, s0
	s_addc_u32 s10, s11, s1
	s_lshl_b64 s[0:1], s[4:5], 3
	s_add_u32 s4, s7, s0
	s_addc_u32 s5, s10, s1
	s_mul_i32 s0, s6, s15
	s_mul_hi_u32 s1, s6, s14
	s_add_i32 s1, s1, s0
	s_mul_i32 s0, s6, s14
	s_lshl_b64 s[0:1], s[0:1], 3
	s_add_u32 s0, s2, s0
	s_addc_u32 s1, s3, s1
	s_load_dwordx2 s[2:3], s[0:1], 0x0
	s_waitcnt lgkmcnt(0)
	s_xor_b32 s3, s3, 0x80000000
	s_xor_b32 s6, s2, 0x80000000
	v_mov_b32_e32 v0, s6
	v_mov_b32_e32 v1, s3
	global_store_dwordx2 v2, v[0:1], s[0:1]
	s_mul_i32 s0, s13, s9
	s_add_i32 s0, s0, s8
	s_ashr_i32 s1, s0, 31
	s_lshl_b64 s[0:1], s[0:1], 3
	s_add_u32 s0, s4, s0
	v_sub_f32_e64 v0, 1.0, s2
	s_addc_u32 s1, s5, s1
	global_store_dwordx2 v2, v[0:1], s[0:1]
	s_endpgm
	.section	.rodata,"a",@progbits
	.p2align	6, 0x0
	.amdhsa_kernel _ZN9rocsolver6v33100L12subtract_tauI19rocblas_complex_numIfEPS3_EEviiT0_iilPT_l
		.amdhsa_group_segment_fixed_size 0
		.amdhsa_private_segment_fixed_size 0
		.amdhsa_kernarg_size 48
		.amdhsa_user_sgpr_count 6
		.amdhsa_user_sgpr_private_segment_buffer 1
		.amdhsa_user_sgpr_dispatch_ptr 0
		.amdhsa_user_sgpr_queue_ptr 0
		.amdhsa_user_sgpr_kernarg_segment_ptr 1
		.amdhsa_user_sgpr_dispatch_id 0
		.amdhsa_user_sgpr_flat_scratch_init 0
		.amdhsa_user_sgpr_kernarg_preload_length 0
		.amdhsa_user_sgpr_kernarg_preload_offset 0
		.amdhsa_user_sgpr_private_segment_size 0
		.amdhsa_uses_dynamic_stack 0
		.amdhsa_system_sgpr_private_segment_wavefront_offset 0
		.amdhsa_system_sgpr_workgroup_id_x 1
		.amdhsa_system_sgpr_workgroup_id_y 0
		.amdhsa_system_sgpr_workgroup_id_z 0
		.amdhsa_system_sgpr_workgroup_info 0
		.amdhsa_system_vgpr_workitem_id 0
		.amdhsa_next_free_vgpr 3
		.amdhsa_next_free_sgpr 16
		.amdhsa_accum_offset 4
		.amdhsa_reserve_vcc 0
		.amdhsa_reserve_flat_scratch 0
		.amdhsa_float_round_mode_32 0
		.amdhsa_float_round_mode_16_64 0
		.amdhsa_float_denorm_mode_32 3
		.amdhsa_float_denorm_mode_16_64 3
		.amdhsa_dx10_clamp 1
		.amdhsa_ieee_mode 1
		.amdhsa_fp16_overflow 0
		.amdhsa_tg_split 0
		.amdhsa_exception_fp_ieee_invalid_op 0
		.amdhsa_exception_fp_denorm_src 0
		.amdhsa_exception_fp_ieee_div_zero 0
		.amdhsa_exception_fp_ieee_overflow 0
		.amdhsa_exception_fp_ieee_underflow 0
		.amdhsa_exception_fp_ieee_inexact 0
		.amdhsa_exception_int_div_zero 0
	.end_amdhsa_kernel
	.section	.text._ZN9rocsolver6v33100L12subtract_tauI19rocblas_complex_numIfEPS3_EEviiT0_iilPT_l,"axG",@progbits,_ZN9rocsolver6v33100L12subtract_tauI19rocblas_complex_numIfEPS3_EEviiT0_iilPT_l,comdat
.Lfunc_end172:
	.size	_ZN9rocsolver6v33100L12subtract_tauI19rocblas_complex_numIfEPS3_EEviiT0_iilPT_l, .Lfunc_end172-_ZN9rocsolver6v33100L12subtract_tauI19rocblas_complex_numIfEPS3_EEviiT0_iilPT_l
                                        ; -- End function
	.section	.AMDGPU.csdata,"",@progbits
; Kernel info:
; codeLenInByte = 204
; NumSgprs: 20
; NumVgprs: 3
; NumAgprs: 0
; TotalNumVgprs: 3
; ScratchSize: 0
; MemoryBound: 0
; FloatMode: 240
; IeeeMode: 1
; LDSByteSize: 0 bytes/workgroup (compile time only)
; SGPRBlocks: 2
; VGPRBlocks: 0
; NumSGPRsForWavesPerEU: 20
; NumVGPRsForWavesPerEU: 3
; AccumOffset: 4
; Occupancy: 8
; WaveLimiterHint : 0
; COMPUTE_PGM_RSRC2:SCRATCH_EN: 0
; COMPUTE_PGM_RSRC2:USER_SGPR: 6
; COMPUTE_PGM_RSRC2:TRAP_HANDLER: 0
; COMPUTE_PGM_RSRC2:TGID_X_EN: 1
; COMPUTE_PGM_RSRC2:TGID_Y_EN: 0
; COMPUTE_PGM_RSRC2:TGID_Z_EN: 0
; COMPUTE_PGM_RSRC2:TIDIG_COMP_CNT: 0
; COMPUTE_PGM_RSRC3_GFX90A:ACCUM_OFFSET: 0
; COMPUTE_PGM_RSRC3_GFX90A:TG_SPLIT: 0
	.section	.text._ZN9rocsolver6v33100L14set_triangularI19rocblas_complex_numIfEPS3_TnNSt9enable_ifIX18rocblas_is_complexIT_EEiE4typeELi0EEEviiT0_iilPS6_lSA_il15rocblas_direct_15rocblas_storev_b,"axG",@progbits,_ZN9rocsolver6v33100L14set_triangularI19rocblas_complex_numIfEPS3_TnNSt9enable_ifIX18rocblas_is_complexIT_EEiE4typeELi0EEEviiT0_iilPS6_lSA_il15rocblas_direct_15rocblas_storev_b,comdat
	.globl	_ZN9rocsolver6v33100L14set_triangularI19rocblas_complex_numIfEPS3_TnNSt9enable_ifIX18rocblas_is_complexIT_EEiE4typeELi0EEEviiT0_iilPS6_lSA_il15rocblas_direct_15rocblas_storev_b ; -- Begin function _ZN9rocsolver6v33100L14set_triangularI19rocblas_complex_numIfEPS3_TnNSt9enable_ifIX18rocblas_is_complexIT_EEiE4typeELi0EEEviiT0_iilPS6_lSA_il15rocblas_direct_15rocblas_storev_b
	.p2align	8
	.type	_ZN9rocsolver6v33100L14set_triangularI19rocblas_complex_numIfEPS3_TnNSt9enable_ifIX18rocblas_is_complexIT_EEiE4typeELi0EEEviiT0_iilPS6_lSA_il15rocblas_direct_15rocblas_storev_b,@function
_ZN9rocsolver6v33100L14set_triangularI19rocblas_complex_numIfEPS3_TnNSt9enable_ifIX18rocblas_is_complexIT_EEiE4typeELi0EEEviiT0_iilPS6_lSA_il15rocblas_direct_15rocblas_storev_b: ; @_ZN9rocsolver6v33100L14set_triangularI19rocblas_complex_numIfEPS3_TnNSt9enable_ifIX18rocblas_is_complexIT_EEiE4typeELi0EEEviiT0_iilPS6_lSA_il15rocblas_direct_15rocblas_storev_b
; %bb.0:
	s_load_dword s0, s[4:5], 0x64
	s_load_dwordx2 s[20:21], s[4:5], 0x0
	v_and_b32_e32 v1, 0x3ff, v0
	v_bfe_u32 v0, v0, 10, 10
	s_waitcnt lgkmcnt(0)
	s_lshr_b32 s1, s0, 16
	s_and_b32 s0, s0, 0xffff
	s_mul_i32 s6, s6, s0
	s_mul_i32 s7, s7, s1
	v_add_u32_e32 v2, s6, v1
	v_add_u32_e32 v0, s7, v0
	v_max_u32_e32 v1, v2, v0
	v_cmp_gt_u32_e32 vcc, s21, v1
	s_and_saveexec_b64 s[0:1], vcc
	s_cbranch_execz .LBB173_36
; %bb.1:
	s_load_dwordx8 s[12:19], s[4:5], 0x18
	s_load_dword s22, s[4:5], 0x38
	s_load_dwordx2 s[0:1], s[4:5], 0x40
	v_cmp_ne_u32_e32 vcc, v0, v2
	s_waitcnt lgkmcnt(0)
	s_mul_i32 s3, s8, s17
	s_mul_hi_u32 s6, s8, s16
	s_mul_i32 s2, s8, s16
	s_add_i32 s3, s6, s3
	s_lshl_b64 s[2:3], s[2:3], 3
	s_add_u32 s16, s14, s2
	s_mul_i32 s1, s8, s1
	s_mul_hi_u32 s2, s8, s0
	s_addc_u32 s17, s15, s3
	s_add_i32 s1, s2, s1
	s_mul_i32 s0, s8, s0
	s_lshl_b64 s[0:1], s[0:1], 3
	s_add_u32 s14, s18, s0
	s_addc_u32 s15, s19, s1
	s_and_saveexec_b64 s[0:1], vcc
	s_xor_b64 s[10:11], exec, s[0:1]
	s_cbranch_execz .LBB173_34
; %bb.2:
	s_load_dwordx4 s[0:3], s[4:5], 0x8
	s_mul_i32 s9, s8, s13
	s_mul_hi_u32 s13, s8, s12
	s_add_i32 s9, s13, s9
	s_mul_i32 s8, s8, s12
	s_load_dwordx4 s[4:7], s[4:5], 0x48
	s_waitcnt lgkmcnt(0)
	s_ashr_i32 s19, s2, 31
	s_lshl_b64 s[8:9], s[8:9], 3
	s_mov_b32 s18, s2
	s_add_u32 s2, s0, s8
	s_addc_u32 s7, s1, s9
	s_lshl_b64 s[0:1], s[18:19], 3
	s_add_u32 s2, s2, s0
	s_addc_u32 s12, s7, s1
	s_bitcmp1_b32 s6, 0
	s_cselect_b64 s[0:1], -1, 0
	s_xor_b64 s[0:1], s[0:1], -1
	s_mov_b64 s[6:7], -1
	s_cmpk_lg_i32 s4, 0xab
	v_mov_b32_e32 v3, 0
	s_cbranch_scc0 .LBB173_18
; %bb.3:
	v_cmp_le_u32_e32 vcc, v0, v2
	s_and_saveexec_b64 s[6:7], vcc
	s_xor_b64 s[6:7], exec, s[6:7]
	s_cbranch_execz .LBB173_5
; %bb.4:
	v_mad_u64_u32 v[4:5], s[8:9], v2, s22, 0
	s_ashr_i32 s4, s22, 31
	v_mov_b32_e32 v6, v5
	v_mad_u64_u32 v[6:7], s[8:9], v2, s4, v[6:7]
	v_mov_b32_e32 v5, v6
	v_lshlrev_b64 v[4:5], 3, v[4:5]
	v_mov_b32_e32 v1, 0
	v_mov_b32_e32 v6, s15
	v_add_co_u32_e32 v7, vcc, s14, v4
	v_addc_co_u32_e32 v6, vcc, v6, v5, vcc
	v_lshlrev_b64 v[4:5], 3, v[0:1]
	v_add_co_u32_e32 v4, vcc, v7, v4
	v_addc_co_u32_e32 v5, vcc, v6, v5, vcc
	v_mov_b32_e32 v6, v1
	v_mov_b32_e32 v7, v1
	global_store_dwordx2 v[4:5], v[6:7], off
.LBB173_5:
	s_andn2_saveexec_b64 s[6:7], s[6:7]
	s_cbranch_execz .LBB173_17
; %bb.6:
	v_lshlrev_b64 v[4:5], 3, v[2:3]
	v_mov_b32_e32 v1, s17
	v_add_co_u32_e32 v4, vcc, s16, v4
	v_addc_co_u32_e32 v5, vcc, v1, v5, vcc
	global_load_dwordx2 v[4:5], v[4:5], off
	s_cmpk_lg_i32 s5, 0xb5
	s_mov_b64 s[8:9], -1
	s_cbranch_scc0 .LBB173_12
; %bb.7:
	v_mov_b32_e32 v1, 0
	s_andn2_b64 vcc, exec, s[0:1]
	v_lshlrev_b64 v[6:7], 3, v[0:1]
	s_cbranch_vccnz .LBB173_9
; %bb.8:
	s_sub_i32 s4, s20, s21
	v_add_u32_e32 v1, s4, v2
	v_mad_u64_u32 v[8:9], s[8:9], v1, s3, 0
	s_ashr_i32 s4, s3, 31
	v_mov_b32_e32 v10, v9
	v_mad_u64_u32 v[10:11], s[8:9], v1, s4, v[10:11]
	v_mov_b32_e32 v9, v10
	v_lshlrev_b64 v[8:9], 3, v[8:9]
	v_mov_b32_e32 v1, s12
	v_add_co_u32_e32 v8, vcc, s2, v8
	v_addc_co_u32_e32 v1, vcc, v1, v9, vcc
	v_add_co_u32_e32 v8, vcc, v8, v6
	v_addc_co_u32_e32 v9, vcc, v1, v7, vcc
	global_load_dwordx2 v[8:9], v[8:9], off
	v_mad_u64_u32 v[10:11], s[8:9], v2, s22, 0
	s_ashr_i32 s4, s22, 31
	v_mov_b32_e32 v14, v11
	v_mad_u64_u32 v[14:15], s[8:9], v2, s4, v[14:15]
	v_mov_b32_e32 v11, v14
	v_lshlrev_b64 v[10:11], 3, v[10:11]
	v_mov_b32_e32 v1, s15
	v_add_co_u32_e32 v10, vcc, s14, v10
	s_waitcnt vmcnt(1)
	v_mov_b32_e32 v12, v5
	v_addc_co_u32_e32 v1, vcc, v1, v11, vcc
	v_add_co_u32_e32 v10, vcc, v10, v6
	v_addc_co_u32_e32 v11, vcc, v1, v7, vcc
	s_mov_b64 s[8:9], 0
	s_waitcnt vmcnt(0)
	v_pk_mul_f32 v[12:13], v[12:13], v[8:9] op_sel_hi:[0,1] neg_lo:[1,0]
	v_pk_fma_f32 v[8:9], v[4:5], v[8:9], v[12:13] op_sel:[0,0,1] op_sel_hi:[0,1,0] neg_lo:[1,0,0] neg_hi:[1,0,0]
	global_store_dwordx2 v[10:11], v[8:9], off
.LBB173_9:
	s_andn2_b64 vcc, exec, s[8:9]
	s_cbranch_vccnz .LBB173_11
; %bb.10:
	v_mad_u64_u32 v[8:9], s[8:9], v2, s22, 0
	s_ashr_i32 s4, s22, 31
	v_mov_b32_e32 v10, v9
	v_mad_u64_u32 v[10:11], s[8:9], v2, s4, v[10:11]
	v_mov_b32_e32 v9, v10
	v_lshlrev_b64 v[8:9], 3, v[8:9]
	v_mov_b32_e32 v1, s15
	v_add_co_u32_e32 v8, vcc, s14, v8
	v_addc_co_u32_e32 v1, vcc, v1, v9, vcc
	v_add_co_u32_e32 v8, vcc, v8, v6
	s_sub_i32 s4, s20, s21
	v_addc_co_u32_e32 v9, vcc, v1, v7, vcc
	v_add_u32_e32 v1, s4, v2
	v_mad_u64_u32 v[10:11], s[8:9], v1, s3, 0
	s_ashr_i32 s4, s3, 31
	v_mov_b32_e32 v12, v11
	v_mad_u64_u32 v[12:13], s[8:9], v1, s4, v[12:13]
	v_mov_b32_e32 v11, v12
	v_lshlrev_b64 v[10:11], 3, v[10:11]
	v_mov_b32_e32 v1, s12
	v_add_co_u32_e32 v10, vcc, s2, v10
	v_addc_co_u32_e32 v1, vcc, v1, v11, vcc
	v_add_co_u32_e32 v6, vcc, v10, v6
	v_addc_co_u32_e32 v7, vcc, v1, v7, vcc
	global_load_dwordx2 v[10:11], v[8:9], off
	global_load_dwordx2 v[12:13], v[6:7], off
	s_waitcnt vmcnt(2)
	v_mov_b32_e32 v6, v5
	s_waitcnt vmcnt(0)
	v_pk_add_f32 v[10:11], v[12:13], v[10:11]
	v_pk_mul_f32 v[12:13], v[4:5], v[10:11] op_sel_hi:[0,1]
	v_pk_fma_f32 v[6:7], v[6:7], v[10:11], v[12:13] op_sel:[0,0,1] op_sel_hi:[0,1,0] neg_lo:[1,0,1] neg_hi:[0,0,1]
	v_mov_b32_e32 v10, v7
	v_mov_b32_e32 v11, v6
	global_store_dwordx2 v[8:9], v[10:11], off
.LBB173_11:
	s_mov_b64 s[8:9], 0
.LBB173_12:
	s_andn2_b64 vcc, exec, s[8:9]
	s_cbranch_vccnz .LBB173_17
; %bb.13:
	s_andn2_b64 vcc, exec, s[0:1]
	s_mov_b64 s[8:9], -1
	s_cbranch_vccnz .LBB173_15
; %bb.14:
	s_sub_i32 s4, s20, s21
	v_mad_u64_u32 v[8:9], s[8:9], v0, s3, 0
	v_add_u32_e32 v6, s4, v2
	s_ashr_i32 s4, s3, 31
	v_mov_b32_e32 v10, v9
	v_mad_u64_u32 v[10:11], s[8:9], v0, s4, v[10:11]
	v_mov_b32_e32 v9, v10
	v_lshlrev_b64 v[8:9], 3, v[8:9]
	v_mov_b32_e32 v7, 0
	v_mov_b32_e32 v1, s12
	v_add_co_u32_e32 v10, vcc, s2, v8
	v_addc_co_u32_e32 v1, vcc, v1, v9, vcc
	v_lshlrev_b64 v[8:9], 3, v[6:7]
	v_add_co_u32_e32 v8, vcc, v10, v8
	v_addc_co_u32_e32 v9, vcc, v1, v9, vcc
	global_load_dwordx2 v[8:9], v[8:9], off
	v_mad_u64_u32 v[10:11], s[8:9], v2, s22, 0
	s_ashr_i32 s4, s22, 31
	v_mov_b32_e32 v12, v11
	v_mad_u64_u32 v[12:13], s[8:9], v2, s4, v[12:13]
	v_mov_b32_e32 v11, v12
	v_mov_b32_e32 v1, v7
	v_lshlrev_b64 v[10:11], 3, v[10:11]
	v_mov_b32_e32 v16, s15
	v_lshlrev_b64 v[14:15], 3, v[0:1]
	v_add_co_u32_e32 v1, vcc, s14, v10
	v_addc_co_u32_e32 v7, vcc, v16, v11, vcc
	s_waitcnt vmcnt(1)
	v_mov_b32_e32 v6, v5
	v_add_co_u32_e32 v10, vcc, v1, v14
	v_addc_co_u32_e32 v11, vcc, v7, v15, vcc
	s_mov_b64 s[8:9], 0
	s_waitcnt vmcnt(0)
	v_pk_mul_f32 v[6:7], v[6:7], v[8:9] op_sel_hi:[0,1]
	v_pk_fma_f32 v[6:7], v[8:9], v[4:5], v[6:7] op_sel:[0,0,1] op_sel_hi:[1,0,0] neg_lo:[0,1,1] neg_hi:[0,0,1]
	global_store_dwordx2 v[10:11], v[6:7], off
.LBB173_15:
	s_andn2_b64 vcc, exec, s[8:9]
	s_cbranch_vccnz .LBB173_17
; %bb.16:
	v_mad_u64_u32 v[6:7], s[8:9], v2, s22, 0
	s_ashr_i32 s4, s22, 31
	v_mov_b32_e32 v8, v7
	v_mad_u64_u32 v[8:9], s[8:9], v2, s4, v[8:9]
	v_mov_b32_e32 v7, v8
	v_lshlrev_b64 v[6:7], 3, v[6:7]
	v_mov_b32_e32 v1, 0
	v_mov_b32_e32 v8, s15
	v_add_co_u32_e32 v9, vcc, s14, v6
	v_addc_co_u32_e32 v8, vcc, v8, v7, vcc
	v_lshlrev_b64 v[6:7], 3, v[0:1]
	v_add_co_u32_e32 v6, vcc, v9, v6
	s_sub_i32 s4, s20, s21
	v_mad_u64_u32 v[10:11], s[8:9], v0, s3, 0
	v_addc_co_u32_e32 v7, vcc, v8, v7, vcc
	v_add_u32_e32 v8, s4, v2
	s_ashr_i32 s4, s3, 31
	v_mov_b32_e32 v12, v11
	v_mad_u64_u32 v[12:13], s[8:9], v0, s4, v[12:13]
	v_mov_b32_e32 v11, v12
	v_lshlrev_b64 v[10:11], 3, v[10:11]
	v_mov_b32_e32 v9, v1
	v_mov_b32_e32 v1, s12
	v_add_co_u32_e32 v10, vcc, s2, v10
	v_addc_co_u32_e32 v1, vcc, v1, v11, vcc
	v_lshlrev_b64 v[8:9], 3, v[8:9]
	v_add_co_u32_e32 v8, vcc, v10, v8
	v_addc_co_u32_e32 v9, vcc, v1, v9, vcc
	global_load_dwordx2 v[10:11], v[6:7], off
	global_load_dwordx2 v[12:13], v[8:9], off
	s_waitcnt vmcnt(2)
	v_mov_b32_e32 v8, v5
	s_waitcnt vmcnt(0)
	v_pk_add_f32 v[14:15], v[10:11], v[12:13] op_sel:[1,1] op_sel_hi:[0,0] neg_lo:[0,1] neg_hi:[0,1]
	v_pk_add_f32 v[10:11], v[12:13], v[10:11] op_sel:[1,1] op_sel_hi:[0,0]
	v_mov_b32_e32 v15, v11
	v_mov_b32_e32 v10, v11
	;; [unrolled: 1-line block ×3, first 2 shown]
	v_pk_mul_f32 v[4:5], v[4:5], v[10:11] op_sel_hi:[0,1]
	v_pk_fma_f32 v[4:5], v[8:9], v[14:15], v[4:5] op_sel_hi:[0,1,1] neg_lo:[0,0,1] neg_hi:[1,0,1]
	global_store_dwordx2 v[6:7], v[4:5], off
.LBB173_17:
	s_or_b64 exec, exec, s[6:7]
	s_mov_b64 s[6:7], 0
.LBB173_18:
	s_andn2_b64 vcc, exec, s[6:7]
	s_cbranch_vccnz .LBB173_34
; %bb.19:
	v_cmp_ge_u32_e32 vcc, v0, v2
	s_and_saveexec_b64 s[6:7], vcc
	s_xor_b64 s[6:7], exec, s[6:7]
	s_cbranch_execz .LBB173_21
; %bb.20:
	s_waitcnt vmcnt(0)
	v_mad_u64_u32 v[4:5], s[8:9], v2, s22, 0
	s_ashr_i32 s4, s22, 31
	v_mov_b32_e32 v6, v5
	v_mad_u64_u32 v[2:3], s[8:9], v2, s4, v[6:7]
	v_mov_b32_e32 v5, v2
	v_lshlrev_b64 v[2:3], 3, v[4:5]
	v_mov_b32_e32 v1, 0
	v_mov_b32_e32 v4, s15
	v_add_co_u32_e32 v5, vcc, s14, v2
	v_addc_co_u32_e32 v4, vcc, v4, v3, vcc
	v_lshlrev_b64 v[2:3], 3, v[0:1]
	v_add_co_u32_e32 v2, vcc, v5, v2
	v_addc_co_u32_e32 v3, vcc, v4, v3, vcc
	v_mov_b32_e32 v0, v1
	global_store_dwordx2 v[2:3], v[0:1], off
                                        ; implicit-def: $vgpr2_vgpr3
                                        ; implicit-def: $vgpr0
.LBB173_21:
	s_andn2_saveexec_b64 s[6:7], s[6:7]
	s_cbranch_execz .LBB173_33
; %bb.22:
	v_lshlrev_b64 v[6:7], 3, v[2:3]
	v_mov_b32_e32 v1, s17
	s_waitcnt vmcnt(0)
	v_add_co_u32_e32 v4, vcc, s16, v6
	v_addc_co_u32_e32 v5, vcc, v1, v7, vcc
	global_load_dwordx2 v[4:5], v[4:5], off
	v_cndmask_b32_e64 v1, 0, 1, s[0:1]
	s_cmpk_lg_i32 s5, 0xb5
	s_mov_b64 s[4:5], -1
	v_cmp_ne_u32_e64 s[0:1], 1, v1
	s_cbranch_scc0 .LBB173_28
; %bb.23:
	v_mov_b32_e32 v1, 0
	s_and_b64 vcc, exec, s[0:1]
	v_lshlrev_b64 v[8:9], 3, v[0:1]
	s_cbranch_vccnz .LBB173_25
; %bb.24:
	v_mad_u64_u32 v[10:11], s[4:5], v2, s3, 0
	s_ashr_i32 s8, s3, 31
	v_mov_b32_e32 v12, v11
	v_mad_u64_u32 v[12:13], s[4:5], v2, s8, v[12:13]
	v_mov_b32_e32 v11, v12
	v_lshlrev_b64 v[10:11], 3, v[10:11]
	v_mov_b32_e32 v1, s12
	v_add_co_u32_e32 v3, vcc, s2, v10
	v_addc_co_u32_e32 v1, vcc, v1, v11, vcc
	v_add_co_u32_e32 v10, vcc, v3, v8
	v_addc_co_u32_e32 v11, vcc, v1, v9, vcc
	global_load_dwordx2 v[10:11], v[10:11], off
	v_mad_u64_u32 v[12:13], s[4:5], v2, s22, 0
	s_ashr_i32 s8, s22, 31
	v_mov_b32_e32 v16, v13
	v_mad_u64_u32 v[16:17], s[4:5], v2, s8, v[16:17]
	v_mov_b32_e32 v13, v16
	v_lshlrev_b64 v[12:13], 3, v[12:13]
	v_mov_b32_e32 v1, s15
	v_add_co_u32_e32 v3, vcc, s14, v12
	s_waitcnt vmcnt(1)
	v_mov_b32_e32 v14, v5
	v_addc_co_u32_e32 v1, vcc, v1, v13, vcc
	v_add_co_u32_e32 v12, vcc, v3, v8
	v_addc_co_u32_e32 v13, vcc, v1, v9, vcc
	s_mov_b64 s[4:5], 0
	s_waitcnt vmcnt(0)
	v_pk_mul_f32 v[14:15], v[14:15], v[10:11] op_sel_hi:[0,1] neg_lo:[1,0]
	v_pk_fma_f32 v[10:11], v[4:5], v[10:11], v[14:15] op_sel:[0,0,1] op_sel_hi:[0,1,0] neg_lo:[1,0,0] neg_hi:[1,0,0]
	global_store_dwordx2 v[12:13], v[10:11], off
.LBB173_25:
	s_andn2_b64 vcc, exec, s[4:5]
	s_cbranch_vccnz .LBB173_27
; %bb.26:
	v_mad_u64_u32 v[10:11], s[4:5], v2, s22, 0
	s_ashr_i32 s8, s22, 31
	v_mov_b32_e32 v12, v11
	v_mad_u64_u32 v[12:13], s[4:5], v2, s8, v[12:13]
	v_mov_b32_e32 v11, v12
	v_lshlrev_b64 v[10:11], 3, v[10:11]
	v_mad_u64_u32 v[12:13], s[4:5], v2, s3, 0
	v_mov_b32_e32 v1, s15
	v_add_co_u32_e32 v3, vcc, s14, v10
	s_ashr_i32 s8, s3, 31
	v_mov_b32_e32 v14, v13
	v_addc_co_u32_e32 v1, vcc, v1, v11, vcc
	v_mad_u64_u32 v[14:15], s[4:5], v2, s8, v[14:15]
	v_add_co_u32_e32 v10, vcc, v3, v8
	v_mov_b32_e32 v13, v14
	v_addc_co_u32_e32 v11, vcc, v1, v9, vcc
	v_lshlrev_b64 v[12:13], 3, v[12:13]
	v_mov_b32_e32 v1, s12
	v_add_co_u32_e32 v3, vcc, s2, v12
	v_addc_co_u32_e32 v1, vcc, v1, v13, vcc
	v_add_co_u32_e32 v8, vcc, v3, v8
	v_addc_co_u32_e32 v9, vcc, v1, v9, vcc
	global_load_dwordx2 v[12:13], v[10:11], off
	global_load_dwordx2 v[14:15], v[8:9], off
	s_waitcnt vmcnt(2)
	v_mov_b32_e32 v8, v5
	s_waitcnt vmcnt(0)
	v_pk_add_f32 v[12:13], v[14:15], v[12:13]
	v_pk_mul_f32 v[14:15], v[4:5], v[12:13] op_sel_hi:[0,1]
	v_pk_fma_f32 v[8:9], v[8:9], v[12:13], v[14:15] op_sel:[0,0,1] op_sel_hi:[0,1,0] neg_lo:[1,0,1] neg_hi:[0,0,1]
	v_mov_b32_e32 v12, v9
	v_mov_b32_e32 v13, v8
	global_store_dwordx2 v[10:11], v[12:13], off
.LBB173_27:
	s_mov_b64 s[4:5], 0
.LBB173_28:
	s_andn2_b64 vcc, exec, s[4:5]
	s_cbranch_vccnz .LBB173_33
; %bb.29:
	v_mov_b32_e32 v1, 0
	s_mov_b64 s[4:5], -1
	s_and_b64 vcc, exec, s[0:1]
	v_lshlrev_b64 v[8:9], 3, v[0:1]
	s_cbranch_vccnz .LBB173_31
; %bb.30:
	v_mad_u64_u32 v[10:11], s[0:1], v0, s3, 0
	s_ashr_i32 s4, s3, 31
	v_mov_b32_e32 v12, v11
	v_mad_u64_u32 v[12:13], s[0:1], v0, s4, v[12:13]
	v_mov_b32_e32 v11, v12
	v_lshlrev_b64 v[10:11], 3, v[10:11]
	v_mov_b32_e32 v1, s12
	v_add_co_u32_e32 v3, vcc, s2, v10
	v_addc_co_u32_e32 v1, vcc, v1, v11, vcc
	v_add_co_u32_e32 v10, vcc, v3, v6
	v_addc_co_u32_e32 v11, vcc, v1, v7, vcc
	global_load_dwordx2 v[10:11], v[10:11], off
	v_mad_u64_u32 v[12:13], s[0:1], v2, s22, 0
	s_ashr_i32 s4, s22, 31
	v_mov_b32_e32 v16, v13
	v_mad_u64_u32 v[16:17], s[0:1], v2, s4, v[16:17]
	v_mov_b32_e32 v13, v16
	v_lshlrev_b64 v[12:13], 3, v[12:13]
	v_mov_b32_e32 v1, s15
	v_add_co_u32_e32 v3, vcc, s14, v12
	s_waitcnt vmcnt(1)
	v_mov_b32_e32 v14, v5
	v_addc_co_u32_e32 v1, vcc, v1, v13, vcc
	v_add_co_u32_e32 v12, vcc, v3, v8
	v_addc_co_u32_e32 v13, vcc, v1, v9, vcc
	s_mov_b64 s[4:5], 0
	s_waitcnt vmcnt(0)
	v_pk_mul_f32 v[14:15], v[14:15], v[10:11] op_sel_hi:[0,1]
	v_pk_fma_f32 v[10:11], v[10:11], v[4:5], v[14:15] op_sel:[0,0,1] op_sel_hi:[1,0,0] neg_lo:[0,1,1] neg_hi:[0,0,1]
	global_store_dwordx2 v[12:13], v[10:11], off
.LBB173_31:
	s_andn2_b64 vcc, exec, s[4:5]
	s_cbranch_vccnz .LBB173_33
; %bb.32:
	v_mad_u64_u32 v[10:11], s[0:1], v2, s22, 0
	s_ashr_i32 s4, s22, 31
	v_mov_b32_e32 v12, v11
	v_mad_u64_u32 v[2:3], s[0:1], v2, s4, v[12:13]
	v_mov_b32_e32 v11, v2
	v_lshlrev_b64 v[2:3], 3, v[10:11]
	v_mov_b32_e32 v1, s15
	v_add_co_u32_e32 v2, vcc, s14, v2
	v_addc_co_u32_e32 v1, vcc, v1, v3, vcc
	v_add_co_u32_e32 v2, vcc, v2, v8
	v_addc_co_u32_e32 v3, vcc, v1, v9, vcc
	v_mad_u64_u32 v[8:9], s[0:1], v0, s3, 0
	s_ashr_i32 s4, s3, 31
	v_mov_b32_e32 v10, v9
	v_mad_u64_u32 v[0:1], s[0:1], v0, s4, v[10:11]
	v_mov_b32_e32 v9, v0
	v_lshlrev_b64 v[0:1], 3, v[8:9]
	v_mov_b32_e32 v8, s12
	v_add_co_u32_e32 v0, vcc, s2, v0
	v_addc_co_u32_e32 v1, vcc, v8, v1, vcc
	v_add_co_u32_e32 v0, vcc, v0, v6
	v_addc_co_u32_e32 v1, vcc, v1, v7, vcc
	global_load_dwordx2 v[6:7], v[2:3], off
	global_load_dwordx2 v[8:9], v[0:1], off
	s_waitcnt vmcnt(2)
	v_mov_b32_e32 v0, v5
	s_waitcnt vmcnt(0)
	v_pk_add_f32 v[10:11], v[6:7], v[8:9] op_sel:[1,1] op_sel_hi:[0,0] neg_lo:[0,1] neg_hi:[0,1]
	v_pk_add_f32 v[6:7], v[8:9], v[6:7] op_sel:[1,1] op_sel_hi:[0,0]
	v_mov_b32_e32 v11, v7
	v_mov_b32_e32 v6, v7
	;; [unrolled: 1-line block ×3, first 2 shown]
	v_pk_mul_f32 v[4:5], v[4:5], v[6:7] op_sel_hi:[0,1]
	v_pk_fma_f32 v[0:1], v[0:1], v[10:11], v[4:5] op_sel_hi:[0,1,1] neg_lo:[0,0,1] neg_hi:[1,0,1]
	global_store_dwordx2 v[2:3], v[0:1], off
.LBB173_33:
	s_or_b64 exec, exec, s[6:7]
                                        ; implicit-def: $vgpr2
.LBB173_34:
	s_andn2_saveexec_b64 s[0:1], s[10:11]
	s_cbranch_execz .LBB173_36
; %bb.35:
	v_mov_b32_e32 v3, 0
	v_lshlrev_b64 v[0:1], 3, v[2:3]
	v_mov_b32_e32 v3, s17
	s_waitcnt vmcnt(0)
	v_add_co_u32_e32 v4, vcc, s16, v0
	v_addc_co_u32_e32 v5, vcc, v3, v1, vcc
	global_load_dwordx2 v[4:5], v[4:5], off
	v_mad_u64_u32 v[6:7], s[0:1], v2, s22, 0
	s_ashr_i32 s2, s22, 31
	v_mov_b32_e32 v8, v7
	v_mad_u64_u32 v[2:3], s[0:1], v2, s2, v[8:9]
	v_mov_b32_e32 v7, v2
	v_lshlrev_b64 v[2:3], 3, v[6:7]
	v_mov_b32_e32 v6, s15
	v_add_co_u32_e32 v2, vcc, s14, v2
	v_addc_co_u32_e32 v3, vcc, v6, v3, vcc
	v_add_co_u32_e32 v0, vcc, v2, v0
	v_addc_co_u32_e32 v1, vcc, v3, v1, vcc
	s_waitcnt vmcnt(0)
	global_store_dwordx2 v[0:1], v[4:5], off
.LBB173_36:
	s_endpgm
	.section	.rodata,"a",@progbits
	.p2align	6, 0x0
	.amdhsa_kernel _ZN9rocsolver6v33100L14set_triangularI19rocblas_complex_numIfEPS3_TnNSt9enable_ifIX18rocblas_is_complexIT_EEiE4typeELi0EEEviiT0_iilPS6_lSA_il15rocblas_direct_15rocblas_storev_b
		.amdhsa_group_segment_fixed_size 0
		.amdhsa_private_segment_fixed_size 0
		.amdhsa_kernarg_size 344
		.amdhsa_user_sgpr_count 6
		.amdhsa_user_sgpr_private_segment_buffer 1
		.amdhsa_user_sgpr_dispatch_ptr 0
		.amdhsa_user_sgpr_queue_ptr 0
		.amdhsa_user_sgpr_kernarg_segment_ptr 1
		.amdhsa_user_sgpr_dispatch_id 0
		.amdhsa_user_sgpr_flat_scratch_init 0
		.amdhsa_user_sgpr_kernarg_preload_length 0
		.amdhsa_user_sgpr_kernarg_preload_offset 0
		.amdhsa_user_sgpr_private_segment_size 0
		.amdhsa_uses_dynamic_stack 0
		.amdhsa_system_sgpr_private_segment_wavefront_offset 0
		.amdhsa_system_sgpr_workgroup_id_x 1
		.amdhsa_system_sgpr_workgroup_id_y 1
		.amdhsa_system_sgpr_workgroup_id_z 1
		.amdhsa_system_sgpr_workgroup_info 0
		.amdhsa_system_vgpr_workitem_id 1
		.amdhsa_next_free_vgpr 18
		.amdhsa_next_free_sgpr 23
		.amdhsa_accum_offset 20
		.amdhsa_reserve_vcc 1
		.amdhsa_reserve_flat_scratch 0
		.amdhsa_float_round_mode_32 0
		.amdhsa_float_round_mode_16_64 0
		.amdhsa_float_denorm_mode_32 3
		.amdhsa_float_denorm_mode_16_64 3
		.amdhsa_dx10_clamp 1
		.amdhsa_ieee_mode 1
		.amdhsa_fp16_overflow 0
		.amdhsa_tg_split 0
		.amdhsa_exception_fp_ieee_invalid_op 0
		.amdhsa_exception_fp_denorm_src 0
		.amdhsa_exception_fp_ieee_div_zero 0
		.amdhsa_exception_fp_ieee_overflow 0
		.amdhsa_exception_fp_ieee_underflow 0
		.amdhsa_exception_fp_ieee_inexact 0
		.amdhsa_exception_int_div_zero 0
	.end_amdhsa_kernel
	.section	.text._ZN9rocsolver6v33100L14set_triangularI19rocblas_complex_numIfEPS3_TnNSt9enable_ifIX18rocblas_is_complexIT_EEiE4typeELi0EEEviiT0_iilPS6_lSA_il15rocblas_direct_15rocblas_storev_b,"axG",@progbits,_ZN9rocsolver6v33100L14set_triangularI19rocblas_complex_numIfEPS3_TnNSt9enable_ifIX18rocblas_is_complexIT_EEiE4typeELi0EEEviiT0_iilPS6_lSA_il15rocblas_direct_15rocblas_storev_b,comdat
.Lfunc_end173:
	.size	_ZN9rocsolver6v33100L14set_triangularI19rocblas_complex_numIfEPS3_TnNSt9enable_ifIX18rocblas_is_complexIT_EEiE4typeELi0EEEviiT0_iilPS6_lSA_il15rocblas_direct_15rocblas_storev_b, .Lfunc_end173-_ZN9rocsolver6v33100L14set_triangularI19rocblas_complex_numIfEPS3_TnNSt9enable_ifIX18rocblas_is_complexIT_EEiE4typeELi0EEEviiT0_iilPS6_lSA_il15rocblas_direct_15rocblas_storev_b
                                        ; -- End function
	.section	.AMDGPU.csdata,"",@progbits
; Kernel info:
; codeLenInByte = 2324
; NumSgprs: 27
; NumVgprs: 18
; NumAgprs: 0
; TotalNumVgprs: 18
; ScratchSize: 0
; MemoryBound: 0
; FloatMode: 240
; IeeeMode: 1
; LDSByteSize: 0 bytes/workgroup (compile time only)
; SGPRBlocks: 3
; VGPRBlocks: 2
; NumSGPRsForWavesPerEU: 27
; NumVGPRsForWavesPerEU: 18
; AccumOffset: 20
; Occupancy: 8
; WaveLimiterHint : 0
; COMPUTE_PGM_RSRC2:SCRATCH_EN: 0
; COMPUTE_PGM_RSRC2:USER_SGPR: 6
; COMPUTE_PGM_RSRC2:TRAP_HANDLER: 0
; COMPUTE_PGM_RSRC2:TGID_X_EN: 1
; COMPUTE_PGM_RSRC2:TGID_Y_EN: 1
; COMPUTE_PGM_RSRC2:TGID_Z_EN: 1
; COMPUTE_PGM_RSRC2:TIDIG_COMP_CNT: 1
; COMPUTE_PGM_RSRC3_GFX90A:ACCUM_OFFSET: 4
; COMPUTE_PGM_RSRC3_GFX90A:TG_SPLIT: 0
	.section	.text._ZN9rocsolver6v33100L20larft_kernel_forwardI19rocblas_complex_numIfEPS3_EEv15rocblas_storev_iiT0_iilPT_lS8_il,"axG",@progbits,_ZN9rocsolver6v33100L20larft_kernel_forwardI19rocblas_complex_numIfEPS3_EEv15rocblas_storev_iiT0_iilPT_lS8_il,comdat
	.globl	_ZN9rocsolver6v33100L20larft_kernel_forwardI19rocblas_complex_numIfEPS3_EEv15rocblas_storev_iiT0_iilPT_lS8_il ; -- Begin function _ZN9rocsolver6v33100L20larft_kernel_forwardI19rocblas_complex_numIfEPS3_EEv15rocblas_storev_iiT0_iilPT_lS8_il
	.p2align	8
	.type	_ZN9rocsolver6v33100L20larft_kernel_forwardI19rocblas_complex_numIfEPS3_EEv15rocblas_storev_iiT0_iilPT_lS8_il,@function
_ZN9rocsolver6v33100L20larft_kernel_forwardI19rocblas_complex_numIfEPS3_EEv15rocblas_storev_iiT0_iilPT_lS8_il: ; @_ZN9rocsolver6v33100L20larft_kernel_forwardI19rocblas_complex_numIfEPS3_EEv15rocblas_storev_iiT0_iilPT_lS8_il
; %bb.0:
	s_load_dword s2, s[4:5], 0x5c
	s_load_dword s33, s[4:5], 0x40
	s_load_dwordx2 s[0:1], s[4:5], 0x48
	s_load_dwordx4 s[16:19], s[4:5], 0x0
	s_load_dwordx8 s[8:15], s[4:5], 0x20
	s_waitcnt lgkmcnt(0)
	s_and_b32 s19, s2, 0xffff
	s_ashr_i32 s6, s7, 31
	s_mul_i32 s1, s7, s1
	s_mul_hi_u32 s2, s7, s0
	s_add_i32 s1, s2, s1
	s_mul_i32 s2, s6, s0
	s_add_i32 s1, s1, s2
	s_mul_i32 s0, s7, s0
	s_lshl_b64 s[0:1], s[0:1], 3
	s_add_u32 s36, s14, s0
	s_addc_u32 s37, s15, s1
	v_cmp_gt_i32_e64 s[0:1], s18, v0
	v_lshlrev_b32_e32 v1, 3, v0
	s_and_saveexec_b64 s[2:3], s[0:1]
	s_cbranch_execz .LBB174_5
; %bb.1:
	v_add_u32_e32 v2, 8, v1
	v_mul_lo_u32 v2, s18, v2
	s_lshl_b32 s22, s18, 3
	v_add3_u32 v6, v2, v1, 0
	s_add_i32 s23, s22, 8
	s_add_i32 s24, s33, 1
	v_mad_u64_u32 v[2:3], s[14:15], v0, s33, v[0:1]
	s_mul_i32 s23, s23, s19
	s_mul_i32 s24, s24, s19
	s_mov_b64 s[14:15], 0
	v_mov_b32_e32 v3, s37
	v_mov_b32_e32 v7, v0
.LBB174_2:                              ; =>This Loop Header: Depth=1
                                        ;     Child Loop BB174_3 Depth 2
	s_mov_b64 s[20:21], 0
	v_mov_b32_e32 v4, v2
	v_mov_b32_e32 v8, v6
	;; [unrolled: 1-line block ×3, first 2 shown]
.LBB174_3:                              ;   Parent Loop BB174_2 Depth=1
                                        ; =>  This Inner Loop Header: Depth=2
	v_ashrrev_i32_e32 v5, 31, v4
	v_lshlrev_b64 v[10:11], 3, v[4:5]
	v_add_co_u32_e32 v10, vcc, s36, v10
	v_addc_co_u32_e32 v11, vcc, v3, v11, vcc
	global_load_dwordx2 v[10:11], v[10:11], off
	v_add_u32_e32 v9, 1, v9
	v_cmp_le_i32_e32 vcc, s18, v9
	v_add_u32_e32 v4, s33, v4
	s_or_b64 s[20:21], vcc, s[20:21]
	s_waitcnt vmcnt(0)
	ds_write_b64 v8, v[10:11]
	v_add_u32_e32 v8, s22, v8
	s_andn2_b64 exec, exec, s[20:21]
	s_cbranch_execnz .LBB174_3
; %bb.4:                                ;   in Loop: Header=BB174_2 Depth=1
	s_or_b64 exec, exec, s[20:21]
	v_add_u32_e32 v7, s19, v7
	v_cmp_le_i32_e32 vcc, s18, v7
	v_add_u32_e32 v6, s23, v6
	s_or_b64 s[14:15], vcc, s[14:15]
	v_add_u32_e32 v2, s24, v2
	s_andn2_b64 exec, exec, s[14:15]
	s_cbranch_execnz .LBB174_2
.LBB174_5:
	s_or_b64 exec, exec, s[2:3]
	s_cmp_lt_i32 s18, 2
	s_waitcnt lgkmcnt(0)
	s_barrier
	s_cbranch_scc1 .LBB174_29
; %bb.6:
	s_load_dwordx4 s[20:23], s[4:5], 0x10
	s_mul_i32 s2, s7, s13
	s_mul_hi_u32 s3, s7, s12
	s_add_i32 s4, s3, s2
	s_mul_i32 s5, s6, s12
	s_add_i32 s5, s4, s5
	s_mul_i32 s4, s7, s12
	s_waitcnt lgkmcnt(0)
	s_ashr_i32 s3, s22, 31
	s_lshl_b64 s[4:5], s[4:5], 3
	s_mov_b32 s2, s22
	s_add_u32 s22, s10, s4
	s_addc_u32 s38, s11, s5
	s_lshl_b32 s39, s18, 3
	s_add_i32 s40, s39, 0
	s_cmpk_lg_i32 s16, 0xb5
	s_mul_i32 s4, s8, s6
	s_mul_hi_u32 s6, s8, s7
	s_cselect_b64 s[10:11], -1, 0
	s_add_i32 s4, s6, s4
	s_mul_i32 s6, s9, s7
	s_add_i32 s9, s4, s6
	s_mul_i32 s8, s8, s7
	s_lshl_b64 s[12:13], s[8:9], 3
	s_add_u32 s16, s12, 8
	s_addc_u32 s41, s13, 0
	s_lshl_b64 s[2:3], s[2:3], 3
	s_add_u32 s42, s20, s2
	s_addc_u32 s43, s21, s3
	s_ashr_i32 s9, s23, 31
	s_mov_b32 s8, s23
	s_lshl_b32 s6, s23, 1
	s_lshl_b64 s[8:9], s[8:9], 3
	s_lshl_b32 s44, s19, 3
	s_add_u32 s2, s12, s2
	s_addc_u32 s3, s13, s3
	s_add_u32 s2, s2, s20
	s_addc_u32 s3, s3, s21
	v_add_co_u32_e32 v2, vcc, s12, v1
	s_add_u32 s12, s2, 16
	v_add_u32_e32 v4, 8, v1
	s_mov_b32 s5, 0
	v_mov_b32_e32 v3, s13
	s_addc_u32 s13, s3, 0
	v_mul_lo_u32 v4, s18, v4
	s_add_i32 s47, s39, 8
	s_mov_b32 s4, 1
	v_addc_co_u32_e32 v3, vcc, 0, v3, vcc
	s_mov_b32 s45, s5
	v_mul_lo_u32 v10, v0, s23
	s_mul_i32 s46, s23, s19
	v_add3_u32 v11, v4, v1, 0
	s_mul_i32 s47, s47, s19
	v_add_u32_e32 v12, 0, v1
	s_mov_b32 s14, s23
	s_branch .LBB174_8
.LBB174_7:                              ;   in Loop: Header=BB174_8 Depth=1
	s_or_b64 exec, exec, s[2:3]
	s_add_i32 s4, s4, 1
	s_add_u32 s16, s16, 8
	s_addc_u32 s41, s41, 0
	s_add_i32 s6, s6, s23
	s_add_u32 s12, s12, 8
	s_addc_u32 s13, s13, 0
	s_add_i32 s14, s14, s23
	s_cmp_eq_u32 s4, s18
	s_waitcnt lgkmcnt(0)
	s_barrier
	s_cbranch_scc1 .LBB174_29
.LBB174_8:                              ; =>This Loop Header: Depth=1
                                        ;     Child Loop BB174_12 Depth 2
                                        ;       Child Loop BB174_14 Depth 3
                                        ;     Child Loop BB174_20 Depth 2
                                        ;       Child Loop BB174_22 Depth 3
	;; [unrolled: 2-line block ×3, first 2 shown]
	s_mul_i32 s2, s4, s18
	s_not_b32 s49, s4
	s_lshl_b32 s2, s2, 3
	s_add_i32 s49, s49, s17
	s_add_i32 s48, s40, s2
	s_mov_b64 s[20:21], -1
	s_and_b64 vcc, exec, s[10:11]
	v_cmp_gt_u32_e64 s[2:3], s4, v0
	s_cbranch_vccz .LBB174_16
; %bb.9:                                ;   in Loop: Header=BB174_8 Depth=1
	s_and_saveexec_b64 s[20:21], s[2:3]
	s_cbranch_execz .LBB174_15
; %bb.10:                               ;   in Loop: Header=BB174_8 Depth=1
	s_ashr_i32 s7, s6, 31
	s_lshl_b64 s[2:3], s[6:7], 3
	s_add_u32 s2, s42, s2
	s_addc_u32 s3, s43, s3
	s_cmp_gt_i32 s49, 0
	s_cselect_b64 s[24:25], -1, 0
	s_lshl_b64 s[26:27], s[4:5], 3
	s_add_u32 s26, s22, s26
	s_addc_u32 s27, s38, s27
	s_load_dwordx2 s[26:27], s[26:27], 0x0
	s_mov_b64 s[28:29], 0
	v_pk_mov_b32 v[4:5], v[2:3], v[2:3] op_sel:[0,1]
	v_mov_b32_e32 v8, v0
	s_waitcnt lgkmcnt(0)
	s_mov_b32 s30, s26
	s_mov_b32 s31, s26
	;; [unrolled: 1-line block ×3, first 2 shown]
	s_branch .LBB174_12
.LBB174_11:                             ;   in Loop: Header=BB174_12 Depth=2
	v_lshlrev_b32_e32 v9, 3, v8
	v_add_u32_e32 v13, s48, v9
	ds_read_b64 v[16:17], v13
	v_pk_mul_f32 v[14:15], v[6:7], s[26:27]
	v_pk_fma_f32 v[18:19], v[6:7], s[30:31], v[14:15] op_sel:[0,0,1] op_sel_hi:[1,1,0] neg_lo:[0,0,1] neg_hi:[0,0,1]
	v_pk_fma_f32 v[6:7], v[6:7], s[30:31], v[14:15] op_sel:[0,0,1] op_sel_hi:[1,1,0]
	v_mov_b32_e32 v19, v7
	v_add_u32_e32 v8, s19, v8
	v_add_u32_e32 v9, 0, v9
	s_waitcnt lgkmcnt(0)
	v_pk_add_f32 v[6:7], v[16:17], v[18:19]
	v_cmp_le_u32_e32 vcc, s4, v8
	ds_write_b64 v9, v[6:7]
	v_mov_b32_e32 v6, s45
	s_or_b64 s[28:29], vcc, s[28:29]
	v_add_co_u32_e32 v4, vcc, s44, v4
	v_addc_co_u32_e32 v5, vcc, v5, v6, vcc
	s_andn2_b64 exec, exec, s[28:29]
	s_cbranch_execz .LBB174_15
.LBB174_12:                             ;   Parent Loop BB174_8 Depth=1
                                        ; =>  This Loop Header: Depth=2
                                        ;       Child Loop BB174_14 Depth 3
	v_mov_b32_e32 v7, 0
	s_andn2_b64 vcc, exec, s[24:25]
	v_mov_b32_e32 v6, v7
	s_cbranch_vccnz .LBB174_11
; %bb.13:                               ;   in Loop: Header=BB174_12 Depth=2
	v_mov_b32_e32 v6, 0
	s_mov_b32 s7, 0
	s_mov_b64 s[34:35], s[2:3]
	v_mov_b32_e32 v7, v6
.LBB174_14:                             ;   Parent Loop BB174_8 Depth=1
                                        ;     Parent Loop BB174_12 Depth=2
                                        ; =>    This Inner Loop Header: Depth=3
	v_mov_b32_e32 v9, s35
	v_add_co_u32_e32 v14, vcc, s34, v4
	v_addc_co_u32_e32 v15, vcc, v9, v5, vcc
	global_load_dwordx2 v[14:15], v[14:15], off
	s_add_u32 s50, s34, s16
	s_addc_u32 s51, s35, s41
	s_load_dwordx2 s[50:51], s[50:51], 0x0
	s_add_i32 s7, s7, 1
	s_add_u32 s34, s34, s8
	s_addc_u32 s35, s35, s9
	s_cmp_ge_i32 s7, s49
	s_waitcnt vmcnt(0) lgkmcnt(0)
	v_pk_mul_f32 v[16:17], s[50:51], v[14:15] op_sel:[0,1]
	v_pk_fma_f32 v[18:19], s[50:51], v[14:15], v[16:17] op_sel:[0,0,1] op_sel_hi:[1,1,0]
	v_pk_fma_f32 v[14:15], s[50:51], v[14:15], v[16:17] op_sel:[0,0,1] op_sel_hi:[1,0,0] neg_lo:[1,0,0] neg_hi:[1,0,0]
	v_mov_b32_e32 v19, v15
	v_pk_add_f32 v[6:7], v[6:7], v[18:19]
	s_cbranch_scc0 .LBB174_14
	s_branch .LBB174_11
.LBB174_15:                             ;   in Loop: Header=BB174_8 Depth=1
	s_or_b64 exec, exec, s[20:21]
	s_mov_b64 s[20:21], 0
.LBB174_16:                             ;   in Loop: Header=BB174_8 Depth=1
	s_andn2_b64 vcc, exec, s[20:21]
	s_cbranch_vccnz .LBB174_24
; %bb.17:                               ;   in Loop: Header=BB174_8 Depth=1
	v_cmp_gt_u32_e32 vcc, s4, v0
	s_and_saveexec_b64 s[2:3], vcc
	s_cbranch_execz .LBB174_23
; %bb.18:                               ;   in Loop: Header=BB174_8 Depth=1
	s_ashr_i32 s15, s14, 31
	s_lshl_b64 s[20:21], s[14:15], 3
	s_cmp_gt_i32 s49, 0
	s_cselect_b64 s[24:25], -1, 0
	s_lshl_b64 s[26:27], s[4:5], 3
	s_add_u32 s26, s22, s26
	s_addc_u32 s27, s38, s27
	s_load_dwordx2 s[26:27], s[26:27], 0x0
	s_mov_b64 s[28:29], 0
	v_mov_b32_e32 v4, v10
	v_mov_b32_e32 v13, v0
	s_waitcnt lgkmcnt(0)
	s_mov_b32 s30, s26
	s_mov_b32 s31, s26
	;; [unrolled: 1-line block ×3, first 2 shown]
	s_branch .LBB174_20
.LBB174_19:                             ;   in Loop: Header=BB174_20 Depth=2
	v_lshlrev_b32_e32 v5, 3, v13
	v_add_u32_e32 v14, s48, v5
	ds_read_b64 v[14:15], v14
	v_pk_mul_f32 v[8:9], v[6:7], s[26:27]
	v_pk_fma_f32 v[16:17], v[6:7], s[30:31], v[8:9] op_sel:[0,0,1] op_sel_hi:[1,1,0] neg_lo:[0,0,1] neg_hi:[0,0,1]
	v_pk_fma_f32 v[6:7], v[6:7], s[30:31], v[8:9] op_sel:[0,0,1] op_sel_hi:[1,1,0]
	v_add_u32_e32 v13, s19, v13
	v_mov_b32_e32 v17, v7
	v_cmp_le_u32_e32 vcc, s4, v13
	v_add_u32_e32 v5, 0, v5
	s_waitcnt lgkmcnt(0)
	v_pk_add_f32 v[6:7], v[14:15], v[16:17]
	s_or_b64 s[28:29], vcc, s[28:29]
	v_add_u32_e32 v4, s46, v4
	ds_write_b64 v5, v[6:7]
	s_andn2_b64 exec, exec, s[28:29]
	s_cbranch_execz .LBB174_23
.LBB174_20:                             ;   Parent Loop BB174_8 Depth=1
                                        ; =>  This Loop Header: Depth=2
                                        ;       Child Loop BB174_22 Depth 3
	v_mov_b32_e32 v7, 0
	s_andn2_b64 vcc, exec, s[24:25]
	v_mov_b32_e32 v6, v7
	s_cbranch_vccnz .LBB174_19
; %bb.21:                               ;   in Loop: Header=BB174_20 Depth=2
	v_ashrrev_i32_e32 v5, 31, v4
	v_mov_b32_e32 v6, 0
	v_lshlrev_b64 v[8:9], 3, v[4:5]
	s_mov_b32 s7, 0
	s_mov_b64 s[34:35], s[12:13]
	v_mov_b32_e32 v7, v6
.LBB174_22:                             ;   Parent Loop BB174_8 Depth=1
                                        ;     Parent Loop BB174_20 Depth=2
                                        ; =>    This Inner Loop Header: Depth=3
	v_mov_b32_e32 v5, s35
	v_add_co_u32_e32 v14, vcc, s34, v8
	v_addc_co_u32_e32 v15, vcc, v5, v9, vcc
	global_load_dwordx2 v[14:15], v[14:15], off
	s_add_u32 s50, s34, s20
	s_addc_u32 s51, s35, s21
	s_load_dwordx2 s[50:51], s[50:51], 0x0
	s_add_i32 s7, s7, 1
	s_add_u32 s34, s34, 8
	s_addc_u32 s35, s35, 0
	s_cmp_ge_i32 s7, s49
	s_waitcnt vmcnt(0) lgkmcnt(0)
	v_pk_mul_f32 v[16:17], v[14:15], s[50:51] op_sel:[1,0]
	v_pk_fma_f32 v[18:19], v[14:15], s[50:51], v[16:17] op_sel:[0,0,1] op_sel_hi:[1,1,0]
	v_pk_fma_f32 v[14:15], v[14:15], s[50:51], v[16:17] op_sel:[0,0,1] op_sel_hi:[0,1,0] neg_lo:[0,0,1] neg_hi:[0,0,1]
	v_mov_b32_e32 v19, v15
	v_pk_add_f32 v[6:7], v[6:7], v[18:19]
	s_cbranch_scc0 .LBB174_22
	s_branch .LBB174_19
.LBB174_23:                             ;   in Loop: Header=BB174_8 Depth=1
	s_or_b64 exec, exec, s[2:3]
.LBB174_24:                             ;   in Loop: Header=BB174_8 Depth=1
	v_cmp_gt_u32_e32 vcc, s4, v0
	s_waitcnt lgkmcnt(0)
	s_barrier
	s_and_saveexec_b64 s[2:3], vcc
	s_cbranch_execz .LBB174_7
; %bb.25:                               ;   in Loop: Header=BB174_8 Depth=1
	s_mov_b64 s[20:21], 0
	v_mov_b32_e32 v6, v12
	v_mov_b32_e32 v7, v11
	;; [unrolled: 1-line block ×3, first 2 shown]
.LBB174_26:                             ;   Parent Loop BB174_8 Depth=1
                                        ; =>  This Loop Header: Depth=2
                                        ;       Child Loop BB174_27 Depth 3
	v_mov_b32_e32 v4, 0
	s_mov_b64 s[24:25], 0
	v_mov_b32_e32 v9, v6
	v_mov_b32_e32 v13, v7
	;; [unrolled: 1-line block ×4, first 2 shown]
.LBB174_27:                             ;   Parent Loop BB174_8 Depth=1
                                        ;     Parent Loop BB174_26 Depth=2
                                        ; =>    This Inner Loop Header: Depth=3
	ds_read_b64 v[16:17], v13
	ds_read_b64 v[18:19], v9
	v_add_u32_e32 v14, 1, v14
	v_cmp_le_u32_e32 vcc, s4, v14
	v_add_u32_e32 v13, s39, v13
	v_add_u32_e32 v9, 8, v9
	s_waitcnt lgkmcnt(0)
	v_pk_mul_f32 v[20:21], v[18:19], v[16:17] op_sel:[0,1]
	v_pk_fma_f32 v[22:23], v[18:19], v[16:17], v[20:21] op_sel:[0,0,1] op_sel_hi:[1,1,0] neg_lo:[0,0,1] neg_hi:[0,0,1]
	v_pk_fma_f32 v[16:17], v[18:19], v[16:17], v[20:21] op_sel:[0,0,1] op_sel_hi:[1,0,0]
	v_mov_b32_e32 v23, v17
	s_or_b64 s[24:25], vcc, s[24:25]
	v_pk_add_f32 v[4:5], v[4:5], v[22:23]
	s_andn2_b64 exec, exec, s[24:25]
	s_cbranch_execnz .LBB174_27
; %bb.28:                               ;   in Loop: Header=BB174_26 Depth=2
	s_or_b64 exec, exec, s[24:25]
	v_lshl_add_u32 v9, v8, 3, s48
	v_add_u32_e32 v8, s19, v8
	v_cmp_le_u32_e32 vcc, s4, v8
	v_add_u32_e32 v7, s47, v7
	s_or_b64 s[20:21], vcc, s[20:21]
	v_add_u32_e32 v6, s44, v6
	ds_write_b64 v9, v[4:5]
	s_andn2_b64 exec, exec, s[20:21]
	s_cbranch_execnz .LBB174_26
	s_branch .LBB174_7
.LBB174_29:
	s_and_saveexec_b64 s[2:3], s[0:1]
	s_cbranch_execz .LBB174_34
; %bb.30:
	v_mad_u64_u32 v[2:3], s[0:1], v0, s33, v[0:1]
	v_add_u32_e32 v3, 8, v1
	s_lshl_b32 s7, s18, 3
	s_add_i32 s6, s33, 1
	v_mul_lo_u32 v3, s18, v3
	s_add_i32 s8, s7, 8
	s_mul_i32 s6, s6, s19
	v_add3_u32 v1, v3, v1, 0
	s_mul_i32 s8, s8, s19
	s_mov_b64 s[2:3], 0
	v_mov_b32_e32 v3, s37
.LBB174_31:                             ; =>This Loop Header: Depth=1
                                        ;     Child Loop BB174_32 Depth 2
	s_mov_b64 s[4:5], 0
	v_mov_b32_e32 v6, v1
	v_mov_b32_e32 v4, v2
	;; [unrolled: 1-line block ×3, first 2 shown]
.LBB174_32:                             ;   Parent Loop BB174_31 Depth=1
                                        ; =>  This Inner Loop Header: Depth=2
	ds_read_b64 v[8:9], v6
	v_ashrrev_i32_e32 v5, 31, v4
	v_add_u32_e32 v7, 1, v7
	v_lshlrev_b64 v[10:11], 3, v[4:5]
	v_cmp_le_i32_e32 vcc, s18, v7
	v_add_co_u32_e64 v10, s[0:1], s36, v10
	v_add_u32_e32 v6, s7, v6
	v_add_u32_e32 v4, s33, v4
	v_addc_co_u32_e64 v11, s[0:1], v3, v11, s[0:1]
	s_or_b64 s[4:5], vcc, s[4:5]
	s_waitcnt lgkmcnt(0)
	global_store_dwordx2 v[10:11], v[8:9], off
	s_andn2_b64 exec, exec, s[4:5]
	s_cbranch_execnz .LBB174_32
; %bb.33:                               ;   in Loop: Header=BB174_31 Depth=1
	s_or_b64 exec, exec, s[4:5]
	v_add_u32_e32 v0, s19, v0
	v_cmp_le_i32_e32 vcc, s18, v0
	v_add_u32_e32 v2, s6, v2
	s_or_b64 s[2:3], vcc, s[2:3]
	v_add_u32_e32 v1, s8, v1
	s_andn2_b64 exec, exec, s[2:3]
	s_cbranch_execnz .LBB174_31
.LBB174_34:
	s_endpgm
	.section	.rodata,"a",@progbits
	.p2align	6, 0x0
	.amdhsa_kernel _ZN9rocsolver6v33100L20larft_kernel_forwardI19rocblas_complex_numIfEPS3_EEv15rocblas_storev_iiT0_iilPT_lS8_il
		.amdhsa_group_segment_fixed_size 0
		.amdhsa_private_segment_fixed_size 0
		.amdhsa_kernarg_size 336
		.amdhsa_user_sgpr_count 6
		.amdhsa_user_sgpr_private_segment_buffer 1
		.amdhsa_user_sgpr_dispatch_ptr 0
		.amdhsa_user_sgpr_queue_ptr 0
		.amdhsa_user_sgpr_kernarg_segment_ptr 1
		.amdhsa_user_sgpr_dispatch_id 0
		.amdhsa_user_sgpr_flat_scratch_init 0
		.amdhsa_user_sgpr_kernarg_preload_length 0
		.amdhsa_user_sgpr_kernarg_preload_offset 0
		.amdhsa_user_sgpr_private_segment_size 0
		.amdhsa_uses_dynamic_stack 0
		.amdhsa_system_sgpr_private_segment_wavefront_offset 0
		.amdhsa_system_sgpr_workgroup_id_x 1
		.amdhsa_system_sgpr_workgroup_id_y 1
		.amdhsa_system_sgpr_workgroup_id_z 0
		.amdhsa_system_sgpr_workgroup_info 0
		.amdhsa_system_vgpr_workitem_id 0
		.amdhsa_next_free_vgpr 24
		.amdhsa_next_free_sgpr 52
		.amdhsa_accum_offset 24
		.amdhsa_reserve_vcc 1
		.amdhsa_reserve_flat_scratch 0
		.amdhsa_float_round_mode_32 0
		.amdhsa_float_round_mode_16_64 0
		.amdhsa_float_denorm_mode_32 3
		.amdhsa_float_denorm_mode_16_64 3
		.amdhsa_dx10_clamp 1
		.amdhsa_ieee_mode 1
		.amdhsa_fp16_overflow 0
		.amdhsa_tg_split 0
		.amdhsa_exception_fp_ieee_invalid_op 0
		.amdhsa_exception_fp_denorm_src 0
		.amdhsa_exception_fp_ieee_div_zero 0
		.amdhsa_exception_fp_ieee_overflow 0
		.amdhsa_exception_fp_ieee_underflow 0
		.amdhsa_exception_fp_ieee_inexact 0
		.amdhsa_exception_int_div_zero 0
	.end_amdhsa_kernel
	.section	.text._ZN9rocsolver6v33100L20larft_kernel_forwardI19rocblas_complex_numIfEPS3_EEv15rocblas_storev_iiT0_iilPT_lS8_il,"axG",@progbits,_ZN9rocsolver6v33100L20larft_kernel_forwardI19rocblas_complex_numIfEPS3_EEv15rocblas_storev_iiT0_iilPT_lS8_il,comdat
.Lfunc_end174:
	.size	_ZN9rocsolver6v33100L20larft_kernel_forwardI19rocblas_complex_numIfEPS3_EEv15rocblas_storev_iiT0_iilPT_lS8_il, .Lfunc_end174-_ZN9rocsolver6v33100L20larft_kernel_forwardI19rocblas_complex_numIfEPS3_EEv15rocblas_storev_iiT0_iilPT_lS8_il
                                        ; -- End function
	.section	.AMDGPU.csdata,"",@progbits
; Kernel info:
; codeLenInByte = 1680
; NumSgprs: 56
; NumVgprs: 24
; NumAgprs: 0
; TotalNumVgprs: 24
; ScratchSize: 0
; MemoryBound: 0
; FloatMode: 240
; IeeeMode: 1
; LDSByteSize: 0 bytes/workgroup (compile time only)
; SGPRBlocks: 6
; VGPRBlocks: 2
; NumSGPRsForWavesPerEU: 56
; NumVGPRsForWavesPerEU: 24
; AccumOffset: 24
; Occupancy: 8
; WaveLimiterHint : 0
; COMPUTE_PGM_RSRC2:SCRATCH_EN: 0
; COMPUTE_PGM_RSRC2:USER_SGPR: 6
; COMPUTE_PGM_RSRC2:TRAP_HANDLER: 0
; COMPUTE_PGM_RSRC2:TGID_X_EN: 1
; COMPUTE_PGM_RSRC2:TGID_Y_EN: 1
; COMPUTE_PGM_RSRC2:TGID_Z_EN: 0
; COMPUTE_PGM_RSRC2:TIDIG_COMP_CNT: 0
; COMPUTE_PGM_RSRC3_GFX90A:ACCUM_OFFSET: 5
; COMPUTE_PGM_RSRC3_GFX90A:TG_SPLIT: 0
	.section	.text._ZN9rocsolver6v33100L21larft_kernel_backwardI19rocblas_complex_numIfEPS3_EEv15rocblas_storev_iiT0_iilPT_lS8_il,"axG",@progbits,_ZN9rocsolver6v33100L21larft_kernel_backwardI19rocblas_complex_numIfEPS3_EEv15rocblas_storev_iiT0_iilPT_lS8_il,comdat
	.globl	_ZN9rocsolver6v33100L21larft_kernel_backwardI19rocblas_complex_numIfEPS3_EEv15rocblas_storev_iiT0_iilPT_lS8_il ; -- Begin function _ZN9rocsolver6v33100L21larft_kernel_backwardI19rocblas_complex_numIfEPS3_EEv15rocblas_storev_iiT0_iilPT_lS8_il
	.p2align	8
	.type	_ZN9rocsolver6v33100L21larft_kernel_backwardI19rocblas_complex_numIfEPS3_EEv15rocblas_storev_iiT0_iilPT_lS8_il,@function
_ZN9rocsolver6v33100L21larft_kernel_backwardI19rocblas_complex_numIfEPS3_EEv15rocblas_storev_iiT0_iilPT_lS8_il: ; @_ZN9rocsolver6v33100L21larft_kernel_backwardI19rocblas_complex_numIfEPS3_EEv15rocblas_storev_iiT0_iilPT_lS8_il
; %bb.0:
	s_load_dword s2, s[4:5], 0x5c
	s_load_dword s30, s[4:5], 0x40
	s_load_dwordx2 s[0:1], s[4:5], 0x48
	s_load_dwordx4 s[16:19], s[4:5], 0x0
	s_load_dwordx8 s[8:15], s[4:5], 0x20
	s_waitcnt lgkmcnt(0)
	s_and_b32 s19, s2, 0xffff
	s_ashr_i32 s6, s7, 31
	s_mul_i32 s1, s7, s1
	s_mul_hi_u32 s2, s7, s0
	s_add_i32 s1, s2, s1
	s_mul_i32 s2, s6, s0
	s_add_i32 s1, s1, s2
	s_mul_i32 s0, s7, s0
	s_lshl_b64 s[0:1], s[0:1], 3
	s_add_u32 s31, s14, s0
	s_addc_u32 s33, s15, s1
	v_cmp_gt_i32_e64 s[0:1], s18, v0
	v_add_u32_e32 v1, 1, v0
	s_and_saveexec_b64 s[2:3], s[0:1]
	s_cbranch_execz .LBB175_5
; %bb.1:
	s_lshl_b32 s22, s18, 3
	s_add_i32 s14, s22, 0
	v_add_u32_e32 v4, 1, v0
	v_lshl_add_u32 v5, v0, 3, s14
	s_lshl_b32 s23, s19, 3
	s_mov_b64 s[14:15], 0
	v_mov_b32_e32 v6, s33
	v_mov_b32_e32 v7, v0
.LBB175_2:                              ; =>This Loop Header: Depth=1
                                        ;     Child Loop BB175_3 Depth 2
	s_mov_b64 s[20:21], 0
	v_mov_b32_e32 v2, v7
	v_mov_b32_e32 v8, v5
	s_mov_b32 s24, 0
.LBB175_3:                              ;   Parent Loop BB175_2 Depth=1
                                        ; =>  This Inner Loop Header: Depth=2
	v_ashrrev_i32_e32 v3, 31, v2
	v_lshlrev_b64 v[10:11], 3, v[2:3]
	v_add_co_u32_e32 v10, vcc, s31, v10
	v_addc_co_u32_e32 v11, vcc, v6, v11, vcc
	global_load_dwordx2 v[10:11], v[10:11], off
	s_add_i32 s24, s24, 1
	v_cmp_eq_u32_e32 vcc, s24, v4
	v_add_u32_e32 v2, s30, v2
	s_or_b64 s[20:21], vcc, s[20:21]
	s_waitcnt vmcnt(0)
	ds_write_b64 v8, v[10:11]
	v_add_u32_e32 v8, s22, v8
	s_andn2_b64 exec, exec, s[20:21]
	s_cbranch_execnz .LBB175_3
; %bb.4:                                ;   in Loop: Header=BB175_2 Depth=1
	s_or_b64 exec, exec, s[20:21]
	v_add_u32_e32 v7, s19, v7
	v_cmp_le_i32_e32 vcc, s18, v7
	v_add_u32_e32 v4, s19, v4
	s_or_b64 s[14:15], vcc, s[14:15]
	v_add_u32_e32 v5, s23, v5
	s_andn2_b64 exec, exec, s[14:15]
	s_cbranch_execnz .LBB175_2
.LBB175_5:
	s_or_b64 exec, exec, s[2:3]
	s_cmp_lt_i32 s18, 2
	s_waitcnt lgkmcnt(0)
	s_barrier
	s_cbranch_scc1 .LBB175_29
; %bb.6:
	s_load_dwordx4 s[20:23], s[4:5], 0x10
	s_mul_i32 s2, s7, s13
	s_mul_hi_u32 s3, s7, s12
	s_add_i32 s4, s3, s2
	s_mul_i32 s5, s6, s12
	s_add_i32 s5, s4, s5
	s_mul_i32 s4, s7, s12
	s_waitcnt lgkmcnt(0)
	s_ashr_i32 s3, s22, 31
	s_lshl_b64 s[4:5], s[4:5], 3
	s_mov_b32 s2, s22
	s_add_u32 s22, s10, s4
	s_addc_u32 s34, s11, s5
	s_lshl_b32 s35, s18, 3
	s_add_i32 s36, s35, 0
	s_add_i32 s4, s18, -2
	s_sub_i32 s37, s17, s18
	s_cmpk_lg_i32 s16, 0xb5
	s_mul_i32 s6, s8, s6
	s_mul_hi_u32 s12, s8, s7
	s_cselect_b64 s[10:11], -1, 0
	s_add_i32 s6, s12, s6
	s_mul_i32 s9, s9, s7
	s_add_i32 s9, s6, s9
	s_mul_i32 s8, s8, s7
	s_lshl_b64 s[6:7], s[8:9], 3
	s_lshl_b64 s[2:3], s[2:3], 3
	s_mov_b32 s5, 0
	s_add_u32 s8, s6, s2
	s_addc_u32 s9, s7, s3
	s_lshl_b64 s[2:3], s[4:5], 3
	s_add_u32 s6, s8, s2
	s_addc_u32 s7, s9, s3
	s_add_u32 s38, s20, s6
	s_addc_u32 s39, s21, s7
	s_ashr_i32 s7, s23, 31
	s_mov_b32 s6, s23
	s_lshl_b64 s[6:7], s[6:7], 3
	s_add_u32 s40, s20, s8
	s_addc_u32 s41, s21, s9
	s_add_u32 s2, s40, s2
	s_addc_u32 s3, s41, s3
	s_lshl_b32 s42, s19, 3
	v_lshlrev_b32_e32 v4, 3, v0
	s_add_u32 s44, s40, 4
	v_add_co_u32_e32 v3, vcc, s2, v4
	s_addc_u32 s45, s41, 0
	s_add_i32 s2, s18, -1
	v_mov_b32_e32 v2, s3
	s_mul_i32 s12, s23, s2
	s_add_i32 s2, s35, 8
	v_addc_co_u32_e32 v5, vcc, 0, v2, vcc
	s_mul_i32 s2, s18, s2
	v_add_co_u32_e32 v2, vcc, 8, v3
	s_add_i32 s2, s2, 0
	v_addc_co_u32_e32 v3, vcc, 0, v5, vcc
	s_mov_b32 s43, s5
	s_mul_i32 s8, s23, s4
	v_mul_lo_u32 v10, v0, s23
	s_mul_i32 s46, s23, s19
	v_add3_u32 v11, s2, v4, -8
	s_xor_b32 s47, s35, -8
	s_branch .LBB175_8
.LBB175_7:                              ;   in Loop: Header=BB175_8 Depth=1
	s_or_b64 exec, exec, s[2:3]
	s_add_i32 s2, s4, -1
	s_add_u32 s38, s38, -8
	s_addc_u32 s39, s39, -1
	v_add_co_u32_e32 v2, vcc, -8, v2
	s_sub_i32 s8, s8, s23
	s_sub_i32 s12, s12, s23
	v_addc_co_u32_e32 v3, vcc, -1, v3, vcc
	v_add_u32_e32 v11, s47, v11
	s_cmp_lt_i32 s4, 1
	s_mov_b32 s4, s2
	s_waitcnt lgkmcnt(0)
	s_barrier
	s_cbranch_scc1 .LBB175_29
.LBB175_8:                              ; =>This Loop Header: Depth=1
                                        ;     Child Loop BB175_12 Depth 2
                                        ;       Child Loop BB175_14 Depth 3
                                        ;     Child Loop BB175_20 Depth 2
                                        ;       Child Loop BB175_22 Depth 3
                                        ;     Child Loop BB175_26 Depth 2
                                        ;       Child Loop BB175_27 Depth 3
	s_lshl_b32 s2, s4, 3
	s_not_b32 s48, s4
	s_add_i32 s49, s36, s2
	s_mul_i32 s2, s4, s18
	s_add_i32 s48, s48, s18
	s_lshl_b32 s2, s2, 3
	s_add_i32 s50, s4, s37
	s_add_i32 s49, s49, s2
	s_mov_b64 s[14:15], -1
	s_and_b64 vcc, exec, s[10:11]
	v_cmp_gt_i32_e64 s[2:3], s48, v0
	s_cbranch_vccz .LBB175_16
; %bb.9:                                ;   in Loop: Header=BB175_8 Depth=1
	s_and_saveexec_b64 s[14:15], s[2:3]
	s_cbranch_execz .LBB175_15
; %bb.10:                               ;   in Loop: Header=BB175_8 Depth=1
	s_cmp_gt_i32 s50, 0
	s_cselect_b64 s[2:3], -1, 0
	s_lshl_b64 s[16:17], s[4:5], 3
	s_add_u32 s16, s22, s16
	s_addc_u32 s17, s34, s17
	s_load_dwordx2 s[16:17], s[16:17], 0x0
	s_add_i32 s9, s49, 8
	s_mov_b64 s[24:25], 0
	v_pk_mov_b32 v[4:5], v[2:3], v[2:3] op_sel:[0,1]
	v_mov_b32_e32 v8, v0
	s_waitcnt lgkmcnt(0)
	s_mov_b32 s20, s16
	s_mov_b32 s21, s16
	;; [unrolled: 1-line block ×3, first 2 shown]
	s_branch .LBB175_12
.LBB175_11:                             ;   in Loop: Header=BB175_12 Depth=2
	v_lshlrev_b32_e32 v9, 3, v8
	v_add_u32_e32 v14, s9, v9
	ds_read_b64 v[14:15], v14
	v_pk_mul_f32 v[12:13], v[6:7], s[16:17]
	v_pk_fma_f32 v[16:17], v[6:7], s[20:21], v[12:13] op_sel:[0,0,1] op_sel_hi:[1,1,0] neg_lo:[0,0,1] neg_hi:[0,0,1]
	v_pk_fma_f32 v[6:7], v[6:7], s[20:21], v[12:13] op_sel:[0,0,1] op_sel_hi:[1,1,0]
	v_mov_b32_e32 v17, v7
	v_add_u32_e32 v8, s19, v8
	v_add_u32_e32 v9, 0, v9
	s_waitcnt lgkmcnt(0)
	v_pk_add_f32 v[6:7], v[14:15], v[16:17]
	v_cmp_le_i32_e32 vcc, s48, v8
	ds_write_b64 v9, v[6:7]
	v_mov_b32_e32 v6, s43
	s_or_b64 s[24:25], vcc, s[24:25]
	v_add_co_u32_e32 v4, vcc, s42, v4
	v_addc_co_u32_e32 v5, vcc, v5, v6, vcc
	s_andn2_b64 exec, exec, s[24:25]
	s_cbranch_execz .LBB175_15
.LBB175_12:                             ;   Parent Loop BB175_8 Depth=1
                                        ; =>  This Loop Header: Depth=2
                                        ;       Child Loop BB175_14 Depth 3
	v_mov_b32_e32 v7, 0
	s_andn2_b64 vcc, exec, s[2:3]
	v_mov_b32_e32 v6, v7
	s_cbranch_vccnz .LBB175_11
; %bb.13:                               ;   in Loop: Header=BB175_12 Depth=2
	v_mov_b32_e32 v6, 0
	s_mov_b32 s13, 0
	s_mov_b64 s[26:27], 0
	v_mov_b32_e32 v7, v6
.LBB175_14:                             ;   Parent Loop BB175_8 Depth=1
                                        ;     Parent Loop BB175_12 Depth=2
                                        ; =>    This Inner Loop Header: Depth=3
	v_mov_b32_e32 v9, s27
	v_add_co_u32_e32 v12, vcc, s26, v4
	v_addc_co_u32_e32 v13, vcc, v5, v9, vcc
	global_load_dwordx2 v[12:13], v[12:13], off
	s_add_u32 s28, s38, s26
	s_addc_u32 s29, s39, s27
	s_load_dwordx2 s[28:29], s[28:29], 0x0
	s_add_i32 s13, s13, 1
	s_add_u32 s26, s26, s6
	s_addc_u32 s27, s27, s7
	s_cmp_ge_i32 s13, s50
	s_waitcnt vmcnt(0) lgkmcnt(0)
	v_pk_mul_f32 v[14:15], s[28:29], v[12:13] op_sel:[0,1]
	v_pk_fma_f32 v[16:17], s[28:29], v[12:13], v[14:15] op_sel:[0,0,1] op_sel_hi:[1,1,0]
	v_pk_fma_f32 v[12:13], s[28:29], v[12:13], v[14:15] op_sel:[0,0,1] op_sel_hi:[1,0,0] neg_lo:[1,0,0] neg_hi:[1,0,0]
	v_mov_b32_e32 v17, v13
	v_pk_add_f32 v[6:7], v[6:7], v[16:17]
	s_cbranch_scc0 .LBB175_14
	s_branch .LBB175_11
.LBB175_15:                             ;   in Loop: Header=BB175_8 Depth=1
	s_or_b64 exec, exec, s[14:15]
	s_mov_b64 s[14:15], 0
.LBB175_16:                             ;   in Loop: Header=BB175_8 Depth=1
	s_andn2_b64 vcc, exec, s[14:15]
	s_cbranch_vccnz .LBB175_24
; %bb.17:                               ;   in Loop: Header=BB175_8 Depth=1
	v_cmp_gt_i32_e32 vcc, s48, v0
	s_and_saveexec_b64 s[2:3], vcc
	s_cbranch_execz .LBB175_23
; %bb.18:                               ;   in Loop: Header=BB175_8 Depth=1
	s_ashr_i32 s9, s8, 31
	s_lshl_b64 s[14:15], s[8:9], 3
	s_add_u32 s14, s40, s14
	s_addc_u32 s15, s41, s15
	s_ashr_i32 s13, s12, 31
	s_lshl_b64 s[26:27], s[12:13], 3
	s_cmp_gt_i32 s50, 0
	s_cselect_b64 s[16:17], -1, 0
	s_lshl_b64 s[20:21], s[4:5], 3
	s_add_u32 s20, s22, s20
	s_addc_u32 s21, s34, s21
	s_load_dwordx2 s[20:21], s[20:21], 0x0
	s_add_i32 s9, s49, 8
	s_add_u32 s13, s44, s26
	s_addc_u32 s51, s45, s27
	s_mov_b64 s[26:27], 0
	s_waitcnt lgkmcnt(0)
	s_mov_b32 s24, s20
	s_mov_b32 s25, s20
	;; [unrolled: 1-line block ×3, first 2 shown]
	v_mov_b32_e32 v4, v10
	v_mov_b32_e32 v12, v0
	s_branch .LBB175_20
.LBB175_19:                             ;   in Loop: Header=BB175_20 Depth=2
	v_lshlrev_b32_e32 v5, 3, v12
	v_add_u32_e32 v13, s9, v5
	ds_read_b64 v[14:15], v13
	v_pk_mul_f32 v[8:9], v[6:7], s[20:21]
	v_pk_fma_f32 v[16:17], v[6:7], s[24:25], v[8:9] op_sel:[0,0,1] op_sel_hi:[1,1,0] neg_lo:[0,0,1] neg_hi:[0,0,1]
	v_pk_fma_f32 v[6:7], v[6:7], s[24:25], v[8:9] op_sel:[0,0,1] op_sel_hi:[1,1,0]
	v_add_u32_e32 v12, s19, v12
	v_mov_b32_e32 v17, v7
	v_cmp_le_i32_e32 vcc, s48, v12
	v_add_u32_e32 v5, 0, v5
	s_waitcnt lgkmcnt(0)
	v_pk_add_f32 v[6:7], v[14:15], v[16:17]
	s_or_b64 s[26:27], vcc, s[26:27]
	v_add_u32_e32 v4, s46, v4
	ds_write_b64 v5, v[6:7]
	s_andn2_b64 exec, exec, s[26:27]
	s_cbranch_execz .LBB175_23
.LBB175_20:                             ;   Parent Loop BB175_8 Depth=1
                                        ; =>  This Loop Header: Depth=2
                                        ;       Child Loop BB175_22 Depth 3
	v_mov_b32_e32 v7, 0
	s_andn2_b64 vcc, exec, s[16:17]
	v_mov_b32_e32 v6, v7
	s_cbranch_vccnz .LBB175_19
; %bb.21:                               ;   in Loop: Header=BB175_20 Depth=2
	v_ashrrev_i32_e32 v5, 31, v4
	v_lshlrev_b64 v[6:7], 3, v[4:5]
	v_mov_b32_e32 v5, s51
	v_add_co_u32_e32 v8, vcc, s13, v6
	v_mov_b32_e32 v6, 0
	v_addc_co_u32_e32 v9, vcc, v5, v7, vcc
	s_mov_b32 s52, 0
	s_mov_b64 s[28:29], s[14:15]
	v_mov_b32_e32 v7, v6
.LBB175_22:                             ;   Parent Loop BB175_8 Depth=1
                                        ;     Parent Loop BB175_20 Depth=2
                                        ; =>    This Inner Loop Header: Depth=3
	global_load_dwordx2 v[14:15], v[8:9], off offset:-4
	s_load_dwordx2 s[54:55], s[28:29], 0x0
	s_add_i32 s52, s52, 1
	s_add_u32 s28, s28, 8
	v_add_co_u32_e32 v8, vcc, 8, v8
	s_addc_u32 s29, s29, 0
	v_addc_co_u32_e32 v9, vcc, 0, v9, vcc
	s_cmp_ge_i32 s52, s50
	s_waitcnt vmcnt(0) lgkmcnt(0)
	v_pk_mul_f32 v[16:17], v[14:15], s[54:55] op_sel:[1,0]
	v_pk_fma_f32 v[18:19], v[14:15], s[54:55], v[16:17] op_sel:[0,0,1] op_sel_hi:[1,1,0]
	v_pk_fma_f32 v[14:15], v[14:15], s[54:55], v[16:17] op_sel:[0,0,1] op_sel_hi:[0,1,0] neg_lo:[0,0,1] neg_hi:[0,0,1]
	v_mov_b32_e32 v19, v15
	v_pk_add_f32 v[6:7], v[6:7], v[18:19]
	s_cbranch_scc0 .LBB175_22
	s_branch .LBB175_19
.LBB175_23:                             ;   in Loop: Header=BB175_8 Depth=1
	s_or_b64 exec, exec, s[2:3]
.LBB175_24:                             ;   in Loop: Header=BB175_8 Depth=1
	v_cmp_gt_i32_e32 vcc, s48, v0
	s_waitcnt lgkmcnt(0)
	s_barrier
	s_and_saveexec_b64 s[2:3], vcc
	s_cbranch_execz .LBB175_7
; %bb.25:                               ;   in Loop: Header=BB175_8 Depth=1
	s_add_i32 s49, s49, 8
	s_mov_b64 s[14:15], 0
	v_mov_b32_e32 v6, v11
	v_mov_b32_e32 v7, v0
.LBB175_26:                             ;   Parent Loop BB175_8 Depth=1
                                        ; =>  This Loop Header: Depth=2
                                        ;       Child Loop BB175_27 Depth 3
	v_mov_b32_e32 v4, 0
	s_mov_b32 s9, 0
	s_mov_b32 s13, -1
	s_mov_b64 s[16:17], 0
	v_mov_b32_e32 v8, v6
	v_mov_b32_e32 v5, v4
.LBB175_27:                             ;   Parent Loop BB175_8 Depth=1
                                        ;     Parent Loop BB175_26 Depth=2
                                        ; =>    This Inner Loop Header: Depth=3
	v_mov_b32_e32 v9, s9
	ds_read_b64 v[12:13], v8
	ds_read_b64 v[14:15], v9
	s_add_i32 s13, s13, 1
	s_add_i32 s9, s9, 8
	v_cmp_eq_u32_e32 vcc, s13, v7
	v_add_u32_e32 v8, s35, v8
	s_waitcnt lgkmcnt(0)
	v_pk_mul_f32 v[16:17], v[14:15], v[12:13] op_sel:[0,1]
	v_pk_fma_f32 v[18:19], v[14:15], v[12:13], v[16:17] op_sel:[0,0,1] op_sel_hi:[1,1,0] neg_lo:[0,0,1] neg_hi:[0,0,1]
	v_pk_fma_f32 v[12:13], v[14:15], v[12:13], v[16:17] op_sel:[0,0,1] op_sel_hi:[1,0,0]
	v_mov_b32_e32 v19, v13
	s_or_b64 s[16:17], vcc, s[16:17]
	v_pk_add_f32 v[4:5], v[4:5], v[18:19]
	s_andn2_b64 exec, exec, s[16:17]
	s_cbranch_execnz .LBB175_27
; %bb.28:                               ;   in Loop: Header=BB175_26 Depth=2
	s_or_b64 exec, exec, s[16:17]
	v_lshl_add_u32 v8, v7, 3, s49
	v_add_u32_e32 v7, s19, v7
	v_cmp_le_i32_e32 vcc, s48, v7
	s_or_b64 s[14:15], vcc, s[14:15]
	v_add_u32_e32 v6, s42, v6
	ds_write_b64 v8, v[4:5]
	s_andn2_b64 exec, exec, s[14:15]
	s_cbranch_execnz .LBB175_26
	s_branch .LBB175_7
.LBB175_29:
	s_and_saveexec_b64 s[2:3], s[0:1]
	s_cbranch_execz .LBB175_34
; %bb.30:
	s_lshl_b32 s6, s18, 3
	s_add_i32 s0, s6, 0
	v_lshl_add_u32 v4, v0, 3, s0
	s_lshl_b32 s7, s19, 3
	s_mov_b64 s[2:3], 0
	v_mov_b32_e32 v5, s33
.LBB175_31:                             ; =>This Loop Header: Depth=1
                                        ;     Child Loop BB175_32 Depth 2
	s_mov_b64 s[4:5], 0
	v_mov_b32_e32 v6, v4
	v_mov_b32_e32 v2, v0
	s_mov_b32 s8, 0
.LBB175_32:                             ;   Parent Loop BB175_31 Depth=1
                                        ; =>  This Inner Loop Header: Depth=2
	ds_read_b64 v[8:9], v6
	v_ashrrev_i32_e32 v3, 31, v2
	s_add_i32 s8, s8, 1
	v_lshlrev_b64 v[10:11], 3, v[2:3]
	v_cmp_eq_u32_e32 vcc, s8, v1
	v_add_co_u32_e64 v10, s[0:1], s31, v10
	v_add_u32_e32 v6, s6, v6
	v_add_u32_e32 v2, s30, v2
	v_addc_co_u32_e64 v11, s[0:1], v5, v11, s[0:1]
	s_or_b64 s[4:5], vcc, s[4:5]
	s_waitcnt lgkmcnt(0)
	global_store_dwordx2 v[10:11], v[8:9], off
	s_andn2_b64 exec, exec, s[4:5]
	s_cbranch_execnz .LBB175_32
; %bb.33:                               ;   in Loop: Header=BB175_31 Depth=1
	s_or_b64 exec, exec, s[4:5]
	v_add_u32_e32 v0, s19, v0
	v_cmp_le_i32_e32 vcc, s18, v0
	v_add_u32_e32 v1, s19, v1
	s_or_b64 s[2:3], vcc, s[2:3]
	v_add_u32_e32 v4, s7, v4
	s_andn2_b64 exec, exec, s[2:3]
	s_cbranch_execnz .LBB175_31
.LBB175_34:
	s_endpgm
	.section	.rodata,"a",@progbits
	.p2align	6, 0x0
	.amdhsa_kernel _ZN9rocsolver6v33100L21larft_kernel_backwardI19rocblas_complex_numIfEPS3_EEv15rocblas_storev_iiT0_iilPT_lS8_il
		.amdhsa_group_segment_fixed_size 0
		.amdhsa_private_segment_fixed_size 0
		.amdhsa_kernarg_size 336
		.amdhsa_user_sgpr_count 6
		.amdhsa_user_sgpr_private_segment_buffer 1
		.amdhsa_user_sgpr_dispatch_ptr 0
		.amdhsa_user_sgpr_queue_ptr 0
		.amdhsa_user_sgpr_kernarg_segment_ptr 1
		.amdhsa_user_sgpr_dispatch_id 0
		.amdhsa_user_sgpr_flat_scratch_init 0
		.amdhsa_user_sgpr_kernarg_preload_length 0
		.amdhsa_user_sgpr_kernarg_preload_offset 0
		.amdhsa_user_sgpr_private_segment_size 0
		.amdhsa_uses_dynamic_stack 0
		.amdhsa_system_sgpr_private_segment_wavefront_offset 0
		.amdhsa_system_sgpr_workgroup_id_x 1
		.amdhsa_system_sgpr_workgroup_id_y 1
		.amdhsa_system_sgpr_workgroup_id_z 0
		.amdhsa_system_sgpr_workgroup_info 0
		.amdhsa_system_vgpr_workitem_id 0
		.amdhsa_next_free_vgpr 20
		.amdhsa_next_free_sgpr 56
		.amdhsa_accum_offset 20
		.amdhsa_reserve_vcc 1
		.amdhsa_reserve_flat_scratch 0
		.amdhsa_float_round_mode_32 0
		.amdhsa_float_round_mode_16_64 0
		.amdhsa_float_denorm_mode_32 3
		.amdhsa_float_denorm_mode_16_64 3
		.amdhsa_dx10_clamp 1
		.amdhsa_ieee_mode 1
		.amdhsa_fp16_overflow 0
		.amdhsa_tg_split 0
		.amdhsa_exception_fp_ieee_invalid_op 0
		.amdhsa_exception_fp_denorm_src 0
		.amdhsa_exception_fp_ieee_div_zero 0
		.amdhsa_exception_fp_ieee_overflow 0
		.amdhsa_exception_fp_ieee_underflow 0
		.amdhsa_exception_fp_ieee_inexact 0
		.amdhsa_exception_int_div_zero 0
	.end_amdhsa_kernel
	.section	.text._ZN9rocsolver6v33100L21larft_kernel_backwardI19rocblas_complex_numIfEPS3_EEv15rocblas_storev_iiT0_iilPT_lS8_il,"axG",@progbits,_ZN9rocsolver6v33100L21larft_kernel_backwardI19rocblas_complex_numIfEPS3_EEv15rocblas_storev_iiT0_iilPT_lS8_il,comdat
.Lfunc_end175:
	.size	_ZN9rocsolver6v33100L21larft_kernel_backwardI19rocblas_complex_numIfEPS3_EEv15rocblas_storev_iiT0_iilPT_lS8_il, .Lfunc_end175-_ZN9rocsolver6v33100L21larft_kernel_backwardI19rocblas_complex_numIfEPS3_EEv15rocblas_storev_iiT0_iilPT_lS8_il
                                        ; -- End function
	.section	.AMDGPU.csdata,"",@progbits
; Kernel info:
; codeLenInByte = 1688
; NumSgprs: 60
; NumVgprs: 20
; NumAgprs: 0
; TotalNumVgprs: 20
; ScratchSize: 0
; MemoryBound: 0
; FloatMode: 240
; IeeeMode: 1
; LDSByteSize: 0 bytes/workgroup (compile time only)
; SGPRBlocks: 7
; VGPRBlocks: 2
; NumSGPRsForWavesPerEU: 60
; NumVGPRsForWavesPerEU: 20
; AccumOffset: 20
; Occupancy: 8
; WaveLimiterHint : 0
; COMPUTE_PGM_RSRC2:SCRATCH_EN: 0
; COMPUTE_PGM_RSRC2:USER_SGPR: 6
; COMPUTE_PGM_RSRC2:TRAP_HANDLER: 0
; COMPUTE_PGM_RSRC2:TGID_X_EN: 1
; COMPUTE_PGM_RSRC2:TGID_Y_EN: 1
; COMPUTE_PGM_RSRC2:TGID_Z_EN: 0
; COMPUTE_PGM_RSRC2:TIDIG_COMP_CNT: 0
; COMPUTE_PGM_RSRC3_GFX90A:ACCUM_OFFSET: 4
; COMPUTE_PGM_RSRC3_GFX90A:TG_SPLIT: 0
	.section	.text._ZN9rocsolver6v33100L9copymatA1I19rocblas_complex_numIfEPS3_EEviiT0_iilPT_,"axG",@progbits,_ZN9rocsolver6v33100L9copymatA1I19rocblas_complex_numIfEPS3_EEviiT0_iilPT_,comdat
	.globl	_ZN9rocsolver6v33100L9copymatA1I19rocblas_complex_numIfEPS3_EEviiT0_iilPT_ ; -- Begin function _ZN9rocsolver6v33100L9copymatA1I19rocblas_complex_numIfEPS3_EEviiT0_iilPT_
	.p2align	8
	.type	_ZN9rocsolver6v33100L9copymatA1I19rocblas_complex_numIfEPS3_EEviiT0_iilPT_,@function
_ZN9rocsolver6v33100L9copymatA1I19rocblas_complex_numIfEPS3_EEviiT0_iilPT_: ; @_ZN9rocsolver6v33100L9copymatA1I19rocblas_complex_numIfEPS3_EEviiT0_iilPT_
; %bb.0:
	s_load_dword s0, s[4:5], 0x34
	s_load_dwordx2 s[2:3], s[4:5], 0x0
	v_and_b32_e32 v1, 0x3ff, v0
	v_bfe_u32 v0, v0, 10, 10
	s_waitcnt lgkmcnt(0)
	s_lshr_b32 s1, s0, 16
	s_and_b32 s0, s0, 0xffff
	s_mul_i32 s6, s6, s0
	s_mul_i32 s7, s7, s1
	v_add_u32_e32 v1, s6, v1
	v_add_u32_e32 v0, s7, v0
	v_cmp_gt_u32_e32 vcc, s2, v0
	v_cmp_gt_u32_e64 s[0:1], s3, v1
	s_and_b64 s[0:1], s[0:1], vcc
	s_and_saveexec_b64 s[6:7], s[0:1]
	s_cbranch_execz .LBB176_2
; %bb.1:
	s_ashr_i32 s0, s2, 31
	s_load_dwordx8 s[12:19], s[4:5], 0x8
	s_mul_hi_u32 s4, s2, s8
	s_mul_i32 s0, s0, s8
	s_ashr_i32 s1, s3, 31
	s_add_i32 s0, s4, s0
	s_mul_i32 s4, s2, s8
	s_mul_i32 s1, s4, s1
	s_mul_hi_u32 s5, s4, s3
	s_add_i32 s1, s5, s1
	s_mul_i32 s0, s0, s3
	s_add_i32 s1, s1, s0
	s_mul_i32 s0, s4, s3
	s_lshl_b64 s[0:1], s[0:1], 3
	s_waitcnt lgkmcnt(0)
	s_add_u32 s3, s18, s0
	s_mul_i32 s4, s8, s17
	s_mul_hi_u32 s5, s8, s16
	s_addc_u32 s6, s19, s1
	s_add_i32 s5, s5, s4
	s_mul_i32 s4, s8, s16
	s_ashr_i32 s1, s14, 31
	s_lshl_b64 s[4:5], s[4:5], 3
	s_mov_b32 s0, s14
	s_add_u32 s4, s12, s4
	s_addc_u32 s5, s13, s5
	s_lshl_b64 s[0:1], s[0:1], 3
	s_add_u32 s4, s4, s0
	s_addc_u32 s5, s5, s1
	v_mad_u64_u32 v[2:3], s[0:1], v1, s15, v[0:1]
	v_mov_b32_e32 v3, 0
	v_lshlrev_b64 v[4:5], 3, v[2:3]
	v_mov_b32_e32 v2, s5
	v_add_co_u32_e32 v4, vcc, s4, v4
	v_addc_co_u32_e32 v5, vcc, v2, v5, vcc
	global_load_dwordx2 v[4:5], v[4:5], off
	v_mad_u64_u32 v[0:1], s[0:1], v1, s2, v[0:1]
	v_mov_b32_e32 v1, v3
	v_lshlrev_b64 v[0:1], 3, v[0:1]
	v_mov_b32_e32 v2, s6
	v_add_co_u32_e32 v0, vcc, s3, v0
	v_addc_co_u32_e32 v1, vcc, v2, v1, vcc
	s_waitcnt vmcnt(0)
	global_store_dwordx2 v[0:1], v[4:5], off
.LBB176_2:
	s_endpgm
	.section	.rodata,"a",@progbits
	.p2align	6, 0x0
	.amdhsa_kernel _ZN9rocsolver6v33100L9copymatA1I19rocblas_complex_numIfEPS3_EEviiT0_iilPT_
		.amdhsa_group_segment_fixed_size 0
		.amdhsa_private_segment_fixed_size 0
		.amdhsa_kernarg_size 296
		.amdhsa_user_sgpr_count 6
		.amdhsa_user_sgpr_private_segment_buffer 1
		.amdhsa_user_sgpr_dispatch_ptr 0
		.amdhsa_user_sgpr_queue_ptr 0
		.amdhsa_user_sgpr_kernarg_segment_ptr 1
		.amdhsa_user_sgpr_dispatch_id 0
		.amdhsa_user_sgpr_flat_scratch_init 0
		.amdhsa_user_sgpr_kernarg_preload_length 0
		.amdhsa_user_sgpr_kernarg_preload_offset 0
		.amdhsa_user_sgpr_private_segment_size 0
		.amdhsa_uses_dynamic_stack 0
		.amdhsa_system_sgpr_private_segment_wavefront_offset 0
		.amdhsa_system_sgpr_workgroup_id_x 1
		.amdhsa_system_sgpr_workgroup_id_y 1
		.amdhsa_system_sgpr_workgroup_id_z 1
		.amdhsa_system_sgpr_workgroup_info 0
		.amdhsa_system_vgpr_workitem_id 1
		.amdhsa_next_free_vgpr 6
		.amdhsa_next_free_sgpr 20
		.amdhsa_accum_offset 8
		.amdhsa_reserve_vcc 1
		.amdhsa_reserve_flat_scratch 0
		.amdhsa_float_round_mode_32 0
		.amdhsa_float_round_mode_16_64 0
		.amdhsa_float_denorm_mode_32 3
		.amdhsa_float_denorm_mode_16_64 3
		.amdhsa_dx10_clamp 1
		.amdhsa_ieee_mode 1
		.amdhsa_fp16_overflow 0
		.amdhsa_tg_split 0
		.amdhsa_exception_fp_ieee_invalid_op 0
		.amdhsa_exception_fp_denorm_src 0
		.amdhsa_exception_fp_ieee_div_zero 0
		.amdhsa_exception_fp_ieee_overflow 0
		.amdhsa_exception_fp_ieee_underflow 0
		.amdhsa_exception_fp_ieee_inexact 0
		.amdhsa_exception_int_div_zero 0
	.end_amdhsa_kernel
	.section	.text._ZN9rocsolver6v33100L9copymatA1I19rocblas_complex_numIfEPS3_EEviiT0_iilPT_,"axG",@progbits,_ZN9rocsolver6v33100L9copymatA1I19rocblas_complex_numIfEPS3_EEviiT0_iilPT_,comdat
.Lfunc_end176:
	.size	_ZN9rocsolver6v33100L9copymatA1I19rocblas_complex_numIfEPS3_EEviiT0_iilPT_, .Lfunc_end176-_ZN9rocsolver6v33100L9copymatA1I19rocblas_complex_numIfEPS3_EEviiT0_iilPT_
                                        ; -- End function
	.section	.AMDGPU.csdata,"",@progbits
; Kernel info:
; codeLenInByte = 296
; NumSgprs: 24
; NumVgprs: 6
; NumAgprs: 0
; TotalNumVgprs: 6
; ScratchSize: 0
; MemoryBound: 0
; FloatMode: 240
; IeeeMode: 1
; LDSByteSize: 0 bytes/workgroup (compile time only)
; SGPRBlocks: 2
; VGPRBlocks: 0
; NumSGPRsForWavesPerEU: 24
; NumVGPRsForWavesPerEU: 6
; AccumOffset: 8
; Occupancy: 8
; WaveLimiterHint : 0
; COMPUTE_PGM_RSRC2:SCRATCH_EN: 0
; COMPUTE_PGM_RSRC2:USER_SGPR: 6
; COMPUTE_PGM_RSRC2:TRAP_HANDLER: 0
; COMPUTE_PGM_RSRC2:TGID_X_EN: 1
; COMPUTE_PGM_RSRC2:TGID_Y_EN: 1
; COMPUTE_PGM_RSRC2:TGID_Z_EN: 1
; COMPUTE_PGM_RSRC2:TIDIG_COMP_CNT: 1
; COMPUTE_PGM_RSRC3_GFX90A:ACCUM_OFFSET: 1
; COMPUTE_PGM_RSRC3_GFX90A:TG_SPLIT: 0
	.section	.text._ZN9rocsolver6v33100L8addmatA1I19rocblas_complex_numIfEPS3_EEviiT0_iilPT_,"axG",@progbits,_ZN9rocsolver6v33100L8addmatA1I19rocblas_complex_numIfEPS3_EEviiT0_iilPT_,comdat
	.globl	_ZN9rocsolver6v33100L8addmatA1I19rocblas_complex_numIfEPS3_EEviiT0_iilPT_ ; -- Begin function _ZN9rocsolver6v33100L8addmatA1I19rocblas_complex_numIfEPS3_EEviiT0_iilPT_
	.p2align	8
	.type	_ZN9rocsolver6v33100L8addmatA1I19rocblas_complex_numIfEPS3_EEviiT0_iilPT_,@function
_ZN9rocsolver6v33100L8addmatA1I19rocblas_complex_numIfEPS3_EEviiT0_iilPT_: ; @_ZN9rocsolver6v33100L8addmatA1I19rocblas_complex_numIfEPS3_EEviiT0_iilPT_
; %bb.0:
	s_load_dword s0, s[4:5], 0x34
	s_load_dwordx2 s[10:11], s[4:5], 0x0
	v_and_b32_e32 v1, 0x3ff, v0
	v_bfe_u32 v0, v0, 10, 10
	s_waitcnt lgkmcnt(0)
	s_lshr_b32 s1, s0, 16
	s_and_b32 s0, s0, 0xffff
	s_mul_i32 s6, s6, s0
	s_mul_i32 s7, s7, s1
	v_add_u32_e32 v1, s6, v1
	v_add_u32_e32 v0, s7, v0
	v_cmp_gt_u32_e32 vcc, s10, v0
	v_cmp_gt_u32_e64 s[0:1], s11, v1
	s_and_b64 s[0:1], s[0:1], vcc
	s_and_saveexec_b64 s[2:3], s[0:1]
	s_cbranch_execz .LBB177_2
; %bb.1:
	s_ashr_i32 s9, s10, 31
	s_load_dwordx8 s[0:7], s[4:5], 0x8
	s_ashr_i32 s12, s11, 31
	s_mul_hi_u32 s13, s10, s8
	s_mul_i32 s9, s9, s8
	s_mul_i32 s14, s10, s8
	s_add_i32 s9, s13, s9
	s_mul_i32 s12, s14, s12
	s_mul_hi_u32 s13, s14, s11
	s_add_i32 s12, s13, s12
	s_mul_i32 s9, s9, s11
	s_add_i32 s13, s12, s9
	s_mul_i32 s12, s14, s11
	s_lshl_b64 s[12:13], s[12:13], 3
	s_waitcnt lgkmcnt(0)
	s_add_u32 s9, s6, s12
	s_addc_u32 s11, s7, s13
	s_ashr_i32 s7, s2, 31
	s_mov_b32 s6, s2
	s_mul_i32 s2, s8, s5
	s_mul_hi_u32 s5, s8, s4
	s_add_i32 s5, s5, s2
	s_mul_i32 s4, s8, s4
	s_lshl_b64 s[4:5], s[4:5], 3
	s_add_u32 s2, s0, s4
	s_addc_u32 s4, s1, s5
	s_lshl_b64 s[0:1], s[6:7], 3
	s_add_u32 s2, s2, s0
	s_addc_u32 s4, s4, s1
	v_mad_u64_u32 v[2:3], s[0:1], v1, s10, v[0:1]
	v_mov_b32_e32 v3, 0
	v_lshlrev_b64 v[4:5], 3, v[2:3]
	v_mad_u64_u32 v[0:1], s[0:1], v1, s3, v[0:1]
	v_mov_b32_e32 v2, s11
	v_add_co_u32_e32 v4, vcc, s9, v4
	v_mov_b32_e32 v1, v3
	v_addc_co_u32_e32 v5, vcc, v2, v5, vcc
	v_lshlrev_b64 v[0:1], 3, v[0:1]
	v_mov_b32_e32 v2, s4
	v_add_co_u32_e32 v0, vcc, s2, v0
	v_addc_co_u32_e32 v1, vcc, v2, v1, vcc
	global_load_dwordx2 v[2:3], v[4:5], off
	global_load_dwordx2 v[6:7], v[0:1], off
	s_waitcnt vmcnt(0)
	v_pk_add_f32 v[2:3], v[6:7], v[2:3] neg_lo:[0,1] neg_hi:[0,1]
	global_store_dwordx2 v[0:1], v[2:3], off
.LBB177_2:
	s_endpgm
	.section	.rodata,"a",@progbits
	.p2align	6, 0x0
	.amdhsa_kernel _ZN9rocsolver6v33100L8addmatA1I19rocblas_complex_numIfEPS3_EEviiT0_iilPT_
		.amdhsa_group_segment_fixed_size 0
		.amdhsa_private_segment_fixed_size 0
		.amdhsa_kernarg_size 296
		.amdhsa_user_sgpr_count 6
		.amdhsa_user_sgpr_private_segment_buffer 1
		.amdhsa_user_sgpr_dispatch_ptr 0
		.amdhsa_user_sgpr_queue_ptr 0
		.amdhsa_user_sgpr_kernarg_segment_ptr 1
		.amdhsa_user_sgpr_dispatch_id 0
		.amdhsa_user_sgpr_flat_scratch_init 0
		.amdhsa_user_sgpr_kernarg_preload_length 0
		.amdhsa_user_sgpr_kernarg_preload_offset 0
		.amdhsa_user_sgpr_private_segment_size 0
		.amdhsa_uses_dynamic_stack 0
		.amdhsa_system_sgpr_private_segment_wavefront_offset 0
		.amdhsa_system_sgpr_workgroup_id_x 1
		.amdhsa_system_sgpr_workgroup_id_y 1
		.amdhsa_system_sgpr_workgroup_id_z 1
		.amdhsa_system_sgpr_workgroup_info 0
		.amdhsa_system_vgpr_workitem_id 1
		.amdhsa_next_free_vgpr 8
		.amdhsa_next_free_sgpr 15
		.amdhsa_accum_offset 8
		.amdhsa_reserve_vcc 1
		.amdhsa_reserve_flat_scratch 0
		.amdhsa_float_round_mode_32 0
		.amdhsa_float_round_mode_16_64 0
		.amdhsa_float_denorm_mode_32 3
		.amdhsa_float_denorm_mode_16_64 3
		.amdhsa_dx10_clamp 1
		.amdhsa_ieee_mode 1
		.amdhsa_fp16_overflow 0
		.amdhsa_tg_split 0
		.amdhsa_exception_fp_ieee_invalid_op 0
		.amdhsa_exception_fp_denorm_src 0
		.amdhsa_exception_fp_ieee_div_zero 0
		.amdhsa_exception_fp_ieee_overflow 0
		.amdhsa_exception_fp_ieee_underflow 0
		.amdhsa_exception_fp_ieee_inexact 0
		.amdhsa_exception_int_div_zero 0
	.end_amdhsa_kernel
	.section	.text._ZN9rocsolver6v33100L8addmatA1I19rocblas_complex_numIfEPS3_EEviiT0_iilPT_,"axG",@progbits,_ZN9rocsolver6v33100L8addmatA1I19rocblas_complex_numIfEPS3_EEviiT0_iilPT_,comdat
.Lfunc_end177:
	.size	_ZN9rocsolver6v33100L8addmatA1I19rocblas_complex_numIfEPS3_EEviiT0_iilPT_, .Lfunc_end177-_ZN9rocsolver6v33100L8addmatA1I19rocblas_complex_numIfEPS3_EEviiT0_iilPT_
                                        ; -- End function
	.section	.AMDGPU.csdata,"",@progbits
; Kernel info:
; codeLenInByte = 312
; NumSgprs: 19
; NumVgprs: 8
; NumAgprs: 0
; TotalNumVgprs: 8
; ScratchSize: 0
; MemoryBound: 0
; FloatMode: 240
; IeeeMode: 1
; LDSByteSize: 0 bytes/workgroup (compile time only)
; SGPRBlocks: 2
; VGPRBlocks: 0
; NumSGPRsForWavesPerEU: 19
; NumVGPRsForWavesPerEU: 8
; AccumOffset: 8
; Occupancy: 8
; WaveLimiterHint : 0
; COMPUTE_PGM_RSRC2:SCRATCH_EN: 0
; COMPUTE_PGM_RSRC2:USER_SGPR: 6
; COMPUTE_PGM_RSRC2:TRAP_HANDLER: 0
; COMPUTE_PGM_RSRC2:TGID_X_EN: 1
; COMPUTE_PGM_RSRC2:TGID_Y_EN: 1
; COMPUTE_PGM_RSRC2:TGID_Z_EN: 1
; COMPUTE_PGM_RSRC2:TIDIG_COMP_CNT: 1
; COMPUTE_PGM_RSRC3_GFX90A:ACCUM_OFFSET: 1
; COMPUTE_PGM_RSRC3_GFX90A:TG_SPLIT: 0
	.section	.text._ZN9rocsolver6v33100L16orgl2_init_identI19rocblas_complex_numIfEPS3_EEviiiT0_iil,"axG",@progbits,_ZN9rocsolver6v33100L16orgl2_init_identI19rocblas_complex_numIfEPS3_EEviiiT0_iil,comdat
	.globl	_ZN9rocsolver6v33100L16orgl2_init_identI19rocblas_complex_numIfEPS3_EEviiiT0_iil ; -- Begin function _ZN9rocsolver6v33100L16orgl2_init_identI19rocblas_complex_numIfEPS3_EEviiiT0_iil
	.p2align	8
	.type	_ZN9rocsolver6v33100L16orgl2_init_identI19rocblas_complex_numIfEPS3_EEviiiT0_iil,@function
_ZN9rocsolver6v33100L16orgl2_init_identI19rocblas_complex_numIfEPS3_EEviiiT0_iil: ; @_ZN9rocsolver6v33100L16orgl2_init_identI19rocblas_complex_numIfEPS3_EEviiiT0_iil
; %bb.0:
	s_load_dword s0, s[4:5], 0x34
	s_load_dwordx4 s[12:15], s[4:5], 0x0
	v_bfe_u32 v1, v0, 10, 10
	v_and_b32_e32 v0, 0x3ff, v0
	s_waitcnt lgkmcnt(0)
	s_lshr_b32 s1, s0, 16
	s_and_b32 s0, s0, 0xffff
	s_mul_i32 s7, s7, s1
	s_mul_i32 s6, s6, s0
	v_add_u32_e32 v2, s7, v1
	v_add_u32_e32 v4, s6, v0
	v_cmp_gt_u32_e32 vcc, s12, v4
	v_cmp_gt_u32_e64 s[0:1], s13, v2
	s_and_b64 s[0:1], vcc, s[0:1]
	s_and_saveexec_b64 s[2:3], s[0:1]
	s_cbranch_execz .LBB178_5
; %bb.1:
	s_load_dwordx4 s[0:3], s[4:5], 0x10
	s_load_dwordx2 s[6:7], s[4:5], 0x20
	v_cmp_ne_u32_e32 vcc, v4, v2
                                        ; implicit-def: $vgpr0_vgpr1
	s_waitcnt lgkmcnt(0)
	s_ashr_i32 s5, s2, 31
	s_mov_b32 s4, s2
	s_mul_i32 s2, s8, s7
	s_mul_hi_u32 s7, s8, s6
	s_add_i32 s7, s7, s2
	s_mul_i32 s6, s8, s6
	s_lshl_b64 s[6:7], s[6:7], 3
	s_add_u32 s2, s0, s6
	s_addc_u32 s6, s1, s7
	s_lshl_b64 s[0:1], s[4:5], 3
	s_add_u32 s2, s2, s0
	s_addc_u32 s10, s6, s1
	s_mov_b64 s[4:5], 0
	s_and_saveexec_b64 s[0:1], vcc
	s_xor_b64 s[0:1], exec, s[0:1]
	s_cbranch_execnz .LBB178_6
; %bb.2:
	s_andn2_saveexec_b64 s[0:1], s[0:1]
	s_cbranch_execnz .LBB178_13
.LBB178_3:
	s_or_b64 exec, exec, s[0:1]
	s_and_b64 exec, exec, s[4:5]
	s_cbranch_execz .LBB178_5
.LBB178_4:
	v_mov_b32_e32 v2, 0
	global_store_dword v[0:1], v2, off
.LBB178_5:
	s_endpgm
.LBB178_6:
	v_cmp_ge_u32_e32 vcc, v2, v4
                                        ; implicit-def: $vgpr0_vgpr1
	s_and_saveexec_b64 s[6:7], vcc
	s_xor_b64 s[6:7], exec, s[6:7]
	s_cbranch_execz .LBB178_10
; %bb.7:
	v_cmp_le_u32_e32 vcc, s14, v4
                                        ; implicit-def: $vgpr0_vgpr1
	s_and_saveexec_b64 s[8:9], vcc
	s_xor_b64 s[8:9], exec, s[8:9]
	s_cbranch_execz .LBB178_9
; %bb.8:
	v_mad_u64_u32 v[2:3], s[12:13], v2, s3, v[4:5]
	v_mov_b32_e32 v3, 0
	v_lshlrev_b64 v[0:1], 3, v[2:3]
	v_mov_b32_e32 v2, s10
	v_add_co_u32_e32 v4, vcc, s2, v0
	v_addc_co_u32_e32 v5, vcc, v2, v1, vcc
	v_add_co_u32_e32 v0, vcc, 4, v4
	s_mov_b64 s[4:5], exec
	v_addc_co_u32_e32 v1, vcc, 0, v5, vcc
	global_store_dword v[4:5], v3, off
.LBB178_9:
	s_or_b64 exec, exec, s[8:9]
	s_and_b64 s[4:5], s[4:5], exec
                                        ; implicit-def: $vgpr4
                                        ; implicit-def: $vgpr2
.LBB178_10:
	s_andn2_saveexec_b64 s[6:7], s[6:7]
	s_cbranch_execz .LBB178_12
; %bb.11:
	v_mad_u64_u32 v[0:1], s[8:9], v2, s3, v[4:5]
	v_mov_b32_e32 v1, 0
	v_lshlrev_b64 v[2:3], 3, v[0:1]
	v_mov_b32_e32 v0, s10
	v_add_co_u32_e32 v2, vcc, s2, v2
	v_addc_co_u32_e32 v3, vcc, v0, v3, vcc
	v_add_co_u32_e32 v0, vcc, 4, v2
	global_store_dword v[2:3], v1, off
	v_addc_co_u32_e32 v1, vcc, 0, v3, vcc
	s_or_b64 s[4:5], s[4:5], exec
.LBB178_12:
	s_or_b64 exec, exec, s[6:7]
	s_and_b64 s[4:5], s[4:5], exec
                                        ; implicit-def: $vgpr2
	s_andn2_saveexec_b64 s[0:1], s[0:1]
	s_cbranch_execz .LBB178_3
.LBB178_13:
	v_mad_u64_u32 v[0:1], s[6:7], v2, s3, v[2:3]
	v_mov_b32_e32 v1, 0
	v_lshlrev_b64 v[0:1], 3, v[0:1]
	v_mov_b32_e32 v2, s10
	v_add_co_u32_e32 v0, vcc, s2, v0
	v_addc_co_u32_e32 v1, vcc, v2, v1, vcc
	v_mov_b32_e32 v2, 1.0
	global_store_dword v[0:1], v2, off
	v_add_co_u32_e32 v0, vcc, 4, v0
	v_addc_co_u32_e32 v1, vcc, 0, v1, vcc
	s_or_b64 s[4:5], s[4:5], exec
	s_or_b64 exec, exec, s[0:1]
	s_and_b64 exec, exec, s[4:5]
	s_cbranch_execnz .LBB178_4
	s_branch .LBB178_5
	.section	.rodata,"a",@progbits
	.p2align	6, 0x0
	.amdhsa_kernel _ZN9rocsolver6v33100L16orgl2_init_identI19rocblas_complex_numIfEPS3_EEviiiT0_iil
		.amdhsa_group_segment_fixed_size 0
		.amdhsa_private_segment_fixed_size 0
		.amdhsa_kernarg_size 296
		.amdhsa_user_sgpr_count 6
		.amdhsa_user_sgpr_private_segment_buffer 1
		.amdhsa_user_sgpr_dispatch_ptr 0
		.amdhsa_user_sgpr_queue_ptr 0
		.amdhsa_user_sgpr_kernarg_segment_ptr 1
		.amdhsa_user_sgpr_dispatch_id 0
		.amdhsa_user_sgpr_flat_scratch_init 0
		.amdhsa_user_sgpr_kernarg_preload_length 0
		.amdhsa_user_sgpr_kernarg_preload_offset 0
		.amdhsa_user_sgpr_private_segment_size 0
		.amdhsa_uses_dynamic_stack 0
		.amdhsa_system_sgpr_private_segment_wavefront_offset 0
		.amdhsa_system_sgpr_workgroup_id_x 1
		.amdhsa_system_sgpr_workgroup_id_y 1
		.amdhsa_system_sgpr_workgroup_id_z 1
		.amdhsa_system_sgpr_workgroup_info 0
		.amdhsa_system_vgpr_workitem_id 1
		.amdhsa_next_free_vgpr 6
		.amdhsa_next_free_sgpr 16
		.amdhsa_accum_offset 8
		.amdhsa_reserve_vcc 1
		.amdhsa_reserve_flat_scratch 0
		.amdhsa_float_round_mode_32 0
		.amdhsa_float_round_mode_16_64 0
		.amdhsa_float_denorm_mode_32 3
		.amdhsa_float_denorm_mode_16_64 3
		.amdhsa_dx10_clamp 1
		.amdhsa_ieee_mode 1
		.amdhsa_fp16_overflow 0
		.amdhsa_tg_split 0
		.amdhsa_exception_fp_ieee_invalid_op 0
		.amdhsa_exception_fp_denorm_src 0
		.amdhsa_exception_fp_ieee_div_zero 0
		.amdhsa_exception_fp_ieee_overflow 0
		.amdhsa_exception_fp_ieee_underflow 0
		.amdhsa_exception_fp_ieee_inexact 0
		.amdhsa_exception_int_div_zero 0
	.end_amdhsa_kernel
	.section	.text._ZN9rocsolver6v33100L16orgl2_init_identI19rocblas_complex_numIfEPS3_EEviiiT0_iil,"axG",@progbits,_ZN9rocsolver6v33100L16orgl2_init_identI19rocblas_complex_numIfEPS3_EEviiiT0_iil,comdat
.Lfunc_end178:
	.size	_ZN9rocsolver6v33100L16orgl2_init_identI19rocblas_complex_numIfEPS3_EEviiiT0_iil, .Lfunc_end178-_ZN9rocsolver6v33100L16orgl2_init_identI19rocblas_complex_numIfEPS3_EEviiiT0_iil
                                        ; -- End function
	.section	.AMDGPU.csdata,"",@progbits
; Kernel info:
; codeLenInByte = 452
; NumSgprs: 20
; NumVgprs: 6
; NumAgprs: 0
; TotalNumVgprs: 6
; ScratchSize: 0
; MemoryBound: 0
; FloatMode: 240
; IeeeMode: 1
; LDSByteSize: 0 bytes/workgroup (compile time only)
; SGPRBlocks: 2
; VGPRBlocks: 0
; NumSGPRsForWavesPerEU: 20
; NumVGPRsForWavesPerEU: 6
; AccumOffset: 8
; Occupancy: 8
; WaveLimiterHint : 0
; COMPUTE_PGM_RSRC2:SCRATCH_EN: 0
; COMPUTE_PGM_RSRC2:USER_SGPR: 6
; COMPUTE_PGM_RSRC2:TRAP_HANDLER: 0
; COMPUTE_PGM_RSRC2:TGID_X_EN: 1
; COMPUTE_PGM_RSRC2:TGID_Y_EN: 1
; COMPUTE_PGM_RSRC2:TGID_Z_EN: 1
; COMPUTE_PGM_RSRC2:TIDIG_COMP_CNT: 1
; COMPUTE_PGM_RSRC3_GFX90A:ACCUM_OFFSET: 1
; COMPUTE_PGM_RSRC3_GFX90A:TG_SPLIT: 0
	.section	.text._ZN9rocsolver6v33100L8set_zeroI19rocblas_complex_numIfEPS3_EEviiT0_iil13rocblas_fill_,"axG",@progbits,_ZN9rocsolver6v33100L8set_zeroI19rocblas_complex_numIfEPS3_EEviiT0_iil13rocblas_fill_,comdat
	.globl	_ZN9rocsolver6v33100L8set_zeroI19rocblas_complex_numIfEPS3_EEviiT0_iil13rocblas_fill_ ; -- Begin function _ZN9rocsolver6v33100L8set_zeroI19rocblas_complex_numIfEPS3_EEviiT0_iil13rocblas_fill_
	.p2align	8
	.type	_ZN9rocsolver6v33100L8set_zeroI19rocblas_complex_numIfEPS3_EEviiT0_iil13rocblas_fill_,@function
_ZN9rocsolver6v33100L8set_zeroI19rocblas_complex_numIfEPS3_EEviiT0_iil13rocblas_fill_: ; @_ZN9rocsolver6v33100L8set_zeroI19rocblas_complex_numIfEPS3_EEviiT0_iil13rocblas_fill_
; %bb.0:
	s_load_dword s2, s[4:5], 0x34
	s_load_dwordx2 s[0:1], s[4:5], 0x0
	v_and_b32_e32 v1, 0x3ff, v0
	v_bfe_u32 v0, v0, 10, 10
	s_waitcnt lgkmcnt(0)
	s_lshr_b32 s3, s2, 16
	s_and_b32 s2, s2, 0xffff
	s_mul_i32 s6, s6, s2
	s_mul_i32 s7, s7, s3
	v_add_u32_e32 v2, s6, v1
	v_add_u32_e32 v0, s7, v0
	v_cmp_gt_u32_e32 vcc, s0, v2
	v_cmp_gt_u32_e64 s[0:1], s1, v0
	s_and_b64 s[0:1], vcc, s[0:1]
	s_and_saveexec_b64 s[2:3], s[0:1]
	s_cbranch_execz .LBB179_12
; %bb.1:
	s_load_dword s6, s[4:5], 0x20
	s_waitcnt lgkmcnt(0)
	s_cmpk_lt_i32 s6, 0x7a
	s_cbranch_scc1 .LBB179_4
; %bb.2:
	s_cmpk_gt_i32 s6, 0x7a
	s_cbranch_scc0 .LBB179_5
; %bb.3:
	s_cmpk_eq_i32 s6, 0x7b
	s_cselect_b64 s[0:1], -1, 0
	s_cbranch_execz .LBB179_6
	s_branch .LBB179_7
.LBB179_4:
	s_mov_b64 s[0:1], 0
	s_cbranch_execnz .LBB179_8
	s_branch .LBB179_10
.LBB179_5:
	s_mov_b64 s[0:1], 0
.LBB179_6:
	v_cmp_gt_u32_e32 vcc, v0, v2
	s_andn2_b64 s[0:1], s[0:1], exec
	s_and_b64 s[2:3], vcc, exec
	s_or_b64 s[0:1], s[0:1], s[2:3]
.LBB179_7:
	s_branch .LBB179_10
.LBB179_8:
	s_cmpk_eq_i32 s6, 0x79
	s_cbranch_scc0 .LBB179_10
; %bb.9:
	v_cmp_gt_u32_e32 vcc, v2, v0
	s_andn2_b64 s[0:1], s[0:1], exec
	s_and_b64 s[2:3], vcc, exec
	s_or_b64 s[0:1], s[0:1], s[2:3]
.LBB179_10:
	s_and_b64 exec, exec, s[0:1]
	s_cbranch_execz .LBB179_12
; %bb.11:
	s_load_dwordx4 s[0:3], s[4:5], 0x8
	s_load_dwordx2 s[6:7], s[4:5], 0x18
	s_waitcnt lgkmcnt(0)
	s_ashr_i32 s5, s2, 31
	s_mov_b32 s4, s2
	s_mul_i32 s2, s8, s7
	s_mul_hi_u32 s7, s8, s6
	s_add_i32 s7, s7, s2
	s_mul_i32 s6, s8, s6
	s_lshl_b64 s[6:7], s[6:7], 3
	s_add_u32 s2, s0, s6
	s_addc_u32 s6, s1, s7
	s_lshl_b64 s[0:1], s[4:5], 3
	s_add_u32 s2, s2, s0
	s_addc_u32 s4, s6, s1
	v_mad_u64_u32 v[0:1], s[0:1], v0, s3, v[2:3]
	v_mov_b32_e32 v1, 0
	v_lshlrev_b64 v[2:3], 3, v[0:1]
	v_mov_b32_e32 v0, s4
	v_add_co_u32_e32 v2, vcc, s2, v2
	v_addc_co_u32_e32 v3, vcc, v0, v3, vcc
	v_mov_b32_e32 v0, v1
	global_store_dwordx2 v[2:3], v[0:1], off
.LBB179_12:
	s_endpgm
	.section	.rodata,"a",@progbits
	.p2align	6, 0x0
	.amdhsa_kernel _ZN9rocsolver6v33100L8set_zeroI19rocblas_complex_numIfEPS3_EEviiT0_iil13rocblas_fill_
		.amdhsa_group_segment_fixed_size 0
		.amdhsa_private_segment_fixed_size 0
		.amdhsa_kernarg_size 296
		.amdhsa_user_sgpr_count 6
		.amdhsa_user_sgpr_private_segment_buffer 1
		.amdhsa_user_sgpr_dispatch_ptr 0
		.amdhsa_user_sgpr_queue_ptr 0
		.amdhsa_user_sgpr_kernarg_segment_ptr 1
		.amdhsa_user_sgpr_dispatch_id 0
		.amdhsa_user_sgpr_flat_scratch_init 0
		.amdhsa_user_sgpr_kernarg_preload_length 0
		.amdhsa_user_sgpr_kernarg_preload_offset 0
		.amdhsa_user_sgpr_private_segment_size 0
		.amdhsa_uses_dynamic_stack 0
		.amdhsa_system_sgpr_private_segment_wavefront_offset 0
		.amdhsa_system_sgpr_workgroup_id_x 1
		.amdhsa_system_sgpr_workgroup_id_y 1
		.amdhsa_system_sgpr_workgroup_id_z 1
		.amdhsa_system_sgpr_workgroup_info 0
		.amdhsa_system_vgpr_workitem_id 1
		.amdhsa_next_free_vgpr 4
		.amdhsa_next_free_sgpr 9
		.amdhsa_accum_offset 4
		.amdhsa_reserve_vcc 1
		.amdhsa_reserve_flat_scratch 0
		.amdhsa_float_round_mode_32 0
		.amdhsa_float_round_mode_16_64 0
		.amdhsa_float_denorm_mode_32 3
		.amdhsa_float_denorm_mode_16_64 3
		.amdhsa_dx10_clamp 1
		.amdhsa_ieee_mode 1
		.amdhsa_fp16_overflow 0
		.amdhsa_tg_split 0
		.amdhsa_exception_fp_ieee_invalid_op 0
		.amdhsa_exception_fp_denorm_src 0
		.amdhsa_exception_fp_ieee_div_zero 0
		.amdhsa_exception_fp_ieee_overflow 0
		.amdhsa_exception_fp_ieee_underflow 0
		.amdhsa_exception_fp_ieee_inexact 0
		.amdhsa_exception_int_div_zero 0
	.end_amdhsa_kernel
	.section	.text._ZN9rocsolver6v33100L8set_zeroI19rocblas_complex_numIfEPS3_EEviiT0_iil13rocblas_fill_,"axG",@progbits,_ZN9rocsolver6v33100L8set_zeroI19rocblas_complex_numIfEPS3_EEviiT0_iil13rocblas_fill_,comdat
.Lfunc_end179:
	.size	_ZN9rocsolver6v33100L8set_zeroI19rocblas_complex_numIfEPS3_EEviiT0_iil13rocblas_fill_, .Lfunc_end179-_ZN9rocsolver6v33100L8set_zeroI19rocblas_complex_numIfEPS3_EEviiT0_iil13rocblas_fill_
                                        ; -- End function
	.section	.AMDGPU.csdata,"",@progbits
; Kernel info:
; codeLenInByte = 316
; NumSgprs: 13
; NumVgprs: 4
; NumAgprs: 0
; TotalNumVgprs: 4
; ScratchSize: 0
; MemoryBound: 0
; FloatMode: 240
; IeeeMode: 1
; LDSByteSize: 0 bytes/workgroup (compile time only)
; SGPRBlocks: 1
; VGPRBlocks: 0
; NumSGPRsForWavesPerEU: 13
; NumVGPRsForWavesPerEU: 4
; AccumOffset: 4
; Occupancy: 8
; WaveLimiterHint : 0
; COMPUTE_PGM_RSRC2:SCRATCH_EN: 0
; COMPUTE_PGM_RSRC2:USER_SGPR: 6
; COMPUTE_PGM_RSRC2:TRAP_HANDLER: 0
; COMPUTE_PGM_RSRC2:TGID_X_EN: 1
; COMPUTE_PGM_RSRC2:TGID_Y_EN: 1
; COMPUTE_PGM_RSRC2:TGID_Z_EN: 1
; COMPUTE_PGM_RSRC2:TIDIG_COMP_CNT: 1
; COMPUTE_PGM_RSRC3_GFX90A:ACCUM_OFFSET: 0
; COMPUTE_PGM_RSRC3_GFX90A:TG_SPLIT: 0
	.section	.text._ZN9rocsolver6v33100L11set_taubetaI19rocblas_complex_numIfEifPS3_EEvPT_lS6_T2_llPT1_ll,"axG",@progbits,_ZN9rocsolver6v33100L11set_taubetaI19rocblas_complex_numIfEifPS3_EEvPT_lS6_T2_llPT1_ll,comdat
	.globl	_ZN9rocsolver6v33100L11set_taubetaI19rocblas_complex_numIfEifPS3_EEvPT_lS6_T2_llPT1_ll ; -- Begin function _ZN9rocsolver6v33100L11set_taubetaI19rocblas_complex_numIfEifPS3_EEvPT_lS6_T2_llPT1_ll
	.p2align	8
	.type	_ZN9rocsolver6v33100L11set_taubetaI19rocblas_complex_numIfEifPS3_EEvPT_lS6_T2_llPT1_ll,@function
_ZN9rocsolver6v33100L11set_taubetaI19rocblas_complex_numIfEifPS3_EEvPT_lS6_T2_llPT1_ll: ; @_ZN9rocsolver6v33100L11set_taubetaI19rocblas_complex_numIfEifPS3_EEvPT_lS6_T2_llPT1_ll
; %bb.0:
	s_load_dwordx16 s[8:23], s[4:5], 0x0
	s_ashr_i32 s7, s6, 31
	s_mov_b64 s[0:1], 0
	s_mov_b64 s[24:25], 0
	s_waitcnt lgkmcnt(0)
	s_cmp_eq_u64 s[20:21], 0
	s_cbranch_scc1 .LBB180_2
; %bb.1:
	s_load_dwordx2 s[2:3], s[4:5], 0x40
	s_waitcnt lgkmcnt(0)
	s_mul_i32 s3, s6, s3
	s_mul_hi_u32 s4, s6, s2
	s_mul_i32 s5, s7, s2
	s_add_i32 s3, s4, s3
	s_mul_i32 s2, s6, s2
	s_add_i32 s3, s3, s5
	s_lshl_b64 s[2:3], s[2:3], 2
	s_add_u32 s4, s20, s2
	s_addc_u32 s5, s21, s3
	s_lshl_b64 s[2:3], s[22:23], 2
	s_add_u32 s24, s4, s2
	s_addc_u32 s25, s5, s3
.LBB180_2:
	s_mul_i32 s2, s6, s19
	s_mul_hi_u32 s3, s6, s18
	s_add_i32 s2, s3, s2
	s_mul_i32 s3, s7, s18
	s_add_i32 s3, s2, s3
	s_mul_i32 s2, s6, s18
	s_lshl_b64 s[2:3], s[2:3], 3
	s_add_u32 s4, s14, s2
	s_addc_u32 s5, s15, s3
	s_lshl_b64 s[2:3], s[16:17], 3
	s_add_u32 s2, s4, s2
	s_addc_u32 s3, s5, s3
	s_mul_i32 s4, s6, s11
	s_mul_hi_u32 s5, s6, s10
	s_add_i32 s4, s5, s4
	s_mul_i32 s5, s7, s10
	s_add_i32 s5, s4, s5
	s_mul_i32 s4, s6, s10
	s_lshl_b64 s[4:5], s[4:5], 3
	s_add_u32 s4, s8, s4
	s_addc_u32 s5, s9, s5
	s_lshl_b64 s[6:7], s[6:7], 3
	s_add_u32 s8, s12, s6
	s_addc_u32 s9, s13, s7
	s_load_dword s14, s[2:3], 0x4
	s_load_dword s12, s[8:9], 0x0
	s_cmp_lg_u64 s[24:25], 0
	s_cselect_b64 s[6:7], -1, 0
	s_mov_b64 s[10:11], -1
	s_waitcnt lgkmcnt(0)
	v_mul_f32_e64 v2, s14, s14
	v_max_f32_e64 v0, s12, s12
	v_max_f32_e32 v0, v0, v2
	v_cmp_nlt_f32_e32 vcc, 0, v0
	s_cbranch_vccz .LBB180_5
; %bb.3:
	v_mov_b32_e32 v1, 0
	v_mov_b32_e32 v0, 1.0
	v_mov_b32_e32 v4, v1
	v_mov_b32_e32 v5, v1
	s_mov_b64 s[10:11], 0
	s_and_b64 vcc, exec, s[6:7]
	global_store_dwordx2 v1, v[0:1], s[8:9]
	global_store_dwordx2 v1, v[4:5], s[4:5]
	s_cbranch_vccz .LBB180_5
; %bb.4:
	global_load_dword v3, v1, s[2:3]
	v_pk_mov_b32 v[4:5], s[24:25], s[24:25] op_sel:[0,1]
	s_mov_b64 s[0:1], -1
	s_waitcnt vmcnt(0)
	flat_store_dword v[4:5], v3
	global_store_dword v1, v0, s[2:3]
.LBB180_5:
	s_and_b64 vcc, exec, s[10:11]
	s_cbranch_vccnz .LBB180_8
; %bb.6:
	s_andn2_b64 vcc, exec, s[0:1]
	s_cbranch_vccz .LBB180_12
; %bb.7:
	s_endpgm
.LBB180_8:
	s_load_dword s10, s[2:3], 0x0
	s_mov_b32 s0, 0xf800000
	v_mov_b32_e32 v3, 0x260
	s_waitcnt lgkmcnt(0)
	v_fma_f32 v0, s10, s10, v2
	v_add_f32_e32 v0, s12, v0
	v_mul_f32_e32 v1, 0x4f800000, v0
	v_cmp_gt_f32_e32 vcc, s0, v0
	v_cndmask_b32_e32 v0, v0, v1, vcc
	v_sqrt_f32_e32 v1, v0
	v_add_u32_e32 v4, -1, v1
	v_add_u32_e32 v5, 1, v1
	v_fma_f32 v6, -v4, v1, v0
	v_fma_f32 v7, -v5, v1, v0
	v_cmp_ge_f32_e64 s[0:1], 0, v6
	v_cndmask_b32_e64 v1, v1, v4, s[0:1]
	v_cmp_lt_f32_e64 s[0:1], 0, v7
	v_cndmask_b32_e64 v1, v1, v5, s[0:1]
	v_mul_f32_e32 v4, 0x37800000, v1
	v_cndmask_b32_e32 v1, v1, v4, vcc
	v_cmp_class_f32_e32 vcc, v0, v3
	v_cndmask_b32_e32 v0, v1, v0, vcc
	v_cmp_ge_f32_e64 s[0:1], s10, 0
	v_cndmask_b32_e64 v0, v0, -v0, s[0:1]
	v_sub_f32_e32 v1, s10, v0
	v_fmac_f32_e32 v2, v1, v1
	v_div_scale_f32 v3, s[0:1], v2, v2, v1
	v_rcp_f32_e32 v4, v3
	v_fma_f32 v5, -v3, v4, 1.0
	v_fmac_f32_e32 v4, v5, v4
	v_div_scale_f32 v5, vcc, v1, v2, v1
	v_mul_f32_e32 v6, v5, v4
	v_fma_f32 v7, -v3, v6, v5
	v_fmac_f32_e32 v6, v7, v4
	v_fma_f32 v3, -v3, v6, v5
	v_div_scale_f32 v5, s[0:1], v2, v2, -s14
	v_rcp_f32_e32 v7, v5
	v_div_fmas_f32 v3, v3, v4, v6
	v_div_fixup_f32 v4, v3, v2, v1
	v_fma_f32 v1, -v5, v7, 1.0
	v_fmac_f32_e32 v7, v1, v7
	v_div_scale_f32 v1, vcc, -s14, v2, -s14
	v_mul_f32_e32 v3, v1, v7
	v_fma_f32 v6, -v5, v3, v1
	v_fmac_f32_e32 v3, v6, v7
	v_fma_f32 v1, -v5, v3, v1
	v_div_fmas_f32 v1, v1, v7, v3
	v_subrev_f32_e32 v3, s10, v0
	v_div_scale_f32 v6, s[0:1], v0, v0, v3
	v_rcp_f32_e32 v7, v6
	v_div_fixup_f32 v5, v1, v2, -s14
	v_mov_b32_e32 v1, 0
	global_store_dwordx2 v1, v[4:5], s[8:9]
	v_fma_f32 v2, -v6, v7, 1.0
	v_fmac_f32_e32 v7, v2, v7
	v_div_scale_f32 v2, vcc, v3, v0, v3
	v_mul_f32_e32 v4, v2, v7
	v_fma_f32 v5, -v6, v4, v2
	v_fmac_f32_e32 v4, v5, v7
	v_div_scale_f32 v5, s[0:1], v0, v0, -s14
	v_fma_f32 v2, -v6, v4, v2
	v_rcp_f32_e32 v6, v5
	v_div_fmas_f32 v2, v2, v7, v4
	v_div_fixup_f32 v2, v2, v0, v3
	v_fma_f32 v3, -v5, v6, 1.0
	v_fmac_f32_e32 v6, v3, v6
	v_div_scale_f32 v3, vcc, -s14, v0, -s14
	v_mul_f32_e32 v4, v3, v6
	v_fma_f32 v7, -v5, v4, v3
	v_fmac_f32_e32 v4, v7, v6
	v_fma_f32 v3, -v5, v4, v3
	v_div_fmas_f32 v3, v3, v6, v4
	v_div_fixup_f32 v3, v3, v0, -s14
	s_and_b64 vcc, exec, s[6:7]
	global_store_dwordx2 v1, v[2:3], s[4:5]
	s_cbranch_vccz .LBB180_13
; %bb.9:
	v_pk_mov_b32 v[2:3], s[24:25], s[24:25] op_sel:[0,1]
	flat_store_dword v[2:3], v0
	v_mov_b32_e32 v2, 1.0
	s_waitcnt lgkmcnt(0)
	global_store_dword v1, v2, s[2:3]
	s_cbranch_execnz .LBB180_11
.LBB180_10:
	v_mov_b32_e32 v1, 0
	global_store_dword v1, v0, s[2:3]
.LBB180_11:
.LBB180_12:
	v_mov_b32_e32 v0, 0
	global_store_dword v0, v0, s[2:3] offset:4
	s_endpgm
.LBB180_13:
	s_branch .LBB180_10
	.section	.rodata,"a",@progbits
	.p2align	6, 0x0
	.amdhsa_kernel _ZN9rocsolver6v33100L11set_taubetaI19rocblas_complex_numIfEifPS3_EEvPT_lS6_T2_llPT1_ll
		.amdhsa_group_segment_fixed_size 0
		.amdhsa_private_segment_fixed_size 0
		.amdhsa_kernarg_size 72
		.amdhsa_user_sgpr_count 6
		.amdhsa_user_sgpr_private_segment_buffer 1
		.amdhsa_user_sgpr_dispatch_ptr 0
		.amdhsa_user_sgpr_queue_ptr 0
		.amdhsa_user_sgpr_kernarg_segment_ptr 1
		.amdhsa_user_sgpr_dispatch_id 0
		.amdhsa_user_sgpr_flat_scratch_init 0
		.amdhsa_user_sgpr_kernarg_preload_length 0
		.amdhsa_user_sgpr_kernarg_preload_offset 0
		.amdhsa_user_sgpr_private_segment_size 0
		.amdhsa_uses_dynamic_stack 0
		.amdhsa_system_sgpr_private_segment_wavefront_offset 0
		.amdhsa_system_sgpr_workgroup_id_x 1
		.amdhsa_system_sgpr_workgroup_id_y 0
		.amdhsa_system_sgpr_workgroup_id_z 0
		.amdhsa_system_sgpr_workgroup_info 0
		.amdhsa_system_vgpr_workitem_id 0
		.amdhsa_next_free_vgpr 8
		.amdhsa_next_free_sgpr 26
		.amdhsa_accum_offset 8
		.amdhsa_reserve_vcc 1
		.amdhsa_reserve_flat_scratch 0
		.amdhsa_float_round_mode_32 0
		.amdhsa_float_round_mode_16_64 0
		.amdhsa_float_denorm_mode_32 3
		.amdhsa_float_denorm_mode_16_64 3
		.amdhsa_dx10_clamp 1
		.amdhsa_ieee_mode 1
		.amdhsa_fp16_overflow 0
		.amdhsa_tg_split 0
		.amdhsa_exception_fp_ieee_invalid_op 0
		.amdhsa_exception_fp_denorm_src 0
		.amdhsa_exception_fp_ieee_div_zero 0
		.amdhsa_exception_fp_ieee_overflow 0
		.amdhsa_exception_fp_ieee_underflow 0
		.amdhsa_exception_fp_ieee_inexact 0
		.amdhsa_exception_int_div_zero 0
	.end_amdhsa_kernel
	.section	.text._ZN9rocsolver6v33100L11set_taubetaI19rocblas_complex_numIfEifPS3_EEvPT_lS6_T2_llPT1_ll,"axG",@progbits,_ZN9rocsolver6v33100L11set_taubetaI19rocblas_complex_numIfEifPS3_EEvPT_lS6_T2_llPT1_ll,comdat
.Lfunc_end180:
	.size	_ZN9rocsolver6v33100L11set_taubetaI19rocblas_complex_numIfEifPS3_EEvPT_lS6_T2_llPT1_ll, .Lfunc_end180-_ZN9rocsolver6v33100L11set_taubetaI19rocblas_complex_numIfEifPS3_EEvPT_lS6_T2_llPT1_ll
                                        ; -- End function
	.section	.AMDGPU.csdata,"",@progbits
; Kernel info:
; codeLenInByte = 900
; NumSgprs: 30
; NumVgprs: 8
; NumAgprs: 0
; TotalNumVgprs: 8
; ScratchSize: 0
; MemoryBound: 0
; FloatMode: 240
; IeeeMode: 1
; LDSByteSize: 0 bytes/workgroup (compile time only)
; SGPRBlocks: 3
; VGPRBlocks: 0
; NumSGPRsForWavesPerEU: 30
; NumVGPRsForWavesPerEU: 8
; AccumOffset: 8
; Occupancy: 8
; WaveLimiterHint : 0
; COMPUTE_PGM_RSRC2:SCRATCH_EN: 0
; COMPUTE_PGM_RSRC2:USER_SGPR: 6
; COMPUTE_PGM_RSRC2:TRAP_HANDLER: 0
; COMPUTE_PGM_RSRC2:TGID_X_EN: 1
; COMPUTE_PGM_RSRC2:TGID_Y_EN: 0
; COMPUTE_PGM_RSRC2:TGID_Z_EN: 0
; COMPUTE_PGM_RSRC2:TIDIG_COMP_CNT: 0
; COMPUTE_PGM_RSRC3_GFX90A:ACCUM_OFFSET: 1
; COMPUTE_PGM_RSRC3_GFX90A:TG_SPLIT: 0
	.section	.text._ZN9rocsolver6v33100L8set_diagI19rocblas_complex_numIfEifPS3_TnNSt9enable_ifIXaa18rocblas_is_complexIT_Ent18rocblas_is_complexIT1_EEiE4typeELi0EEEvPS7_llT2_lT0_lSC_b,"axG",@progbits,_ZN9rocsolver6v33100L8set_diagI19rocblas_complex_numIfEifPS3_TnNSt9enable_ifIXaa18rocblas_is_complexIT_Ent18rocblas_is_complexIT1_EEiE4typeELi0EEEvPS7_llT2_lT0_lSC_b,comdat
	.globl	_ZN9rocsolver6v33100L8set_diagI19rocblas_complex_numIfEifPS3_TnNSt9enable_ifIXaa18rocblas_is_complexIT_Ent18rocblas_is_complexIT1_EEiE4typeELi0EEEvPS7_llT2_lT0_lSC_b ; -- Begin function _ZN9rocsolver6v33100L8set_diagI19rocblas_complex_numIfEifPS3_TnNSt9enable_ifIXaa18rocblas_is_complexIT_Ent18rocblas_is_complexIT1_EEiE4typeELi0EEEvPS7_llT2_lT0_lSC_b
	.p2align	8
	.type	_ZN9rocsolver6v33100L8set_diagI19rocblas_complex_numIfEifPS3_TnNSt9enable_ifIXaa18rocblas_is_complexIT_Ent18rocblas_is_complexIT1_EEiE4typeELi0EEEvPS7_llT2_lT0_lSC_b,@function
_ZN9rocsolver6v33100L8set_diagI19rocblas_complex_numIfEifPS3_TnNSt9enable_ifIXaa18rocblas_is_complexIT_Ent18rocblas_is_complexIT1_EEiE4typeELi0EEEvPS7_llT2_lT0_lSC_b: ; @_ZN9rocsolver6v33100L8set_diagI19rocblas_complex_numIfEifPS3_TnNSt9enable_ifIXaa18rocblas_is_complexIT_Ent18rocblas_is_complexIT1_EEiE4typeELi0EEEvPS7_llT2_lT0_lSC_b
; %bb.0:
	s_load_dword s2, s[4:5], 0x4c
	s_load_dwordx2 s[0:1], s[4:5], 0x38
	v_bfe_u32 v0, v0, 10, 10
	s_waitcnt lgkmcnt(0)
	s_lshr_b32 s2, s2, 16
	s_mul_i32 s7, s7, s2
	v_add_u32_e32 v0, s7, v0
	v_cmp_gt_i32_e32 vcc, s0, v0
	s_and_saveexec_b64 s[2:3], vcc
	s_cbranch_execz .LBB181_5
; %bb.1:
	s_load_dwordx2 s[2:3], s[4:5], 0x20
	s_load_dword s7, s[4:5], 0x28
	s_load_dwordx2 s[16:17], s[4:5], 0x30
	s_load_dwordx8 s[8:15], s[4:5], 0x0
	s_bitcmp1_b32 s1, 0
	s_cselect_b64 s[0:1], -1, 0
	s_ashr_i32 s18, s6, 31
	s_waitcnt lgkmcnt(0)
	s_mul_i32 s4, s6, s17
	s_mul_hi_u32 s5, s6, s16
	s_add_i32 s4, s5, s4
	s_mul_i32 s5, s18, s16
	s_add_i32 s5, s4, s5
	s_mul_i32 s4, s6, s16
	s_lshl_b64 s[4:5], s[4:5], 3
	s_add_u32 s4, s14, s4
	s_addc_u32 s5, s15, s5
	s_lshl_b64 s[2:3], s[2:3], 3
	s_add_u32 s4, s4, s2
	s_addc_u32 s5, s5, s3
	v_mad_u64_u32 v[2:3], s[2:3], v0, s7, v[0:1]
	v_ashrrev_i32_e32 v3, 31, v2
	v_lshlrev_b64 v[2:3], 3, v[2:3]
	v_mov_b32_e32 v1, s5
	v_add_co_u32_e32 v2, vcc, s4, v2
	v_addc_co_u32_e32 v3, vcc, v1, v3, vcc
	global_load_dword v4, v[2:3], off
	s_mul_i32 s3, s6, s13
	s_mul_hi_u32 s4, s6, s12
	s_mul_i32 s18, s18, s12
	s_add_i32 s3, s4, s3
	s_mul_i32 s2, s6, s12
	s_add_i32 s3, s3, s18
	s_lshl_b64 s[2:3], s[2:3], 2
	s_add_u32 s4, s8, s2
	s_addc_u32 s5, s9, s3
	s_lshl_b64 s[2:3], s[10:11], 2
	v_ashrrev_i32_e32 v1, 31, v0
	s_add_u32 s2, s4, s2
	v_lshlrev_b64 v[0:1], 2, v[0:1]
	s_addc_u32 s3, s5, s3
	s_and_b64 vcc, exec, s[0:1]
	v_mov_b32_e32 v5, s3
	v_add_co_u32_e64 v0, s[0:1], s2, v0
	v_addc_co_u32_e64 v1, s[0:1], v5, v1, s[0:1]
	s_waitcnt vmcnt(0)
	global_store_dword v[0:1], v4, off
	s_cbranch_vccnz .LBB181_3
; %bb.2:
	global_load_dword v5, v[2:3], off offset:4
	s_branch .LBB181_4
.LBB181_3:
	v_mov_b32_e32 v4, 1.0
	v_mov_b32_e32 v5, 0
.LBB181_4:
	s_waitcnt vmcnt(0)
	global_store_dwordx2 v[2:3], v[4:5], off
.LBB181_5:
	s_endpgm
	.section	.rodata,"a",@progbits
	.p2align	6, 0x0
	.amdhsa_kernel _ZN9rocsolver6v33100L8set_diagI19rocblas_complex_numIfEifPS3_TnNSt9enable_ifIXaa18rocblas_is_complexIT_Ent18rocblas_is_complexIT1_EEiE4typeELi0EEEvPS7_llT2_lT0_lSC_b
		.amdhsa_group_segment_fixed_size 0
		.amdhsa_private_segment_fixed_size 0
		.amdhsa_kernarg_size 320
		.amdhsa_user_sgpr_count 6
		.amdhsa_user_sgpr_private_segment_buffer 1
		.amdhsa_user_sgpr_dispatch_ptr 0
		.amdhsa_user_sgpr_queue_ptr 0
		.amdhsa_user_sgpr_kernarg_segment_ptr 1
		.amdhsa_user_sgpr_dispatch_id 0
		.amdhsa_user_sgpr_flat_scratch_init 0
		.amdhsa_user_sgpr_kernarg_preload_length 0
		.amdhsa_user_sgpr_kernarg_preload_offset 0
		.amdhsa_user_sgpr_private_segment_size 0
		.amdhsa_uses_dynamic_stack 0
		.amdhsa_system_sgpr_private_segment_wavefront_offset 0
		.amdhsa_system_sgpr_workgroup_id_x 1
		.amdhsa_system_sgpr_workgroup_id_y 1
		.amdhsa_system_sgpr_workgroup_id_z 0
		.amdhsa_system_sgpr_workgroup_info 0
		.amdhsa_system_vgpr_workitem_id 1
		.amdhsa_next_free_vgpr 6
		.amdhsa_next_free_sgpr 19
		.amdhsa_accum_offset 8
		.amdhsa_reserve_vcc 1
		.amdhsa_reserve_flat_scratch 0
		.amdhsa_float_round_mode_32 0
		.amdhsa_float_round_mode_16_64 0
		.amdhsa_float_denorm_mode_32 3
		.amdhsa_float_denorm_mode_16_64 3
		.amdhsa_dx10_clamp 1
		.amdhsa_ieee_mode 1
		.amdhsa_fp16_overflow 0
		.amdhsa_tg_split 0
		.amdhsa_exception_fp_ieee_invalid_op 0
		.amdhsa_exception_fp_denorm_src 0
		.amdhsa_exception_fp_ieee_div_zero 0
		.amdhsa_exception_fp_ieee_overflow 0
		.amdhsa_exception_fp_ieee_underflow 0
		.amdhsa_exception_fp_ieee_inexact 0
		.amdhsa_exception_int_div_zero 0
	.end_amdhsa_kernel
	.section	.text._ZN9rocsolver6v33100L8set_diagI19rocblas_complex_numIfEifPS3_TnNSt9enable_ifIXaa18rocblas_is_complexIT_Ent18rocblas_is_complexIT1_EEiE4typeELi0EEEvPS7_llT2_lT0_lSC_b,"axG",@progbits,_ZN9rocsolver6v33100L8set_diagI19rocblas_complex_numIfEifPS3_TnNSt9enable_ifIXaa18rocblas_is_complexIT_Ent18rocblas_is_complexIT1_EEiE4typeELi0EEEvPS7_llT2_lT0_lSC_b,comdat
.Lfunc_end181:
	.size	_ZN9rocsolver6v33100L8set_diagI19rocblas_complex_numIfEifPS3_TnNSt9enable_ifIXaa18rocblas_is_complexIT_Ent18rocblas_is_complexIT1_EEiE4typeELi0EEEvPS7_llT2_lT0_lSC_b, .Lfunc_end181-_ZN9rocsolver6v33100L8set_diagI19rocblas_complex_numIfEifPS3_TnNSt9enable_ifIXaa18rocblas_is_complexIT_Ent18rocblas_is_complexIT1_EEiE4typeELi0EEEvPS7_llT2_lT0_lSC_b
                                        ; -- End function
	.section	.AMDGPU.csdata,"",@progbits
; Kernel info:
; codeLenInByte = 324
; NumSgprs: 23
; NumVgprs: 6
; NumAgprs: 0
; TotalNumVgprs: 6
; ScratchSize: 0
; MemoryBound: 0
; FloatMode: 240
; IeeeMode: 1
; LDSByteSize: 0 bytes/workgroup (compile time only)
; SGPRBlocks: 2
; VGPRBlocks: 0
; NumSGPRsForWavesPerEU: 23
; NumVGPRsForWavesPerEU: 6
; AccumOffset: 8
; Occupancy: 8
; WaveLimiterHint : 0
; COMPUTE_PGM_RSRC2:SCRATCH_EN: 0
; COMPUTE_PGM_RSRC2:USER_SGPR: 6
; COMPUTE_PGM_RSRC2:TRAP_HANDLER: 0
; COMPUTE_PGM_RSRC2:TGID_X_EN: 1
; COMPUTE_PGM_RSRC2:TGID_Y_EN: 1
; COMPUTE_PGM_RSRC2:TGID_Z_EN: 0
; COMPUTE_PGM_RSRC2:TIDIG_COMP_CNT: 1
; COMPUTE_PGM_RSRC3_GFX90A:ACCUM_OFFSET: 1
; COMPUTE_PGM_RSRC3_GFX90A:TG_SPLIT: 0
	.section	.text._ZN9rocsolver6v33100L12restore_diagI19rocblas_complex_numIfEifPS3_EEvPT1_llT2_lT0_lS8_,"axG",@progbits,_ZN9rocsolver6v33100L12restore_diagI19rocblas_complex_numIfEifPS3_EEvPT1_llT2_lT0_lS8_,comdat
	.globl	_ZN9rocsolver6v33100L12restore_diagI19rocblas_complex_numIfEifPS3_EEvPT1_llT2_lT0_lS8_ ; -- Begin function _ZN9rocsolver6v33100L12restore_diagI19rocblas_complex_numIfEifPS3_EEvPT1_llT2_lT0_lS8_
	.p2align	8
	.type	_ZN9rocsolver6v33100L12restore_diagI19rocblas_complex_numIfEifPS3_EEvPT1_llT2_lT0_lS8_,@function
_ZN9rocsolver6v33100L12restore_diagI19rocblas_complex_numIfEifPS3_EEvPT1_llT2_lT0_lS8_: ; @_ZN9rocsolver6v33100L12restore_diagI19rocblas_complex_numIfEifPS3_EEvPT1_llT2_lT0_lS8_
; %bb.0:
	s_load_dword s0, s[4:5], 0x4c
	s_load_dword s1, s[4:5], 0x38
	v_bfe_u32 v0, v0, 10, 10
	s_waitcnt lgkmcnt(0)
	s_lshr_b32 s0, s0, 16
	s_mul_i32 s7, s7, s0
	v_add_u32_e32 v0, s7, v0
	v_cmp_gt_i32_e32 vcc, s1, v0
	s_and_saveexec_b64 s[0:1], vcc
	s_cbranch_execz .LBB182_2
; %bb.1:
	s_load_dwordx2 s[0:1], s[4:5], 0x30
	s_load_dwordx2 s[2:3], s[4:5], 0x20
	s_load_dword s7, s[4:5], 0x28
	s_load_dwordx8 s[8:15], s[4:5], 0x0
	s_ashr_i32 s4, s6, 31
	s_waitcnt lgkmcnt(0)
	s_mul_i32 s1, s6, s1
	s_mul_hi_u32 s5, s6, s0
	s_add_i32 s1, s5, s1
	s_mul_i32 s5, s4, s0
	s_add_i32 s1, s1, s5
	s_mul_i32 s0, s6, s0
	s_lshl_b64 s[0:1], s[0:1], 3
	s_add_u32 s5, s14, s0
	s_addc_u32 s14, s15, s1
	s_lshl_b64 s[0:1], s[2:3], 3
	s_add_u32 s2, s5, s0
	s_addc_u32 s3, s14, s1
	s_mul_i32 s0, s6, s13
	s_mul_hi_u32 s1, s6, s12
	s_add_i32 s0, s1, s0
	s_mul_i32 s4, s4, s12
	s_add_i32 s1, s0, s4
	s_mul_i32 s0, s6, s12
	s_lshl_b64 s[0:1], s[0:1], 2
	s_add_u32 s4, s8, s0
	s_addc_u32 s5, s9, s1
	s_lshl_b64 s[0:1], s[10:11], 2
	s_add_u32 s4, s4, s0
	s_addc_u32 s5, s5, s1
	v_mad_u64_u32 v[2:3], s[0:1], v0, s7, v[0:1]
	v_ashrrev_i32_e32 v1, 31, v0
	v_lshlrev_b64 v[0:1], 2, v[0:1]
	v_mov_b32_e32 v3, s5
	v_add_co_u32_e32 v0, vcc, s4, v0
	v_addc_co_u32_e32 v1, vcc, v3, v1, vcc
	global_load_dword v0, v[0:1], off
	v_ashrrev_i32_e32 v3, 31, v2
	v_lshlrev_b64 v[2:3], 3, v[2:3]
	v_mov_b32_e32 v1, s3
	v_add_co_u32_e32 v2, vcc, s2, v2
	v_addc_co_u32_e32 v3, vcc, v1, v3, vcc
	v_mov_b32_e32 v1, 0
	s_waitcnt vmcnt(0)
	global_store_dwordx2 v[2:3], v[0:1], off
.LBB182_2:
	s_endpgm
	.section	.rodata,"a",@progbits
	.p2align	6, 0x0
	.amdhsa_kernel _ZN9rocsolver6v33100L12restore_diagI19rocblas_complex_numIfEifPS3_EEvPT1_llT2_lT0_lS8_
		.amdhsa_group_segment_fixed_size 0
		.amdhsa_private_segment_fixed_size 0
		.amdhsa_kernarg_size 320
		.amdhsa_user_sgpr_count 6
		.amdhsa_user_sgpr_private_segment_buffer 1
		.amdhsa_user_sgpr_dispatch_ptr 0
		.amdhsa_user_sgpr_queue_ptr 0
		.amdhsa_user_sgpr_kernarg_segment_ptr 1
		.amdhsa_user_sgpr_dispatch_id 0
		.amdhsa_user_sgpr_flat_scratch_init 0
		.amdhsa_user_sgpr_kernarg_preload_length 0
		.amdhsa_user_sgpr_kernarg_preload_offset 0
		.amdhsa_user_sgpr_private_segment_size 0
		.amdhsa_uses_dynamic_stack 0
		.amdhsa_system_sgpr_private_segment_wavefront_offset 0
		.amdhsa_system_sgpr_workgroup_id_x 1
		.amdhsa_system_sgpr_workgroup_id_y 1
		.amdhsa_system_sgpr_workgroup_id_z 0
		.amdhsa_system_sgpr_workgroup_info 0
		.amdhsa_system_vgpr_workitem_id 1
		.amdhsa_next_free_vgpr 4
		.amdhsa_next_free_sgpr 16
		.amdhsa_accum_offset 4
		.amdhsa_reserve_vcc 1
		.amdhsa_reserve_flat_scratch 0
		.amdhsa_float_round_mode_32 0
		.amdhsa_float_round_mode_16_64 0
		.amdhsa_float_denorm_mode_32 3
		.amdhsa_float_denorm_mode_16_64 3
		.amdhsa_dx10_clamp 1
		.amdhsa_ieee_mode 1
		.amdhsa_fp16_overflow 0
		.amdhsa_tg_split 0
		.amdhsa_exception_fp_ieee_invalid_op 0
		.amdhsa_exception_fp_denorm_src 0
		.amdhsa_exception_fp_ieee_div_zero 0
		.amdhsa_exception_fp_ieee_overflow 0
		.amdhsa_exception_fp_ieee_underflow 0
		.amdhsa_exception_fp_ieee_inexact 0
		.amdhsa_exception_int_div_zero 0
	.end_amdhsa_kernel
	.section	.text._ZN9rocsolver6v33100L12restore_diagI19rocblas_complex_numIfEifPS3_EEvPT1_llT2_lT0_lS8_,"axG",@progbits,_ZN9rocsolver6v33100L12restore_diagI19rocblas_complex_numIfEifPS3_EEvPT1_llT2_lT0_lS8_,comdat
.Lfunc_end182:
	.size	_ZN9rocsolver6v33100L12restore_diagI19rocblas_complex_numIfEifPS3_EEvPT1_llT2_lT0_lS8_, .Lfunc_end182-_ZN9rocsolver6v33100L12restore_diagI19rocblas_complex_numIfEifPS3_EEvPT1_llT2_lT0_lS8_
                                        ; -- End function
	.section	.AMDGPU.csdata,"",@progbits
; Kernel info:
; codeLenInByte = 272
; NumSgprs: 20
; NumVgprs: 4
; NumAgprs: 0
; TotalNumVgprs: 4
; ScratchSize: 0
; MemoryBound: 0
; FloatMode: 240
; IeeeMode: 1
; LDSByteSize: 0 bytes/workgroup (compile time only)
; SGPRBlocks: 2
; VGPRBlocks: 0
; NumSGPRsForWavesPerEU: 20
; NumVGPRsForWavesPerEU: 4
; AccumOffset: 4
; Occupancy: 8
; WaveLimiterHint : 0
; COMPUTE_PGM_RSRC2:SCRATCH_EN: 0
; COMPUTE_PGM_RSRC2:USER_SGPR: 6
; COMPUTE_PGM_RSRC2:TRAP_HANDLER: 0
; COMPUTE_PGM_RSRC2:TGID_X_EN: 1
; COMPUTE_PGM_RSRC2:TGID_Y_EN: 1
; COMPUTE_PGM_RSRC2:TGID_Z_EN: 0
; COMPUTE_PGM_RSRC2:TIDIG_COMP_CNT: 1
; COMPUTE_PGM_RSRC3_GFX90A:ACCUM_OFFSET: 0
; COMPUTE_PGM_RSRC3_GFX90A:TG_SPLIT: 0
	.section	.text._ZN9rocsolver6v33100L8copy_matI19rocblas_complex_numIfEPS3_S4_NS0_7no_maskEEEviiT0_iilT1_iilT2_13rocblas_fill_17rocblas_diagonal_,"axG",@progbits,_ZN9rocsolver6v33100L8copy_matI19rocblas_complex_numIfEPS3_S4_NS0_7no_maskEEEviiT0_iilT1_iilT2_13rocblas_fill_17rocblas_diagonal_,comdat
	.globl	_ZN9rocsolver6v33100L8copy_matI19rocblas_complex_numIfEPS3_S4_NS0_7no_maskEEEviiT0_iilT1_iilT2_13rocblas_fill_17rocblas_diagonal_ ; -- Begin function _ZN9rocsolver6v33100L8copy_matI19rocblas_complex_numIfEPS3_S4_NS0_7no_maskEEEviiT0_iilT1_iilT2_13rocblas_fill_17rocblas_diagonal_
	.p2align	8
	.type	_ZN9rocsolver6v33100L8copy_matI19rocblas_complex_numIfEPS3_S4_NS0_7no_maskEEEviiT0_iilT1_iilT2_13rocblas_fill_17rocblas_diagonal_,@function
_ZN9rocsolver6v33100L8copy_matI19rocblas_complex_numIfEPS3_S4_NS0_7no_maskEEEviiT0_iilT1_iilT2_13rocblas_fill_17rocblas_diagonal_: ; @_ZN9rocsolver6v33100L8copy_matI19rocblas_complex_numIfEPS3_S4_NS0_7no_maskEEEviiT0_iilT1_iilT2_13rocblas_fill_17rocblas_diagonal_
; %bb.0:
	s_load_dword s2, s[4:5], 0x54
	s_load_dwordx2 s[0:1], s[4:5], 0x0
	v_bfe_u32 v1, v0, 10, 10
	v_and_b32_e32 v0, 0x3ff, v0
	s_waitcnt lgkmcnt(0)
	s_lshr_b32 s3, s2, 16
	s_and_b32 s2, s2, 0xffff
	s_mul_i32 s7, s7, s3
	s_mul_i32 s6, s6, s2
	v_add_u32_e32 v1, s7, v1
	v_add_u32_e32 v0, s6, v0
	v_cmp_gt_u32_e32 vcc, s0, v0
	v_cmp_gt_u32_e64 s[0:1], s1, v1
	s_and_b64 s[0:1], s[0:1], vcc
	s_and_saveexec_b64 s[2:3], s[0:1]
	s_cbranch_execz .LBB183_14
; %bb.1:
	s_load_dwordx2 s[2:3], s[4:5], 0x3c
	s_waitcnt lgkmcnt(0)
	s_cmpk_lt_i32 s2, 0x7a
	s_cbranch_scc1 .LBB183_4
; %bb.2:
	s_cmpk_gt_i32 s2, 0x7a
	s_cbranch_scc0 .LBB183_5
; %bb.3:
	s_cmpk_lg_i32 s2, 0x7b
	s_mov_b64 s[6:7], -1
	s_cselect_b64 s[10:11], -1, 0
	s_cbranch_execz .LBB183_6
	s_branch .LBB183_7
.LBB183_4:
	s_mov_b64 s[10:11], 0
	s_mov_b64 s[6:7], 0
	s_cbranch_execnz .LBB183_8
	s_branch .LBB183_10
.LBB183_5:
	s_mov_b64 s[6:7], 0
	s_mov_b64 s[10:11], 0
.LBB183_6:
	v_cmp_gt_u32_e32 vcc, v0, v1
	v_cmp_le_u32_e64 s[0:1], v0, v1
	s_andn2_b64 s[6:7], s[6:7], exec
	s_and_b64 s[12:13], vcc, exec
	s_andn2_b64 s[10:11], s[10:11], exec
	s_and_b64 s[0:1], s[0:1], exec
	s_or_b64 s[6:7], s[6:7], s[12:13]
	s_or_b64 s[10:11], s[10:11], s[0:1]
.LBB183_7:
	s_branch .LBB183_10
.LBB183_8:
	s_cmpk_eq_i32 s2, 0x79
	s_mov_b64 s[10:11], -1
	s_cbranch_scc0 .LBB183_10
; %bb.9:
	v_cmp_gt_u32_e32 vcc, v1, v0
	v_cmp_le_u32_e64 s[0:1], v1, v0
	s_andn2_b64 s[6:7], s[6:7], exec
	s_and_b64 s[10:11], vcc, exec
	s_or_b64 s[6:7], s[6:7], s[10:11]
	s_orn2_b64 s[10:11], s[0:1], exec
.LBB183_10:
	s_and_saveexec_b64 s[0:1], s[10:11]
; %bb.11:
	s_cmpk_eq_i32 s3, 0x83
	s_cselect_b64 s[2:3], -1, 0
	v_cmp_eq_u32_e32 vcc, v0, v1
	s_and_b64 s[2:3], s[2:3], vcc
	s_andn2_b64 s[6:7], s[6:7], exec
	s_and_b64 s[2:3], s[2:3], exec
	s_or_b64 s[6:7], s[6:7], s[2:3]
; %bb.12:
	s_or_b64 exec, exec, s[0:1]
	s_and_b64 exec, exec, s[6:7]
	s_cbranch_execz .LBB183_14
; %bb.13:
	s_load_dwordx8 s[12:19], s[4:5], 0x8
	s_waitcnt lgkmcnt(0)
	s_mul_i32 s3, s8, s17
	s_mul_hi_u32 s6, s8, s16
	s_mul_i32 s2, s8, s16
	s_add_i32 s3, s6, s3
	s_ashr_i32 s1, s14, 31
	s_lshl_b64 s[2:3], s[2:3], 3
	s_mov_b32 s0, s14
	s_add_u32 s2, s12, s2
	s_addc_u32 s3, s13, s3
	s_lshl_b64 s[0:1], s[0:1], 3
	s_add_u32 s2, s2, s0
	s_addc_u32 s3, s3, s1
	v_mad_u64_u32 v[2:3], s[0:1], v1, s15, v[0:1]
	v_mov_b32_e32 v3, 0
	v_lshlrev_b64 v[4:5], 3, v[2:3]
	v_mov_b32_e32 v2, s3
	v_add_co_u32_e32 v4, vcc, s2, v4
	v_addc_co_u32_e32 v5, vcc, v2, v5, vcc
	global_load_dwordx2 v[4:5], v[4:5], off
	s_load_dwordx4 s[0:3], s[4:5], 0x28
	s_waitcnt lgkmcnt(0)
	s_ashr_i32 s5, s0, 31
	s_mov_b32 s4, s0
	s_mul_i32 s0, s8, s3
	s_mul_hi_u32 s3, s8, s2
	s_add_i32 s3, s3, s0
	s_mul_i32 s2, s8, s2
	s_lshl_b64 s[2:3], s[2:3], 3
	s_add_u32 s0, s18, s2
	s_addc_u32 s6, s19, s3
	s_lshl_b64 s[2:3], s[4:5], 3
	s_add_u32 s2, s0, s2
	v_mad_u64_u32 v[0:1], s[0:1], v1, s1, v[0:1]
	v_mov_b32_e32 v1, v3
	s_addc_u32 s3, s6, s3
	v_lshlrev_b64 v[0:1], 3, v[0:1]
	v_mov_b32_e32 v2, s3
	v_add_co_u32_e32 v0, vcc, s2, v0
	v_addc_co_u32_e32 v1, vcc, v2, v1, vcc
	s_waitcnt vmcnt(0)
	global_store_dwordx2 v[0:1], v[4:5], off
.LBB183_14:
	s_endpgm
	.section	.rodata,"a",@progbits
	.p2align	6, 0x0
	.amdhsa_kernel _ZN9rocsolver6v33100L8copy_matI19rocblas_complex_numIfEPS3_S4_NS0_7no_maskEEEviiT0_iilT1_iilT2_13rocblas_fill_17rocblas_diagonal_
		.amdhsa_group_segment_fixed_size 0
		.amdhsa_private_segment_fixed_size 0
		.amdhsa_kernarg_size 328
		.amdhsa_user_sgpr_count 6
		.amdhsa_user_sgpr_private_segment_buffer 1
		.amdhsa_user_sgpr_dispatch_ptr 0
		.amdhsa_user_sgpr_queue_ptr 0
		.amdhsa_user_sgpr_kernarg_segment_ptr 1
		.amdhsa_user_sgpr_dispatch_id 0
		.amdhsa_user_sgpr_flat_scratch_init 0
		.amdhsa_user_sgpr_kernarg_preload_length 0
		.amdhsa_user_sgpr_kernarg_preload_offset 0
		.amdhsa_user_sgpr_private_segment_size 0
		.amdhsa_uses_dynamic_stack 0
		.amdhsa_system_sgpr_private_segment_wavefront_offset 0
		.amdhsa_system_sgpr_workgroup_id_x 1
		.amdhsa_system_sgpr_workgroup_id_y 1
		.amdhsa_system_sgpr_workgroup_id_z 1
		.amdhsa_system_sgpr_workgroup_info 0
		.amdhsa_system_vgpr_workitem_id 1
		.amdhsa_next_free_vgpr 6
		.amdhsa_next_free_sgpr 20
		.amdhsa_accum_offset 8
		.amdhsa_reserve_vcc 1
		.amdhsa_reserve_flat_scratch 0
		.amdhsa_float_round_mode_32 0
		.amdhsa_float_round_mode_16_64 0
		.amdhsa_float_denorm_mode_32 3
		.amdhsa_float_denorm_mode_16_64 3
		.amdhsa_dx10_clamp 1
		.amdhsa_ieee_mode 1
		.amdhsa_fp16_overflow 0
		.amdhsa_tg_split 0
		.amdhsa_exception_fp_ieee_invalid_op 0
		.amdhsa_exception_fp_denorm_src 0
		.amdhsa_exception_fp_ieee_div_zero 0
		.amdhsa_exception_fp_ieee_overflow 0
		.amdhsa_exception_fp_ieee_underflow 0
		.amdhsa_exception_fp_ieee_inexact 0
		.amdhsa_exception_int_div_zero 0
	.end_amdhsa_kernel
	.section	.text._ZN9rocsolver6v33100L8copy_matI19rocblas_complex_numIfEPS3_S4_NS0_7no_maskEEEviiT0_iilT1_iilT2_13rocblas_fill_17rocblas_diagonal_,"axG",@progbits,_ZN9rocsolver6v33100L8copy_matI19rocblas_complex_numIfEPS3_S4_NS0_7no_maskEEEviiT0_iilT1_iilT2_13rocblas_fill_17rocblas_diagonal_,comdat
.Lfunc_end183:
	.size	_ZN9rocsolver6v33100L8copy_matI19rocblas_complex_numIfEPS3_S4_NS0_7no_maskEEEviiT0_iilT1_iilT2_13rocblas_fill_17rocblas_diagonal_, .Lfunc_end183-_ZN9rocsolver6v33100L8copy_matI19rocblas_complex_numIfEPS3_S4_NS0_7no_maskEEEviiT0_iilT1_iilT2_13rocblas_fill_17rocblas_diagonal_
                                        ; -- End function
	.section	.AMDGPU.csdata,"",@progbits
; Kernel info:
; codeLenInByte = 492
; NumSgprs: 24
; NumVgprs: 6
; NumAgprs: 0
; TotalNumVgprs: 6
; ScratchSize: 0
; MemoryBound: 0
; FloatMode: 240
; IeeeMode: 1
; LDSByteSize: 0 bytes/workgroup (compile time only)
; SGPRBlocks: 2
; VGPRBlocks: 0
; NumSGPRsForWavesPerEU: 24
; NumVGPRsForWavesPerEU: 6
; AccumOffset: 8
; Occupancy: 8
; WaveLimiterHint : 0
; COMPUTE_PGM_RSRC2:SCRATCH_EN: 0
; COMPUTE_PGM_RSRC2:USER_SGPR: 6
; COMPUTE_PGM_RSRC2:TRAP_HANDLER: 0
; COMPUTE_PGM_RSRC2:TGID_X_EN: 1
; COMPUTE_PGM_RSRC2:TGID_Y_EN: 1
; COMPUTE_PGM_RSRC2:TGID_Z_EN: 1
; COMPUTE_PGM_RSRC2:TIDIG_COMP_CNT: 1
; COMPUTE_PGM_RSRC3_GFX90A:ACCUM_OFFSET: 1
; COMPUTE_PGM_RSRC3_GFX90A:TG_SPLIT: 0
	.section	.text._ZN9rocsolver6v33100L15copyshift_rightI19rocblas_complex_numIfEPS3_EEvbiT0_iilPT_iil,"axG",@progbits,_ZN9rocsolver6v33100L15copyshift_rightI19rocblas_complex_numIfEPS3_EEvbiT0_iilPT_iil,comdat
	.globl	_ZN9rocsolver6v33100L15copyshift_rightI19rocblas_complex_numIfEPS3_EEvbiT0_iilPT_iil ; -- Begin function _ZN9rocsolver6v33100L15copyshift_rightI19rocblas_complex_numIfEPS3_EEvbiT0_iilPT_iil
	.p2align	8
	.type	_ZN9rocsolver6v33100L15copyshift_rightI19rocblas_complex_numIfEPS3_EEvbiT0_iilPT_iil,@function
_ZN9rocsolver6v33100L15copyshift_rightI19rocblas_complex_numIfEPS3_EEvbiT0_iilPT_iil: ; @_ZN9rocsolver6v33100L15copyshift_rightI19rocblas_complex_numIfEPS3_EEvbiT0_iilPT_iil
; %bb.0:
	s_load_dwordx4 s[0:3], s[4:5], 0x0
	s_load_dwordx4 s[12:15], s[4:5], 0x18
	s_load_dword s9, s[4:5], 0x44
	s_load_dwordx2 s[10:11], s[4:5], 0x10
	v_and_b32_e32 v1, 0x3ff, v0
	s_waitcnt lgkmcnt(0)
	s_bitcmp1_b32 s0, 0
	s_cselect_b64 s[16:17], -1, 0
	s_and_b32 s0, s9, 0xffff
	s_lshr_b32 s9, s9, 16
	s_mul_i32 s7, s7, s9
	s_mul_i32 s6, s6, s0
	;; [unrolled: 1-line block ×3, first 2 shown]
	s_mul_hi_u32 s9, s8, s12
	v_bfe_u32 v0, v0, 10, 10
	s_add_i32 s13, s9, s0
	s_mul_i32 s12, s8, s12
	s_xor_b64 s[16:17], s[16:17], -1
	v_add_u32_e32 v0, s7, v0
	s_ashr_i32 s7, s10, 31
	s_lshl_b64 s[12:13], s[12:13], 3
	v_add_u32_e32 v2, s6, v1
	s_mov_b32 s6, s10
	s_add_u32 s0, s2, s12
	s_addc_u32 s9, s3, s13
	s_lshl_b64 s[2:3], s[6:7], 3
	v_or_b32_e32 v1, v2, v0
	s_add_u32 s6, s0, s2
	v_cmp_eq_u32_e32 vcc, 0, v1
	s_addc_u32 s7, s9, s3
	s_and_b64 s[12:13], vcc, s[16:17]
	s_and_saveexec_b64 s[2:3], s[12:13]
	s_cbranch_execz .LBB184_2
; %bb.1:
	v_mov_b32_e32 v4, 1.0
	v_mov_b32_e32 v5, 0
	global_store_dwordx2 v5, v[4:5], s[6:7]
.LBB184_2:
	s_or_b64 exec, exec, s[2:3]
	v_max_u32_e32 v1, v0, v2
	v_cmp_gt_u32_e32 vcc, s1, v1
	v_cmp_le_u32_e64 s[0:1], v0, v2
	s_and_b64 s[0:1], s[0:1], vcc
	s_and_saveexec_b64 s[2:3], s[0:1]
	s_cbranch_execz .LBB184_11
; %bb.3:
	s_load_dwordx4 s[0:3], s[4:5], 0x28
	s_waitcnt lgkmcnt(0)
	s_ashr_i32 s5, s0, 31
	s_mov_b32 s4, s0
	s_mul_i32 s0, s8, s3
	s_mul_hi_u32 s3, s8, s2
	s_mul_i32 s2, s8, s2
	s_add_i32 s3, s3, s0
	s_lshl_b64 s[2:3], s[2:3], 3
	s_add_u32 s0, s14, s2
	s_addc_u32 s8, s15, s3
	s_lshl_b64 s[2:3], s[4:5], 3
	s_add_u32 s0, s0, s2
	s_addc_u32 s4, s8, s3
	v_mad_u64_u32 v[4:5], s[2:3], v0, v0, v[0:1]
	v_lshrrev_b32_e32 v3, 1, v4
	s_mov_b64 s[2:3], -1
	s_and_b64 vcc, exec, s[16:17]
	s_cbranch_vccz .LBB184_7
; %bb.4:
	v_mad_u64_u32 v[4:5], s[2:3], v0, s1, v[2:3]
	v_sub_u32_e32 v4, v4, v3
	v_mov_b32_e32 v5, 0
	v_lshlrev_b64 v[6:7], 3, v[4:5]
	v_mov_b32_e32 v1, s4
	v_add_co_u32_e32 v6, vcc, s0, v6
	v_addc_co_u32_e32 v7, vcc, v1, v7, vcc
	global_load_dwordx2 v[6:7], v[6:7], off
	v_mul_lo_u32 v1, v0, s11
	v_add3_u32 v4, v2, v1, 1
	v_lshlrev_b64 v[8:9], 3, v[4:5]
	v_mov_b32_e32 v10, s7
	v_add_co_u32_e32 v8, vcc, s6, v8
	v_addc_co_u32_e32 v9, vcc, v10, v9, vcc
	v_cmp_eq_u32_e32 vcc, v2, v0
	s_waitcnt vmcnt(0)
	global_store_dwordx2 v[8:9], v[6:7], off
	s_and_saveexec_b64 s[2:3], vcc
	s_cbranch_execz .LBB184_6
; %bb.5:
	v_add_u32_e32 v4, s11, v1
	v_lshlrev_b64 v[6:7], 3, v[4:5]
	v_mov_b32_e32 v1, s7
	v_add_co_u32_e32 v6, vcc, s6, v6
	v_addc_co_u32_e32 v7, vcc, v1, v7, vcc
	v_mov_b32_e32 v4, v5
	global_store_dwordx2 v[6:7], v[4:5], off
.LBB184_6:
	s_or_b64 exec, exec, s[2:3]
	s_mov_b64 s[2:3], 0
.LBB184_7:
	s_andn2_b64 vcc, exec, s[2:3]
	s_cbranch_vccnz .LBB184_11
; %bb.8:
	v_cmp_ne_u32_e32 vcc, 0, v0
	v_mov_b32_e32 v1, 0
	v_mov_b32_e32 v4, 0
	;; [unrolled: 1-line block ×3, first 2 shown]
	s_and_saveexec_b64 s[2:3], vcc
	s_cbranch_execz .LBB184_10
; %bb.9:
	v_add_u32_e32 v4, -1, v0
	v_mul_lo_u32 v4, v4, s11
	v_add3_u32 v4, v2, v4, 1
	v_mov_b32_e32 v5, 0
	v_lshlrev_b64 v[4:5], 3, v[4:5]
	v_mov_b32_e32 v6, s7
	v_add_co_u32_e32 v4, vcc, s6, v4
	v_addc_co_u32_e32 v5, vcc, v6, v5, vcc
	global_load_dwordx2 v[4:5], v[4:5], off
.LBB184_10:
	s_or_b64 exec, exec, s[2:3]
	v_mad_u64_u32 v[6:7], s[2:3], v0, s1, v[2:3]
	v_sub_u32_e32 v0, v6, v3
	v_lshlrev_b64 v[0:1], 3, v[0:1]
	v_mov_b32_e32 v2, s4
	v_add_co_u32_e32 v0, vcc, s0, v0
	v_addc_co_u32_e32 v1, vcc, v2, v1, vcc
	s_waitcnt vmcnt(0)
	global_store_dwordx2 v[0:1], v[4:5], off
.LBB184_11:
	s_endpgm
	.section	.rodata,"a",@progbits
	.p2align	6, 0x0
	.amdhsa_kernel _ZN9rocsolver6v33100L15copyshift_rightI19rocblas_complex_numIfEPS3_EEvbiT0_iilPT_iil
		.amdhsa_group_segment_fixed_size 0
		.amdhsa_private_segment_fixed_size 0
		.amdhsa_kernarg_size 312
		.amdhsa_user_sgpr_count 6
		.amdhsa_user_sgpr_private_segment_buffer 1
		.amdhsa_user_sgpr_dispatch_ptr 0
		.amdhsa_user_sgpr_queue_ptr 0
		.amdhsa_user_sgpr_kernarg_segment_ptr 1
		.amdhsa_user_sgpr_dispatch_id 0
		.amdhsa_user_sgpr_flat_scratch_init 0
		.amdhsa_user_sgpr_kernarg_preload_length 0
		.amdhsa_user_sgpr_kernarg_preload_offset 0
		.amdhsa_user_sgpr_private_segment_size 0
		.amdhsa_uses_dynamic_stack 0
		.amdhsa_system_sgpr_private_segment_wavefront_offset 0
		.amdhsa_system_sgpr_workgroup_id_x 1
		.amdhsa_system_sgpr_workgroup_id_y 1
		.amdhsa_system_sgpr_workgroup_id_z 1
		.amdhsa_system_sgpr_workgroup_info 0
		.amdhsa_system_vgpr_workitem_id 1
		.amdhsa_next_free_vgpr 11
		.amdhsa_next_free_sgpr 18
		.amdhsa_accum_offset 12
		.amdhsa_reserve_vcc 1
		.amdhsa_reserve_flat_scratch 0
		.amdhsa_float_round_mode_32 0
		.amdhsa_float_round_mode_16_64 0
		.amdhsa_float_denorm_mode_32 3
		.amdhsa_float_denorm_mode_16_64 3
		.amdhsa_dx10_clamp 1
		.amdhsa_ieee_mode 1
		.amdhsa_fp16_overflow 0
		.amdhsa_tg_split 0
		.amdhsa_exception_fp_ieee_invalid_op 0
		.amdhsa_exception_fp_denorm_src 0
		.amdhsa_exception_fp_ieee_div_zero 0
		.amdhsa_exception_fp_ieee_overflow 0
		.amdhsa_exception_fp_ieee_underflow 0
		.amdhsa_exception_fp_ieee_inexact 0
		.amdhsa_exception_int_div_zero 0
	.end_amdhsa_kernel
	.section	.text._ZN9rocsolver6v33100L15copyshift_rightI19rocblas_complex_numIfEPS3_EEvbiT0_iilPT_iil,"axG",@progbits,_ZN9rocsolver6v33100L15copyshift_rightI19rocblas_complex_numIfEPS3_EEvbiT0_iilPT_iil,comdat
.Lfunc_end184:
	.size	_ZN9rocsolver6v33100L15copyshift_rightI19rocblas_complex_numIfEPS3_EEvbiT0_iilPT_iil, .Lfunc_end184-_ZN9rocsolver6v33100L15copyshift_rightI19rocblas_complex_numIfEPS3_EEvbiT0_iilPT_iil
                                        ; -- End function
	.section	.AMDGPU.csdata,"",@progbits
; Kernel info:
; codeLenInByte = 576
; NumSgprs: 22
; NumVgprs: 11
; NumAgprs: 0
; TotalNumVgprs: 11
; ScratchSize: 0
; MemoryBound: 0
; FloatMode: 240
; IeeeMode: 1
; LDSByteSize: 0 bytes/workgroup (compile time only)
; SGPRBlocks: 2
; VGPRBlocks: 1
; NumSGPRsForWavesPerEU: 22
; NumVGPRsForWavesPerEU: 11
; AccumOffset: 12
; Occupancy: 8
; WaveLimiterHint : 0
; COMPUTE_PGM_RSRC2:SCRATCH_EN: 0
; COMPUTE_PGM_RSRC2:USER_SGPR: 6
; COMPUTE_PGM_RSRC2:TRAP_HANDLER: 0
; COMPUTE_PGM_RSRC2:TGID_X_EN: 1
; COMPUTE_PGM_RSRC2:TGID_Y_EN: 1
; COMPUTE_PGM_RSRC2:TGID_Z_EN: 1
; COMPUTE_PGM_RSRC2:TIDIG_COMP_CNT: 1
; COMPUTE_PGM_RSRC3_GFX90A:ACCUM_OFFSET: 2
; COMPUTE_PGM_RSRC3_GFX90A:TG_SPLIT: 0
	.section	.text._ZN9rocsolver6v33100L14copyshift_downI19rocblas_complex_numIfEPS3_EEvbiT0_iilPT_iil,"axG",@progbits,_ZN9rocsolver6v33100L14copyshift_downI19rocblas_complex_numIfEPS3_EEvbiT0_iilPT_iil,comdat
	.globl	_ZN9rocsolver6v33100L14copyshift_downI19rocblas_complex_numIfEPS3_EEvbiT0_iilPT_iil ; -- Begin function _ZN9rocsolver6v33100L14copyshift_downI19rocblas_complex_numIfEPS3_EEvbiT0_iilPT_iil
	.p2align	8
	.type	_ZN9rocsolver6v33100L14copyshift_downI19rocblas_complex_numIfEPS3_EEvbiT0_iilPT_iil,@function
_ZN9rocsolver6v33100L14copyshift_downI19rocblas_complex_numIfEPS3_EEvbiT0_iilPT_iil: ; @_ZN9rocsolver6v33100L14copyshift_downI19rocblas_complex_numIfEPS3_EEvbiT0_iilPT_iil
; %bb.0:
	s_load_dwordx4 s[12:15], s[4:5], 0x0
	s_load_dwordx4 s[0:3], s[4:5], 0x18
	s_load_dword s9, s[4:5], 0x44
	s_load_dwordx2 s[10:11], s[4:5], 0x10
	v_and_b32_e32 v1, 0x3ff, v0
	s_waitcnt lgkmcnt(0)
	s_bitcmp1_b32 s12, 0
	s_cselect_b64 s[16:17], -1, 0
	s_and_b32 s12, s9, 0xffff
	s_lshr_b32 s9, s9, 16
	s_mul_i32 s7, s7, s9
	s_mul_i32 s1, s8, s1
	s_mul_hi_u32 s9, s8, s0
	v_bfe_u32 v0, v0, 10, 10
	s_add_i32 s1, s9, s1
	s_mul_i32 s0, s8, s0
	s_xor_b64 s[16:17], s[16:17], -1
	s_mul_i32 s6, s6, s12
	v_add_u32_e32 v3, s7, v0
	s_ashr_i32 s7, s10, 31
	s_lshl_b64 s[0:1], s[0:1], 3
	v_add_u32_e32 v2, s6, v1
	s_mov_b32 s6, s10
	s_add_u32 s9, s14, s0
	s_addc_u32 s10, s15, s1
	s_lshl_b64 s[0:1], s[6:7], 3
	v_or_b32_e32 v0, v2, v3
	s_add_u32 s6, s9, s0
	v_cmp_eq_u32_e32 vcc, 0, v0
	s_addc_u32 s7, s10, s1
	s_and_b64 s[14:15], vcc, s[16:17]
	s_and_saveexec_b64 s[0:1], s[14:15]
	s_cbranch_execz .LBB185_2
; %bb.1:
	v_mov_b32_e32 v0, 1.0
	v_mov_b32_e32 v1, 0
	global_store_dwordx2 v1, v[0:1], s[6:7]
.LBB185_2:
	s_or_b64 exec, exec, s[0:1]
	v_max_u32_e32 v0, v3, v2
	v_cmp_gt_u32_e32 vcc, s13, v0
	v_cmp_le_u32_e64 s[0:1], v2, v3
	s_and_b64 s[0:1], s[0:1], vcc
	s_and_saveexec_b64 s[12:13], s[0:1]
	s_cbranch_execz .LBB185_11
; %bb.3:
	s_load_dword s0, s[4:5], 0x28
	s_load_dwordx2 s[12:13], s[4:5], 0x30
	v_add_u32_e32 v6, 1, v3
	v_mul_lo_u32 v0, v6, v3
	v_lshrrev_b32_e32 v0, 1, v0
	s_waitcnt lgkmcnt(0)
	s_ashr_i32 s1, s0, 31
	s_mul_i32 s5, s8, s13
	s_mul_hi_u32 s9, s8, s12
	s_mul_i32 s4, s8, s12
	s_add_i32 s5, s9, s5
	s_lshl_b64 s[4:5], s[4:5], 3
	s_add_u32 s2, s2, s4
	s_addc_u32 s3, s3, s5
	s_lshl_b64 s[0:1], s[0:1], 3
	s_add_u32 s2, s2, s0
	s_addc_u32 s3, s3, s1
	s_mov_b64 s[0:1], -1
	s_and_b64 vcc, exec, s[16:17]
	v_add_u32_e32 v0, v2, v0
	s_cbranch_vccz .LBB185_7
; %bb.4:
	v_mov_b32_e32 v1, 0
	v_lshlrev_b64 v[4:5], 3, v[0:1]
	v_mov_b32_e32 v7, s3
	v_add_co_u32_e32 v4, vcc, s2, v4
	v_addc_co_u32_e32 v5, vcc, v7, v5, vcc
	global_load_dwordx2 v[4:5], v[4:5], off
	v_mad_u64_u32 v[8:9], s[0:1], v6, s11, v[2:3]
	v_mov_b32_e32 v9, v1
	v_lshlrev_b64 v[8:9], 3, v[8:9]
	v_mov_b32_e32 v7, s7
	v_add_co_u32_e32 v8, vcc, s6, v8
	v_addc_co_u32_e32 v9, vcc, v7, v9, vcc
	v_cmp_eq_u32_e32 vcc, v2, v3
	s_waitcnt vmcnt(0)
	global_store_dwordx2 v[8:9], v[4:5], off
	s_and_saveexec_b64 s[0:1], vcc
	s_cbranch_execz .LBB185_6
; %bb.5:
	v_mov_b32_e32 v3, v1
	v_lshlrev_b64 v[4:5], 3, v[2:3]
	v_mov_b32_e32 v3, s7
	v_add_co_u32_e32 v4, vcc, s6, v4
	v_addc_co_u32_e32 v5, vcc, v3, v5, vcc
	v_mov_b32_e32 v8, v1
	v_mov_b32_e32 v9, v1
	global_store_dwordx2 v[4:5], v[8:9], off offset:8
.LBB185_6:
	s_or_b64 exec, exec, s[0:1]
	s_mov_b64 s[0:1], 0
.LBB185_7:
	s_andn2_b64 vcc, exec, s[0:1]
	s_cbranch_vccnz .LBB185_11
; %bb.8:
	v_cmp_ne_u32_e32 vcc, 0, v2
	v_mov_b32_e32 v1, 0
	v_mov_b32_e32 v4, 0
	;; [unrolled: 1-line block ×3, first 2 shown]
	s_and_saveexec_b64 s[0:1], vcc
	s_cbranch_execz .LBB185_10
; %bb.9:
	v_mul_lo_u32 v3, v6, s11
	v_add3_u32 v2, v2, v3, -1
	v_mov_b32_e32 v3, 0
	v_lshlrev_b64 v[2:3], 3, v[2:3]
	v_mov_b32_e32 v4, s7
	v_add_co_u32_e32 v2, vcc, s6, v2
	v_addc_co_u32_e32 v3, vcc, v4, v3, vcc
	global_load_dwordx2 v[4:5], v[2:3], off
.LBB185_10:
	s_or_b64 exec, exec, s[0:1]
	v_lshlrev_b64 v[0:1], 3, v[0:1]
	v_mov_b32_e32 v2, s3
	v_add_co_u32_e32 v0, vcc, s2, v0
	v_addc_co_u32_e32 v1, vcc, v2, v1, vcc
	s_waitcnt vmcnt(0)
	global_store_dwordx2 v[0:1], v[4:5], off
.LBB185_11:
	s_endpgm
	.section	.rodata,"a",@progbits
	.p2align	6, 0x0
	.amdhsa_kernel _ZN9rocsolver6v33100L14copyshift_downI19rocblas_complex_numIfEPS3_EEvbiT0_iilPT_iil
		.amdhsa_group_segment_fixed_size 0
		.amdhsa_private_segment_fixed_size 0
		.amdhsa_kernarg_size 312
		.amdhsa_user_sgpr_count 6
		.amdhsa_user_sgpr_private_segment_buffer 1
		.amdhsa_user_sgpr_dispatch_ptr 0
		.amdhsa_user_sgpr_queue_ptr 0
		.amdhsa_user_sgpr_kernarg_segment_ptr 1
		.amdhsa_user_sgpr_dispatch_id 0
		.amdhsa_user_sgpr_flat_scratch_init 0
		.amdhsa_user_sgpr_kernarg_preload_length 0
		.amdhsa_user_sgpr_kernarg_preload_offset 0
		.amdhsa_user_sgpr_private_segment_size 0
		.amdhsa_uses_dynamic_stack 0
		.amdhsa_system_sgpr_private_segment_wavefront_offset 0
		.amdhsa_system_sgpr_workgroup_id_x 1
		.amdhsa_system_sgpr_workgroup_id_y 1
		.amdhsa_system_sgpr_workgroup_id_z 1
		.amdhsa_system_sgpr_workgroup_info 0
		.amdhsa_system_vgpr_workitem_id 1
		.amdhsa_next_free_vgpr 10
		.amdhsa_next_free_sgpr 18
		.amdhsa_accum_offset 12
		.amdhsa_reserve_vcc 1
		.amdhsa_reserve_flat_scratch 0
		.amdhsa_float_round_mode_32 0
		.amdhsa_float_round_mode_16_64 0
		.amdhsa_float_denorm_mode_32 3
		.amdhsa_float_denorm_mode_16_64 3
		.amdhsa_dx10_clamp 1
		.amdhsa_ieee_mode 1
		.amdhsa_fp16_overflow 0
		.amdhsa_tg_split 0
		.amdhsa_exception_fp_ieee_invalid_op 0
		.amdhsa_exception_fp_denorm_src 0
		.amdhsa_exception_fp_ieee_div_zero 0
		.amdhsa_exception_fp_ieee_overflow 0
		.amdhsa_exception_fp_ieee_underflow 0
		.amdhsa_exception_fp_ieee_inexact 0
		.amdhsa_exception_int_div_zero 0
	.end_amdhsa_kernel
	.section	.text._ZN9rocsolver6v33100L14copyshift_downI19rocblas_complex_numIfEPS3_EEvbiT0_iilPT_iil,"axG",@progbits,_ZN9rocsolver6v33100L14copyshift_downI19rocblas_complex_numIfEPS3_EEvbiT0_iilPT_iil,comdat
.Lfunc_end185:
	.size	_ZN9rocsolver6v33100L14copyshift_downI19rocblas_complex_numIfEPS3_EEvbiT0_iilPT_iil, .Lfunc_end185-_ZN9rocsolver6v33100L14copyshift_downI19rocblas_complex_numIfEPS3_EEvbiT0_iilPT_iil
                                        ; -- End function
	.section	.AMDGPU.csdata,"",@progbits
; Kernel info:
; codeLenInByte = 560
; NumSgprs: 22
; NumVgprs: 10
; NumAgprs: 0
; TotalNumVgprs: 10
; ScratchSize: 0
; MemoryBound: 0
; FloatMode: 240
; IeeeMode: 1
; LDSByteSize: 0 bytes/workgroup (compile time only)
; SGPRBlocks: 2
; VGPRBlocks: 1
; NumSGPRsForWavesPerEU: 22
; NumVGPRsForWavesPerEU: 10
; AccumOffset: 12
; Occupancy: 8
; WaveLimiterHint : 0
; COMPUTE_PGM_RSRC2:SCRATCH_EN: 0
; COMPUTE_PGM_RSRC2:USER_SGPR: 6
; COMPUTE_PGM_RSRC2:TRAP_HANDLER: 0
; COMPUTE_PGM_RSRC2:TGID_X_EN: 1
; COMPUTE_PGM_RSRC2:TGID_Y_EN: 1
; COMPUTE_PGM_RSRC2:TGID_Z_EN: 1
; COMPUTE_PGM_RSRC2:TIDIG_COMP_CNT: 1
; COMPUTE_PGM_RSRC3_GFX90A:ACCUM_OFFSET: 2
; COMPUTE_PGM_RSRC3_GFX90A:TG_SPLIT: 0
	.section	.text._ZN9rocsolver6v33100L17bdsqr_lower2upperI19rocblas_complex_numIfEfPS3_S4_EEviiiPT0_lS6_lT1_iilT2_iilPiS6_lS9_,"axG",@progbits,_ZN9rocsolver6v33100L17bdsqr_lower2upperI19rocblas_complex_numIfEfPS3_S4_EEviiiPT0_lS6_lT1_iilT2_iilPiS6_lS9_,comdat
	.globl	_ZN9rocsolver6v33100L17bdsqr_lower2upperI19rocblas_complex_numIfEfPS3_S4_EEviiiPT0_lS6_lT1_iilT2_iilPiS6_lS9_ ; -- Begin function _ZN9rocsolver6v33100L17bdsqr_lower2upperI19rocblas_complex_numIfEfPS3_S4_EEviiiPT0_lS6_lT1_iilT2_iilPiS6_lS9_
	.p2align	8
	.type	_ZN9rocsolver6v33100L17bdsqr_lower2upperI19rocblas_complex_numIfEfPS3_S4_EEviiiPT0_lS6_lT1_iilT2_iilPiS6_lS9_,@function
_ZN9rocsolver6v33100L17bdsqr_lower2upperI19rocblas_complex_numIfEfPS3_S4_EEviiiPT0_lS6_lT1_iilT2_iilPiS6_lS9_: ; @_ZN9rocsolver6v33100L17bdsqr_lower2upperI19rocblas_complex_numIfEfPS3_S4_EEviiiPT0_lS6_lT1_iilT2_iilPiS6_lS9_
; %bb.0:
	s_load_dwordx2 s[0:1], s[4:5], 0x78
	s_mov_b32 s28, s7
	s_ashr_i32 s29, s7, 31
	s_lshl_b64 s[2:3], s[28:29], 2
	s_waitcnt lgkmcnt(0)
	s_add_u32 s0, s0, s2
	s_addc_u32 s1, s1, s3
	s_load_dword s0, s[0:1], 0x8
	s_waitcnt lgkmcnt(0)
	s_cmp_lg_u32 s0, 0
	s_cbranch_scc1 .LBB186_34
; %bb.1:
	s_load_dwordx8 s[8:15], s[4:5], 0x30
	s_load_dwordx4 s[0:3], s[4:5], 0x68
	s_mov_b64 s[6:7], 0
	s_mov_b64 s[24:25], 0
	s_waitcnt lgkmcnt(0)
	s_cmp_eq_u64 s[8:9], 0
	s_cbranch_scc1 .LBB186_3
; %bb.2:
	s_ashr_i32 s17, s10, 31
	s_mov_b32 s16, s10
	s_mul_i32 s10, s28, s13
	s_mul_hi_u32 s13, s28, s12
	s_add_i32 s10, s13, s10
	s_mul_i32 s13, s29, s12
	s_add_i32 s13, s10, s13
	s_mul_i32 s12, s28, s12
	s_lshl_b64 s[12:13], s[12:13], 3
	s_add_u32 s10, s8, s12
	s_addc_u32 s12, s9, s13
	s_lshl_b64 s[8:9], s[16:17], 3
	s_add_u32 s24, s10, s8
	s_addc_u32 s25, s12, s9
.LBB186_3:
	s_load_dwordx2 s[8:9], s[4:5], 0x50
	s_cmp_eq_u64 s[14:15], 0
	s_cbranch_scc1 .LBB186_5
; %bb.4:
	s_load_dwordx2 s[6:7], s[4:5], 0x58
	s_waitcnt lgkmcnt(0)
	s_ashr_i32 s13, s8, 31
	s_mov_b32 s12, s8
	s_mul_i32 s7, s28, s7
	s_mul_hi_u32 s8, s28, s6
	s_mul_i32 s10, s29, s6
	s_add_i32 s7, s8, s7
	s_add_i32 s7, s7, s10
	s_mul_i32 s6, s28, s6
	s_lshl_b64 s[6:7], s[6:7], 3
	s_add_u32 s8, s14, s6
	s_addc_u32 s10, s15, s7
	s_lshl_b64 s[6:7], s[12:13], 3
	s_add_u32 s6, s8, s6
	s_addc_u32 s7, s10, s7
.LBB186_5:
	s_mul_i32 s3, s28, s3
	s_waitcnt lgkmcnt(0)
	s_mul_hi_u32 s8, s28, s2
	s_load_dwordx4 s[20:23], s[4:5], 0x0
	s_add_i32 s3, s8, s3
	s_mul_i32 s8, s29, s2
	s_add_i32 s3, s3, s8
	s_mul_i32 s2, s28, s2
	s_lshl_b64 s[2:3], s[2:3], 2
	s_add_u32 s8, s0, s2
	s_waitcnt lgkmcnt(0)
	s_addc_u32 s23, s1, s3
	v_cmp_eq_u32_e32 vcc, 0, v0
	s_and_saveexec_b64 s[2:3], vcc
	s_cbranch_execz .LBB186_22
; %bb.6:
	s_load_dwordx8 s[12:19], s[4:5], 0x10
	s_waitcnt lgkmcnt(0)
	s_mul_i32 s0, s28, s15
	s_mul_hi_u32 s1, s28, s14
	s_mul_i32 s10, s29, s14
	s_add_i32 s0, s1, s0
	s_add_i32 s1, s0, s10
	s_mul_i32 s0, s28, s14
	s_lshl_b64 s[0:1], s[0:1], 2
	s_add_u32 s14, s12, s0
	s_addc_u32 s15, s13, s1
	s_load_dword s10, s[14:15], 0x0
	s_add_i32 s26, s20, -1
	s_cmp_lt_i32 s20, 2
	s_waitcnt lgkmcnt(0)
	v_mov_b32_e32 v3, s10
	s_cbranch_scc1 .LBB186_21
; %bb.7:
	s_mul_i32 s19, s28, s19
	s_mul_hi_u32 s27, s28, s18
	s_add_i32 s19, s27, s19
	s_mul_i32 s27, s29, s18
	s_add_i32 s19, s19, s27
	s_mul_i32 s18, s28, s18
	s_lshl_b64 s[18:19], s[18:19], 2
	s_add_u32 s30, s18, s16
	s_addc_u32 s31, s19, s17
	s_or_b32 s18, s22, s21
	s_cmp_lg_u32 s18, 0
	s_cselect_b64 s[18:19], -1, 0
	s_add_u32 s28, s8, 16
	s_addc_u32 s29, s23, 0
	s_load_dword s16, s[30:31], 0x0
	s_add_u32 s0, s0, s12
	s_addc_u32 s1, s1, s13
	s_add_u32 s12, s0, 4
	s_addc_u32 s13, s1, 0
	s_add_u32 s30, s30, 4
	s_mov_b32 s17, 0
	s_addc_u32 s31, s31, 0
	v_mov_b32_e32 v3, s10
	s_waitcnt lgkmcnt(0)
	v_mov_b32_e32 v4, s16
	s_mov_b32 s10, 0xf800000
	v_mov_b32_e32 v1, 0x260
	v_mov_b32_e32 v2, 0
	s_mov_b64 s[34:35], s[28:29]
	s_mov_b32 s27, 0
	s_branch .LBB186_9
.LBB186_8:                              ;   in Loop: Header=BB186_9 Depth=1
	s_add_i32 s27, s27, 1
	s_add_u32 s34, s34, 4
	s_addc_u32 s35, s35, 0
	s_add_u32 s12, s12, 4
	s_addc_u32 s13, s13, 0
	;; [unrolled: 2-line block ×3, first 2 shown]
	s_cmp_lg_u32 s26, s27
	s_waitcnt vmcnt(0)
	v_mul_f32_e32 v3, v5, v3
	s_cbranch_scc0 .LBB186_21
.LBB186_9:                              ; =>This Inner Loop Header: Depth=1
	v_cmp_eq_f32_e32 vcc, 0, v4
	s_cbranch_vccnz .LBB186_13
; %bb.10:                               ;   in Loop: Header=BB186_9 Depth=1
	v_cmp_neq_f32_e32 vcc, 0, v3
	s_cbranch_vccz .LBB186_14
; %bb.11:                               ;   in Loop: Header=BB186_9 Depth=1
	v_cmp_ngt_f32_e64 s[0:1], |v4|, |v3|
	s_and_b64 vcc, exec, s[0:1]
	s_cbranch_vccz .LBB186_15
; %bb.12:                               ;   in Loop: Header=BB186_9 Depth=1
	v_div_scale_f32 v5, s[0:1], v3, v3, -v4
	v_rcp_f32_e32 v6, v5
	v_div_scale_f32 v7, vcc, -v4, v3, -v4
	v_fma_f32 v8, -v5, v6, 1.0
	v_fmac_f32_e32 v6, v8, v6
	v_mul_f32_e32 v8, v7, v6
	v_fma_f32 v9, -v5, v8, v7
	v_fmac_f32_e32 v8, v9, v6
	v_fma_f32 v5, -v5, v8, v7
	v_div_fmas_f32 v5, v5, v6, v8
	v_div_fixup_f32 v6, v5, v3, -v4
	v_fma_f32 v5, v6, v6, 1.0
	v_mul_f32_e32 v7, 0x4f800000, v5
	v_cmp_gt_f32_e32 vcc, s10, v5
	v_cndmask_b32_e32 v5, v5, v7, vcc
	v_sqrt_f32_e32 v7, v5
	v_add_u32_e32 v8, -1, v7
	v_fma_f32 v9, -v8, v7, v5
	v_cmp_ge_f32_e64 s[0:1], 0, v9
	v_add_u32_e32 v9, 1, v7
	v_cndmask_b32_e64 v8, v7, v8, s[0:1]
	v_fma_f32 v7, -v9, v7, v5
	v_cmp_lt_f32_e64 s[0:1], 0, v7
	v_cndmask_b32_e64 v7, v8, v9, s[0:1]
	v_mul_f32_e32 v8, 0x37800000, v7
	v_cndmask_b32_e32 v7, v7, v8, vcc
	v_cmp_class_f32_e32 vcc, v5, v1
	v_cndmask_b32_e32 v5, v7, v5, vcc
	v_div_scale_f32 v7, s[0:1], v5, v5, 1.0
	v_rcp_f32_e32 v8, v7
	v_fma_f32 v9, -v7, v8, 1.0
	v_fmac_f32_e32 v8, v9, v8
	v_div_scale_f32 v9, vcc, 1.0, v5, 1.0
	v_mul_f32_e32 v10, v9, v8
	v_fma_f32 v11, -v7, v10, v9
	v_fmac_f32_e32 v10, v11, v8
	v_fma_f32 v7, -v7, v10, v9
	v_div_fmas_f32 v7, v7, v8, v10
	v_div_fixup_f32 v5, v7, v5, 1.0
	v_mul_f32_e32 v6, v6, v5
	s_cbranch_execz .LBB186_16
	s_branch .LBB186_17
.LBB186_13:                             ;   in Loop: Header=BB186_9 Depth=1
	v_mov_b32_e32 v6, 0
	v_mov_b32_e32 v5, 1.0
	s_branch .LBB186_19
.LBB186_14:                             ;   in Loop: Header=BB186_9 Depth=1
                                        ; implicit-def: $vgpr3
                                        ; implicit-def: $vgpr5
                                        ; implicit-def: $vgpr6
	s_cbranch_execnz .LBB186_18
	s_branch .LBB186_19
.LBB186_15:                             ;   in Loop: Header=BB186_9 Depth=1
                                        ; implicit-def: $vgpr5
                                        ; implicit-def: $vgpr6
.LBB186_16:                             ;   in Loop: Header=BB186_9 Depth=1
	v_div_scale_f32 v5, s[0:1], v4, v4, -v3
	v_rcp_f32_e32 v6, v5
	v_div_scale_f32 v7, vcc, -v3, v4, -v3
	v_fma_f32 v8, -v5, v6, 1.0
	v_fmac_f32_e32 v6, v8, v6
	v_mul_f32_e32 v8, v7, v6
	v_fma_f32 v9, -v5, v8, v7
	v_fmac_f32_e32 v8, v9, v6
	v_fma_f32 v5, -v5, v8, v7
	v_div_fmas_f32 v5, v5, v6, v8
	v_div_fixup_f32 v5, v5, v4, -v3
	v_fma_f32 v6, v5, v5, 1.0
	v_mul_f32_e32 v7, 0x4f800000, v6
	v_cmp_gt_f32_e32 vcc, s10, v6
	v_cndmask_b32_e32 v6, v6, v7, vcc
	v_sqrt_f32_e32 v7, v6
	v_add_u32_e32 v8, -1, v7
	v_fma_f32 v9, -v8, v7, v6
	v_cmp_ge_f32_e64 s[0:1], 0, v9
	v_add_u32_e32 v9, 1, v7
	v_cndmask_b32_e64 v8, v7, v8, s[0:1]
	v_fma_f32 v7, -v9, v7, v6
	v_cmp_lt_f32_e64 s[0:1], 0, v7
	v_cndmask_b32_e64 v7, v8, v9, s[0:1]
	v_mul_f32_e32 v8, 0x37800000, v7
	v_cndmask_b32_e32 v7, v7, v8, vcc
	v_cmp_class_f32_e32 vcc, v6, v1
	v_cndmask_b32_e32 v6, v7, v6, vcc
	v_div_scale_f32 v7, s[0:1], v6, v6, 1.0
	v_rcp_f32_e32 v8, v7
	v_fma_f32 v9, -v7, v8, 1.0
	v_fmac_f32_e32 v8, v9, v8
	v_div_scale_f32 v9, vcc, 1.0, v6, 1.0
	v_mul_f32_e32 v10, v9, v8
	v_fma_f32 v11, -v7, v10, v9
	v_fmac_f32_e32 v10, v11, v8
	v_fma_f32 v7, -v7, v10, v9
	v_div_fmas_f32 v7, v7, v8, v10
	v_div_fixup_f32 v6, v7, v6, 1.0
	v_mul_f32_e32 v5, v5, v6
.LBB186_17:                             ;   in Loop: Header=BB186_9 Depth=1
	v_mul_f32_e32 v7, v4, v6
	v_fma_f32 v3, v3, v5, -v7
	s_branch .LBB186_19
.LBB186_18:                             ;   in Loop: Header=BB186_9 Depth=1
	v_xor_b32_e32 v3, 0x80000000, v4
	v_mov_b32_e32 v5, 0
	v_mov_b32_e32 v6, 1.0
.LBB186_19:                             ;   in Loop: Header=BB186_9 Depth=1
	global_load_dword v7, v2, s[12:13]
	s_andn2_b64 vcc, exec, s[18:19]
	global_store_dword v2, v3, s[12:13] offset:-4
	global_load_dword v4, v2, s[30:31]
	s_waitcnt vmcnt(2)
	v_mul_f32_e64 v3, v7, -v6
	global_store_dword v2, v3, s[30:31] offset:-4
	global_load_dword v3, v2, s[12:13]
	s_cbranch_vccnz .LBB186_8
; %bb.20:                               ;   in Loop: Header=BB186_9 Depth=1
	s_add_i32 s16, s20, s27
	s_lshl_b64 s[0:1], s[16:17], 2
	s_add_u32 s0, s28, s0
	s_addc_u32 s1, s29, s1
	global_store_dword v2, v5, s[34:35]
	global_store_dword v2, v6, s[0:1]
	s_branch .LBB186_8
.LBB186_21:
	s_ashr_i32 s27, s26, 31
	s_lshl_b64 s[0:1], s[26:27], 2
	s_add_u32 s0, s14, s0
	s_addc_u32 s1, s15, s1
	v_mov_b32_e32 v1, 0
	global_store_dword v1, v3, s[0:1]
.LBB186_22:
	s_or_b64 exec, exec, s[2:3]
	v_cmp_gt_i32_e32 vcc, s21, v0
	s_barrier
	s_and_saveexec_b64 s[2:3], vcc
	s_cbranch_execz .LBB186_28
; %bb.23:
	s_load_dword s10, s[4:5], 0x8c
	s_add_i32 s28, s20, -1
	s_cmp_gt_i32 s20, 1
	s_cselect_b64 s[0:1], -1, 0
	s_mul_i32 s18, s28, s11
	s_waitcnt lgkmcnt(0)
	s_and_b32 s29, s10, 0xffff
	s_add_u32 s12, s8, 16
	s_addc_u32 s13, s23, 0
	s_ashr_i32 s19, s18, 31
	s_ashr_i32 s15, s11, 31
	s_mov_b32 s14, s11
	s_lshl_b64 s[10:11], s[14:15], 3
	s_mov_b32 s15, 0
	s_mov_b32 s14, s20
	v_cndmask_b32_e64 v2, 0, 1, s[0:1]
	s_lshl_b64 s[18:19], s[18:19], 3
	s_lshl_b64 s[14:15], s[14:15], 2
	s_mov_b64 s[16:17], 0
	v_mov_b32_e32 v1, s25
	v_cmp_ne_u32_e64 s[0:1], 1, v2
	v_mov_b32_e32 v10, 0
	v_mov_b32_e32 v11, s19
	;; [unrolled: 1-line block ×3, first 2 shown]
	s_branch .LBB186_25
.LBB186_24:                             ;   in Loop: Header=BB186_25 Depth=1
	v_add_co_u32_e32 v6, vcc, s18, v6
	v_addc_co_u32_e32 v7, vcc, v7, v11, vcc
	v_add_u32_e32 v2, s29, v2
	v_cmp_le_i32_e32 vcc, s21, v2
	s_or_b64 s[16:17], vcc, s[16:17]
	s_waitcnt vmcnt(0) lgkmcnt(0)
	flat_store_dwordx2 v[6:7], v[4:5]
	s_andn2_b64 exec, exec, s[16:17]
	s_cbranch_execz .LBB186_28
.LBB186_25:                             ; =>This Loop Header: Depth=1
                                        ;     Child Loop BB186_27 Depth 2
	v_ashrrev_i32_e32 v3, 31, v2
	v_lshlrev_b64 v[4:5], 3, v[2:3]
	v_add_co_u32_e32 v6, vcc, s24, v4
	v_addc_co_u32_e32 v7, vcc, v1, v5, vcc
	flat_load_dwordx2 v[4:5], v[6:7]
	s_and_b64 vcc, exec, s[0:1]
	s_cbranch_vccnz .LBB186_24
; %bb.26:                               ;   in Loop: Header=BB186_25 Depth=1
	s_mov_b32 s19, s28
	s_mov_b64 s[26:27], s[12:13]
	v_pk_mov_b32 v[8:9], v[6:7], v[6:7] op_sel:[0,1]
.LBB186_27:                             ;   Parent Loop BB186_25 Depth=1
                                        ; =>  This Inner Loop Header: Depth=2
	s_add_u32 s30, s26, s14
	v_mov_b32_e32 v3, s11
	v_add_co_u32_e32 v12, vcc, s10, v8
	s_addc_u32 s31, s27, s15
	v_addc_co_u32_e32 v13, vcc, v9, v3, vcc
	global_load_dword v14, v10, s[30:31]
	flat_load_dwordx2 v[16:17], v[12:13]
	global_load_dword v18, v10, s[26:27]
	s_add_u32 s26, s26, 4
	s_addc_u32 s27, s27, 0
	s_add_i32 s19, s19, -1
	s_cmp_lg_u32 s19, 0
	s_waitcnt vmcnt(0) lgkmcnt(0)
	v_mul_f32_e32 v3, v16, v14
	v_mul_f32_e32 v19, v17, v14
	v_pk_mul_f32 v[14:15], v[4:5], v[14:15] op_sel_hi:[1,0]
	v_fma_f32 v20, v4, v18, -v3
	v_fma_f32 v21, v5, v18, -v19
	v_pk_fma_f32 v[4:5], v[16:17], v[18:19], v[14:15] op_sel_hi:[1,0,1]
	flat_store_dwordx2 v[8:9], v[20:21]
	v_pk_mov_b32 v[8:9], v[12:13], v[12:13] op_sel:[0,1]
	s_cbranch_scc1 .LBB186_27
	s_branch .LBB186_24
.LBB186_28:
	s_or_b64 exec, exec, s[2:3]
	v_cmp_gt_i32_e32 vcc, s22, v0
	s_and_saveexec_b64 s[0:1], vcc
	s_cbranch_execz .LBB186_34
; %bb.29:
	s_load_dword s3, s[4:5], 0x8c
	s_add_i32 s2, s20, -1
	s_cmp_gt_i32 s20, 1
	s_cselect_b64 s[0:1], -1, 0
	s_mov_b32 s21, 0
	s_waitcnt lgkmcnt(0)
	s_and_b32 s18, s3, 0xffff
	s_add_u32 s4, s8, 16
	s_addc_u32 s5, s23, 0
	s_ashr_i32 s3, s2, 31
	v_cndmask_b32_e64 v3, 0, 1, s[0:1]
	s_lshl_b64 s[14:15], s[2:3], 3
	v_mul_lo_u32 v2, v0, s9
	s_mul_i32 s8, s9, s18
	s_lshl_b64 s[10:11], s[20:21], 2
	s_mov_b64 s[12:13], 0
	v_mov_b32_e32 v1, s7
	v_cmp_ne_u32_e64 s[0:1], 1, v3
	v_mov_b32_e32 v10, 0
	v_mov_b32_e32 v11, s15
	s_branch .LBB186_31
.LBB186_30:                             ;   in Loop: Header=BB186_31 Depth=1
	v_add_co_u32_e32 v4, vcc, s14, v4
	v_addc_co_u32_e32 v5, vcc, v5, v11, vcc
	v_add_u32_e32 v0, s18, v0
	v_cmp_le_i32_e32 vcc, s22, v0
	s_or_b64 s[12:13], vcc, s[12:13]
	v_add_u32_e32 v2, s8, v2
	s_waitcnt vmcnt(0) lgkmcnt(0)
	flat_store_dwordx2 v[4:5], v[6:7]
	s_andn2_b64 exec, exec, s[12:13]
	s_cbranch_execz .LBB186_34
.LBB186_31:                             ; =>This Loop Header: Depth=1
                                        ;     Child Loop BB186_33 Depth 2
	v_mul_lo_u32 v4, v0, s9
	v_ashrrev_i32_e32 v5, 31, v4
	v_lshlrev_b64 v[4:5], 3, v[4:5]
	v_add_co_u32_e32 v4, vcc, s6, v4
	v_addc_co_u32_e32 v5, vcc, v1, v5, vcc
	flat_load_dwordx2 v[6:7], v[4:5]
	s_and_b64 vcc, exec, s[0:1]
	s_cbranch_vccnz .LBB186_30
; %bb.32:                               ;   in Loop: Header=BB186_31 Depth=1
	v_ashrrev_i32_e32 v3, 31, v2
	v_lshlrev_b64 v[8:9], 3, v[2:3]
	v_add_co_u32_e32 v8, vcc, s6, v8
	v_addc_co_u32_e32 v9, vcc, v1, v9, vcc
	s_mov_b32 s3, s2
	s_mov_b64 s[16:17], s[4:5]
.LBB186_33:                             ;   Parent Loop BB186_31 Depth=1
                                        ; =>  This Inner Loop Header: Depth=2
	s_add_u32 s20, s16, s10
	s_addc_u32 s21, s17, s11
	flat_load_dwordx2 v[12:13], v[8:9] offset:8
	global_load_dword v14, v10, s[16:17]
	global_load_dword v16, v10, s[20:21]
	v_add_co_u32_e32 v18, vcc, 8, v8
	s_add_u32 s16, s16, 4
	v_addc_co_u32_e32 v19, vcc, 0, v9, vcc
	s_addc_u32 s17, s17, 0
	s_add_i32 s3, s3, -1
	s_cmp_lg_u32 s3, 0
	s_waitcnt vmcnt(0) lgkmcnt(0)
	v_mul_f32_e32 v3, v12, v16
	v_mul_f32_e32 v15, v13, v16
	v_pk_mul_f32 v[16:17], v[6:7], v[16:17] op_sel_hi:[1,0]
	v_fma_f32 v20, v6, v14, -v3
	v_fma_f32 v21, v7, v14, -v15
	v_pk_fma_f32 v[6:7], v[12:13], v[14:15], v[16:17] op_sel_hi:[1,0,1]
	flat_store_dwordx2 v[8:9], v[20:21]
	v_pk_mov_b32 v[8:9], v[18:19], v[18:19] op_sel:[0,1]
	s_cbranch_scc1 .LBB186_33
	s_branch .LBB186_30
.LBB186_34:
	s_endpgm
	.section	.rodata,"a",@progbits
	.p2align	6, 0x0
	.amdhsa_kernel _ZN9rocsolver6v33100L17bdsqr_lower2upperI19rocblas_complex_numIfEfPS3_S4_EEviiiPT0_lS6_lT1_iilT2_iilPiS6_lS9_
		.amdhsa_group_segment_fixed_size 0
		.amdhsa_private_segment_fixed_size 0
		.amdhsa_kernarg_size 384
		.amdhsa_user_sgpr_count 6
		.amdhsa_user_sgpr_private_segment_buffer 1
		.amdhsa_user_sgpr_dispatch_ptr 0
		.amdhsa_user_sgpr_queue_ptr 0
		.amdhsa_user_sgpr_kernarg_segment_ptr 1
		.amdhsa_user_sgpr_dispatch_id 0
		.amdhsa_user_sgpr_flat_scratch_init 0
		.amdhsa_user_sgpr_kernarg_preload_length 0
		.amdhsa_user_sgpr_kernarg_preload_offset 0
		.amdhsa_user_sgpr_private_segment_size 0
		.amdhsa_uses_dynamic_stack 0
		.amdhsa_system_sgpr_private_segment_wavefront_offset 0
		.amdhsa_system_sgpr_workgroup_id_x 1
		.amdhsa_system_sgpr_workgroup_id_y 1
		.amdhsa_system_sgpr_workgroup_id_z 0
		.amdhsa_system_sgpr_workgroup_info 0
		.amdhsa_system_vgpr_workitem_id 0
		.amdhsa_next_free_vgpr 22
		.amdhsa_next_free_sgpr 36
		.amdhsa_accum_offset 24
		.amdhsa_reserve_vcc 1
		.amdhsa_reserve_flat_scratch 0
		.amdhsa_float_round_mode_32 0
		.amdhsa_float_round_mode_16_64 0
		.amdhsa_float_denorm_mode_32 3
		.amdhsa_float_denorm_mode_16_64 3
		.amdhsa_dx10_clamp 1
		.amdhsa_ieee_mode 1
		.amdhsa_fp16_overflow 0
		.amdhsa_tg_split 0
		.amdhsa_exception_fp_ieee_invalid_op 0
		.amdhsa_exception_fp_denorm_src 0
		.amdhsa_exception_fp_ieee_div_zero 0
		.amdhsa_exception_fp_ieee_overflow 0
		.amdhsa_exception_fp_ieee_underflow 0
		.amdhsa_exception_fp_ieee_inexact 0
		.amdhsa_exception_int_div_zero 0
	.end_amdhsa_kernel
	.section	.text._ZN9rocsolver6v33100L17bdsqr_lower2upperI19rocblas_complex_numIfEfPS3_S4_EEviiiPT0_lS6_lT1_iilT2_iilPiS6_lS9_,"axG",@progbits,_ZN9rocsolver6v33100L17bdsqr_lower2upperI19rocblas_complex_numIfEfPS3_S4_EEviiiPT0_lS6_lT1_iilT2_iilPiS6_lS9_,comdat
.Lfunc_end186:
	.size	_ZN9rocsolver6v33100L17bdsqr_lower2upperI19rocblas_complex_numIfEfPS3_S4_EEviiiPT0_lS6_lT1_iilT2_iilPiS6_lS9_, .Lfunc_end186-_ZN9rocsolver6v33100L17bdsqr_lower2upperI19rocblas_complex_numIfEfPS3_S4_EEviiiPT0_lS6_lT1_iilT2_iilPiS6_lS9_
                                        ; -- End function
	.section	.AMDGPU.csdata,"",@progbits
; Kernel info:
; codeLenInByte = 1988
; NumSgprs: 40
; NumVgprs: 22
; NumAgprs: 0
; TotalNumVgprs: 22
; ScratchSize: 0
; MemoryBound: 0
; FloatMode: 240
; IeeeMode: 1
; LDSByteSize: 0 bytes/workgroup (compile time only)
; SGPRBlocks: 4
; VGPRBlocks: 2
; NumSGPRsForWavesPerEU: 40
; NumVGPRsForWavesPerEU: 22
; AccumOffset: 24
; Occupancy: 8
; WaveLimiterHint : 0
; COMPUTE_PGM_RSRC2:SCRATCH_EN: 0
; COMPUTE_PGM_RSRC2:USER_SGPR: 6
; COMPUTE_PGM_RSRC2:TRAP_HANDLER: 0
; COMPUTE_PGM_RSRC2:TGID_X_EN: 1
; COMPUTE_PGM_RSRC2:TGID_Y_EN: 1
; COMPUTE_PGM_RSRC2:TGID_Z_EN: 0
; COMPUTE_PGM_RSRC2:TIDIG_COMP_CNT: 0
; COMPUTE_PGM_RSRC3_GFX90A:ACCUM_OFFSET: 5
; COMPUTE_PGM_RSRC3_GFX90A:TG_SPLIT: 0
	.section	.text._ZN9rocsolver6v33100L13bdsqr_computeILi256E19rocblas_complex_numIfEfPS3_S4_S4_EEviiiiPT1_lS6_lT2_iilT3_iilT4_iiliS5_S5_S5_S5_PiS6_ilSA_,"axG",@progbits,_ZN9rocsolver6v33100L13bdsqr_computeILi256E19rocblas_complex_numIfEfPS3_S4_S4_EEviiiiPT1_lS6_lT2_iilT3_iilT4_iiliS5_S5_S5_S5_PiS6_ilSA_,comdat
	.globl	_ZN9rocsolver6v33100L13bdsqr_computeILi256E19rocblas_complex_numIfEfPS3_S4_S4_EEviiiiPT1_lS6_lT2_iilT3_iilT4_iiliS5_S5_S5_S5_PiS6_ilSA_ ; -- Begin function _ZN9rocsolver6v33100L13bdsqr_computeILi256E19rocblas_complex_numIfEfPS3_S4_S4_EEviiiiPT1_lS6_lT2_iilT3_iilT4_iiliS5_S5_S5_S5_PiS6_ilSA_
	.p2align	8
	.type	_ZN9rocsolver6v33100L13bdsqr_computeILi256E19rocblas_complex_numIfEfPS3_S4_S4_EEviiiiPT1_lS6_lT2_iilT3_iilT4_iiliS5_S5_S5_S5_PiS6_ilSA_,@function
_ZN9rocsolver6v33100L13bdsqr_computeILi256E19rocblas_complex_numIfEfPS3_S4_S4_EEviiiiPT1_lS6_lT2_iilT3_iilT4_iiliS5_S5_S5_S5_PiS6_ilSA_: ; @_ZN9rocsolver6v33100L13bdsqr_computeILi256E19rocblas_complex_numIfEfPS3_S4_S4_EEviiiiPT1_lS6_lT2_iilT3_iilT4_iiliS5_S5_S5_S5_PiS6_ilSA_
; %bb.0:
	s_load_dwordx4 s[0:3], s[4:5], 0xa8
	s_ashr_i32 s9, s8, 31
	s_lshl_b64 s[10:11], s[8:9], 2
	s_waitcnt lgkmcnt(0)
	s_add_u32 s2, s2, s10
	s_addc_u32 s3, s3, s11
	s_load_dword s2, s[2:3], 0x8
	s_waitcnt lgkmcnt(0)
	s_cmp_lg_u32 s2, 0
	s_cbranch_scc1 .LBB187_181
; %bb.1:
	s_load_dwordx8 s[20:27], s[4:5], 0x30
	s_mov_b64 s[34:35], 0
	s_mov_b64 s[40:41], 0
	s_waitcnt lgkmcnt(0)
	s_cmp_eq_u64 s[20:21], 0
	s_cbranch_scc1 .LBB187_3
; %bb.2:
	s_mul_i32 s6, s8, s25
	s_mul_hi_u32 s10, s8, s24
	s_add_i32 s6, s10, s6
	s_mul_i32 s10, s9, s24
	s_add_i32 s11, s6, s10
	s_mul_i32 s10, s8, s24
	s_ashr_i32 s3, s22, 31
	s_lshl_b64 s[10:11], s[10:11], 3
	s_mov_b32 s2, s22
	s_add_u32 s6, s20, s10
	s_addc_u32 s10, s21, s11
	s_lshl_b64 s[2:3], s[2:3], 3
	s_add_u32 s40, s6, s2
	s_addc_u32 s41, s10, s3
.LBB187_3:
	s_load_dwordx2 s[88:89], s[4:5], 0x50
	s_load_dwordx4 s[12:15], s[4:5], 0x58
	s_cmp_eq_u64 s[26:27], 0
	s_cbranch_scc1 .LBB187_5
; %bb.4:
	s_waitcnt lgkmcnt(0)
	s_mul_i32 s6, s8, s13
	s_mul_hi_u32 s10, s8, s12
	s_add_i32 s6, s10, s6
	s_mul_i32 s10, s9, s12
	s_add_i32 s11, s6, s10
	s_mul_i32 s10, s8, s12
	s_ashr_i32 s3, s88, 31
	s_lshl_b64 s[10:11], s[10:11], 3
	s_mov_b32 s2, s88
	s_add_u32 s6, s26, s10
	s_addc_u32 s10, s27, s11
	s_lshl_b64 s[2:3], s[2:3], 3
	s_add_u32 s34, s6, s2
	s_addc_u32 s35, s10, s3
.LBB187_5:
	s_load_dwordx2 s[42:43], s[4:5], 0x68
	s_waitcnt lgkmcnt(0)
	s_cmp_eq_u64 s[14:15], 0
	s_mov_b64 s[44:45], 0
	s_cbranch_scc1 .LBB187_7
; %bb.6:
	s_load_dwordx2 s[2:3], s[4:5], 0x70
	s_ashr_i32 s11, s42, 31
	s_mov_b32 s10, s42
	s_waitcnt lgkmcnt(0)
	s_mul_i32 s3, s8, s3
	s_mul_hi_u32 s6, s8, s2
	s_mul_i32 s12, s9, s2
	s_add_i32 s3, s6, s3
	s_add_i32 s3, s3, s12
	s_mul_i32 s2, s8, s2
	s_lshl_b64 s[2:3], s[2:3], 3
	s_add_u32 s6, s14, s2
	s_addc_u32 s12, s15, s3
	s_lshl_b64 s[2:3], s[10:11], 3
	s_add_u32 s44, s6, s2
	s_addc_u32 s45, s12, s3
.LBB187_7:
	s_load_dwordx4 s[12:15], s[4:5], 0x90
	s_mul_i32 s1, s8, s1
	s_mul_hi_u32 s2, s8, s0
	s_add_i32 s1, s2, s1
	s_mul_i32 s2, s9, s0
	s_add_i32 s1, s1, s2
	s_mul_i32 s0, s8, s0
	s_lshl_b64 s[56:57], s[0:1], 2
	s_waitcnt lgkmcnt(0)
	s_add_u32 s46, s14, s56
	s_addc_u32 s47, s15, s57
	s_load_dword s0, s[46:47], 0x8
	s_waitcnt lgkmcnt(0)
	v_cvt_i32_f32_e32 v1, s0
	v_cmp_ge_i32_e32 vcc, s7, v1
	s_cbranch_vccnz .LBB187_181
; %bb.8:
	s_load_dwordx4 s[36:39], s[4:5], 0x0
	s_load_dwordx8 s[24:31], s[4:5], 0x10
                                        ; implicit-def: $vgpr38 : SGPR spill to VGPR lane
	v_lshlrev_b32_e32 v14, 2, v0
	v_mul_lo_u32 v20, v0, s23
	v_mul_lo_u32 v22, v0, s43
	s_waitcnt lgkmcnt(0)
	s_mul_i32 s0, s8, s36
	s_lshl_b32 s0, s0, 1
	s_ashr_i32 s1, s0, 31
	s_lshl_b64 s[0:1], s[0:1], 2
	s_mul_i32 s2, s8, s27
	s_mul_hi_u32 s3, s8, s26
	s_add_u32 s6, s12, s0
	s_addc_u32 s20, s13, s1
	s_add_i32 s0, s3, s2
	s_mul_i32 s1, s9, s26
	s_add_i32 s1, s0, s1
	s_mul_i32 s0, s8, s26
	s_lshl_b64 s[0:1], s[0:1], 2
	s_add_u32 s22, s24, s0
	s_addc_u32 s33, s25, s1
	s_mul_i32 s0, s8, s31
	s_mul_hi_u32 s1, s8, s30
	s_add_i32 s0, s1, s0
	s_mul_i32 s1, s9, s30
	s_add_i32 s1, s0, s1
	s_mul_i32 s0, s8, s30
	v_writelane_b32 v38, s0, 0
	s_lshl_b64 s[10:11], s[0:1], 2
	s_add_u32 s36, s28, s10
	s_addc_u32 s42, s29, s11
	s_cmp_lg_u32 s37, 0
	s_cselect_b64 s[26:27], -1, 0
	s_or_b32 s8, s39, s38
	s_cmp_eq_u32 s8, 0
	v_writelane_b32 v38, s1, 1
	s_cselect_b64 s[8:9], -1, 0
	v_writelane_b32 v38, s8, 2
	s_cmp_lg_u64 s[40:41], 0
	v_writelane_b32 v38, s9, 3
	s_cselect_b64 s[8:9], -1, 0
	s_and_b64 s[90:91], s[26:27], s[8:9]
	s_add_u32 s50, s4, 0xb8
	s_addc_u32 s51, s5, 0
	s_cmp_lg_u64 s[34:35], 0
	s_cselect_b64 s[8:9], -1, 0
	s_cmp_lg_u32 s38, 0
	s_cselect_b64 s[12:13], -1, 0
	s_and_b64 s[86:87], s[12:13], s[8:9]
	s_cmp_lg_u64 s[44:45], 0
	s_cselect_b64 s[8:9], -1, 0
	s_cmp_lg_u32 s39, 0
	s_cselect_b64 s[12:13], -1, 0
	s_and_b64 s[8:9], s[12:13], s[8:9]
	v_writelane_b32 v38, s8, 4
	v_writelane_b32 v38, s9, 5
	v_cmp_gt_i32_e64 s[8:9], s39, v0
	v_writelane_b32 v38, s8, 6
	v_writelane_b32 v38, s9, 7
	s_add_u32 s8, s22, -4
	v_writelane_b32 v38, s8, 8
	s_addc_u32 s8, s33, -1
	s_add_u32 s9, s14, s56
	v_writelane_b32 v38, s8, 9
	s_addc_u32 s12, s15, s57
	s_load_dwordx2 s[56:57], s[4:5], 0x78
	s_load_dwordx2 s[58:59], s[4:5], 0x84
	s_load_dword s77, s[4:5], 0xa0
	s_load_dword s8, s[4:5], 0xbc
	v_writelane_b32 v38, s9, 10
	s_add_u32 s4, s9, 12
	v_writelane_b32 v38, s4, 11
	v_writelane_b32 v38, s12, 12
	s_addc_u32 s4, s12, 0
	v_writelane_b32 v38, s4, 13
	s_add_u32 s4, s28, -4
	s_addc_u32 s5, s29, -1
	v_writelane_b32 v38, s4, 14
	s_add_u32 s4, s4, s10
	v_writelane_b32 v38, s4, 15
	v_writelane_b32 v38, s5, 16
	s_addc_u32 s4, s5, s11
	v_mov_b32_e32 v2, s33
	v_add_co_u32_e32 v16, vcc, s22, v14
	v_writelane_b32 v38, s4, 17
	v_addc_co_u32_e32 v17, vcc, 0, v2, vcc
	v_writelane_b32 v38, s86, 18
	s_movk_i32 s0, 0x80
	v_cmp_gt_i32_e64 s[94:95], s38, v0
	v_mov_b32_e32 v2, s42
	v_add_co_u32_e32 v18, vcc, s36, v14
	v_writelane_b32 v38, s87, 19
	v_cmp_gt_u32_e64 s[0:1], s0, v0
	v_cmp_gt_u32_e64 s[2:3], 64, v0
	v_cmp_eq_u32_e64 s[16:17], 0, v0
	v_cmp_gt_i32_e64 s[92:93], s37, v0
	v_mov_b32_e32 v15, 0
	v_addc_co_u32_e32 v19, vcc, 0, v2, vcc
	v_add_u32_e32 v21, -1, v20
	v_add_u32_e32 v23, -1, v22
	s_mov_b32 s11, 0xf800000
	v_mov_b32_e32 v24, 0x260
	v_mov_b32_e32 v25, 1
	v_writelane_b32 v38, s94, 20
	v_writelane_b32 v38, s95, 21
	s_branch .LBB187_11
.LBB187_9:                              ;   in Loop: Header=BB187_11 Depth=1
	s_or_b64 exec, exec, s[12:13]
.LBB187_10:                             ;   in Loop: Header=BB187_11 Depth=1
	s_waitcnt lgkmcnt(0)
	s_add_i32 s7, s8, s7
	v_cmp_lt_i32_e32 vcc, s7, v1
	s_cbranch_vccz .LBB187_181
.LBB187_11:                             ; =>This Loop Header: Depth=1
                                        ;     Child Loop BB187_15 Depth 2
                                        ;     Child Loop BB187_40 Depth 2
	;; [unrolled: 1-line block ×5, first 2 shown]
                                        ;       Child Loop BB187_164 Depth 3
                                        ;     Child Loop BB187_170 Depth 2
                                        ;       Child Loop BB187_172 Depth 3
                                        ;     Child Loop BB187_178 Depth 2
                                        ;       Child Loop BB187_180 Depth 3
	s_lshl_b32 s4, s7, 2
	s_ashr_i32 s5, s4, 31
	s_lshl_b64 s[4:5], s[4:5], 2
	s_add_u32 s12, s6, s4
	s_addc_u32 s13, s20, s5
	global_load_dwordx2 v[2:3], v15, s[12:13] offset:4
	s_waitcnt vmcnt(0)
	v_readfirstlane_b32 s62, v2
	v_readfirstlane_b32 s60, v3
	s_cmp_le_i32 s60, s62
	s_cbranch_scc1 .LBB187_10
; %bb.12:                               ;   in Loop: Header=BB187_11 Depth=1
	global_load_dword v2, v15, s[12:13] offset:12
	s_waitcnt vmcnt(0) lgkmcnt(0)
	v_cmp_le_i32_e32 vcc, s56, v2
	s_cbranch_vccnz .LBB187_10
; %bb.13:                               ;   in Loop: Header=BB187_11 Depth=1
	s_sub_i32 s28, s60, s62
	s_ashr_i32 s63, s62, 31
	v_cmp_ge_i32_e32 vcc, s28, v0
	v_mov_b32_e32 v4, 0
	s_and_saveexec_b64 s[4:5], vcc
	s_cbranch_execz .LBB187_17
; %bb.14:                               ;   in Loop: Header=BB187_11 Depth=1
	s_lshl_b64 s[14:15], s[62:63], 2
	v_mov_b32_e32 v3, s15
	v_add_co_u32_e32 v2, vcc, s14, v16
	v_addc_co_u32_e32 v3, vcc, v17, v3, vcc
	s_mov_b64 s[14:15], 0
	v_mov_b32_e32 v4, 0
	v_mov_b32_e32 v5, v0
.LBB187_15:                             ;   Parent Loop BB187_11 Depth=1
                                        ; =>  This Inner Loop Header: Depth=2
	global_load_dword v6, v[2:3], off
	v_add_co_u32_e32 v2, vcc, 0x400, v2
	v_add_u32_e32 v5, 0x100, v5
	v_addc_co_u32_e32 v3, vcc, 0, v3, vcc
	v_cmp_lt_i32_e32 vcc, s28, v5
	s_or_b64 s[14:15], vcc, s[14:15]
	s_waitcnt vmcnt(0)
	v_cmp_lt_f32_e64 s[24:25], v4, |v6|
	v_cndmask_b32_e64 v4, v4, |v6|, s[24:25]
	s_andn2_b64 exec, exec, s[14:15]
	s_cbranch_execnz .LBB187_15
; %bb.16:                               ;   in Loop: Header=BB187_11 Depth=1
	s_or_b64 exec, exec, s[14:15]
.LBB187_17:                             ;   in Loop: Header=BB187_11 Depth=1
	s_or_b64 exec, exec, s[4:5]
	s_cmp_lt_i32 s28, 1
	ds_write_b32 v14, v4
	s_waitcnt lgkmcnt(0)
	s_barrier
	s_cbranch_scc1 .LBB187_38
; %bb.18:                               ;   in Loop: Header=BB187_11 Depth=1
	s_and_saveexec_b64 s[4:5], s[0:1]
	s_cbranch_execz .LBB187_22
; %bb.19:                               ;   in Loop: Header=BB187_11 Depth=1
	ds_read_b32 v2, v14 offset:512
	s_waitcnt lgkmcnt(0)
	v_cmp_lt_f32_e32 vcc, v4, v2
	s_and_saveexec_b64 s[14:15], vcc
	s_cbranch_execz .LBB187_21
; %bb.20:                               ;   in Loop: Header=BB187_11 Depth=1
	v_mov_b32_e32 v4, v2
	ds_write_b32 v14, v2
.LBB187_21:                             ;   in Loop: Header=BB187_11 Depth=1
	s_or_b64 exec, exec, s[14:15]
.LBB187_22:                             ;   in Loop: Header=BB187_11 Depth=1
	s_or_b64 exec, exec, s[4:5]
	s_waitcnt lgkmcnt(0)
	s_barrier
	s_and_saveexec_b64 s[4:5], s[2:3]
	s_cbranch_execz .LBB187_37
; %bb.23:                               ;   in Loop: Header=BB187_11 Depth=1
	ds_read_b32 v2, v14 offset:256
	s_waitcnt lgkmcnt(0)
	v_cmp_lt_f32_e32 vcc, v4, v2
	s_and_saveexec_b64 s[14:15], vcc
	s_cbranch_execz .LBB187_25
; %bb.24:                               ;   in Loop: Header=BB187_11 Depth=1
	v_mov_b32_e32 v4, v2
	ds_write_b32 v14, v2
.LBB187_25:                             ;   in Loop: Header=BB187_11 Depth=1
	s_or_b64 exec, exec, s[14:15]
	ds_read_b32 v2, v14 offset:128
	s_waitcnt lgkmcnt(0)
	v_cmp_lt_f32_e32 vcc, v4, v2
	s_and_saveexec_b64 s[14:15], vcc
	s_cbranch_execz .LBB187_27
; %bb.26:                               ;   in Loop: Header=BB187_11 Depth=1
	v_mov_b32_e32 v4, v2
	ds_write_b32 v14, v2
.LBB187_27:                             ;   in Loop: Header=BB187_11 Depth=1
	s_or_b64 exec, exec, s[14:15]
	;; [unrolled: 10-line block ×6, first 2 shown]
	ds_read_b32 v2, v14 offset:4
	s_waitcnt lgkmcnt(0)
	v_cmp_lt_f32_e32 vcc, v4, v2
	s_and_b64 exec, exec, vcc
	s_cbranch_execz .LBB187_37
; %bb.36:                               ;   in Loop: Header=BB187_11 Depth=1
	ds_write_b32 v14, v2
.LBB187_37:                             ;   in Loop: Header=BB187_11 Depth=1
	s_or_b64 exec, exec, s[4:5]
.LBB187_38:                             ;   in Loop: Header=BB187_11 Depth=1
	v_cmp_gt_i32_e32 vcc, s28, v0
	v_mov_b32_e32 v4, 0
	s_waitcnt lgkmcnt(0)
	s_barrier
	s_and_saveexec_b64 s[4:5], vcc
	s_cbranch_execz .LBB187_42
; %bb.39:                               ;   in Loop: Header=BB187_11 Depth=1
	s_lshl_b64 s[14:15], s[62:63], 2
	v_mov_b32_e32 v3, s15
	v_add_co_u32_e32 v2, vcc, s14, v18
	v_addc_co_u32_e32 v3, vcc, v19, v3, vcc
	s_mov_b64 s[14:15], 0
	v_mov_b32_e32 v4, 0
	v_mov_b32_e32 v5, v0
.LBB187_40:                             ;   Parent Loop BB187_11 Depth=1
                                        ; =>  This Inner Loop Header: Depth=2
	global_load_dword v6, v[2:3], off
	v_add_co_u32_e32 v2, vcc, 0x400, v2
	v_add_u32_e32 v5, 0x100, v5
	v_addc_co_u32_e32 v3, vcc, 0, v3, vcc
	v_cmp_le_i32_e32 vcc, s28, v5
	s_or_b64 s[14:15], vcc, s[14:15]
	s_waitcnt vmcnt(0)
	v_cmp_lt_f32_e64 s[24:25], v4, |v6|
	v_cndmask_b32_e64 v4, v4, |v6|, s[24:25]
	s_andn2_b64 exec, exec, s[14:15]
	s_cbranch_execnz .LBB187_40
; %bb.41:                               ;   in Loop: Header=BB187_11 Depth=1
	s_or_b64 exec, exec, s[14:15]
.LBB187_42:                             ;   in Loop: Header=BB187_11 Depth=1
	s_or_b64 exec, exec, s[4:5]
	s_cmp_lt_i32 s28, 2
	ds_write_b32 v14, v4 offset:4
	s_waitcnt lgkmcnt(0)
	s_barrier
	s_cbranch_scc1 .LBB187_63
; %bb.43:                               ;   in Loop: Header=BB187_11 Depth=1
	s_and_saveexec_b64 s[4:5], s[0:1]
	s_cbranch_execz .LBB187_47
; %bb.44:                               ;   in Loop: Header=BB187_11 Depth=1
	ds_read_b32 v2, v14 offset:516
	s_waitcnt lgkmcnt(0)
	v_cmp_lt_f32_e32 vcc, v4, v2
	s_and_saveexec_b64 s[14:15], vcc
	s_cbranch_execz .LBB187_46
; %bb.45:                               ;   in Loop: Header=BB187_11 Depth=1
	v_mov_b32_e32 v4, v2
	ds_write_b32 v14, v2 offset:4
.LBB187_46:                             ;   in Loop: Header=BB187_11 Depth=1
	s_or_b64 exec, exec, s[14:15]
.LBB187_47:                             ;   in Loop: Header=BB187_11 Depth=1
	s_or_b64 exec, exec, s[4:5]
	s_waitcnt lgkmcnt(0)
	s_barrier
	s_and_saveexec_b64 s[4:5], s[2:3]
	s_cbranch_execz .LBB187_62
; %bb.48:                               ;   in Loop: Header=BB187_11 Depth=1
	ds_read_b32 v2, v14 offset:260
	s_waitcnt lgkmcnt(0)
	v_cmp_lt_f32_e32 vcc, v4, v2
	s_and_saveexec_b64 s[14:15], vcc
	s_cbranch_execz .LBB187_50
; %bb.49:                               ;   in Loop: Header=BB187_11 Depth=1
	v_mov_b32_e32 v4, v2
	ds_write_b32 v14, v2 offset:4
.LBB187_50:                             ;   in Loop: Header=BB187_11 Depth=1
	s_or_b64 exec, exec, s[14:15]
	ds_read_b32 v2, v14 offset:132
	s_waitcnt lgkmcnt(0)
	v_cmp_lt_f32_e32 vcc, v4, v2
	s_and_saveexec_b64 s[14:15], vcc
	s_cbranch_execz .LBB187_52
; %bb.51:                               ;   in Loop: Header=BB187_11 Depth=1
	v_mov_b32_e32 v4, v2
	ds_write_b32 v14, v2 offset:4
.LBB187_52:                             ;   in Loop: Header=BB187_11 Depth=1
	s_or_b64 exec, exec, s[14:15]
	;; [unrolled: 10-line block ×6, first 2 shown]
	ds_read_b32 v2, v14 offset:8
	s_waitcnt lgkmcnt(0)
	v_cmp_lt_f32_e32 vcc, v4, v2
	s_and_b64 exec, exec, vcc
	s_cbranch_execz .LBB187_62
; %bb.61:                               ;   in Loop: Header=BB187_11 Depth=1
	ds_write_b32 v14, v2 offset:4
.LBB187_62:                             ;   in Loop: Header=BB187_11 Depth=1
	s_or_b64 exec, exec, s[4:5]
.LBB187_63:                             ;   in Loop: Header=BB187_11 Depth=1
	s_lshl_b64 s[64:65], s[62:63], 2
	s_add_u32 s9, s36, s64
	s_addc_u32 s10, s42, s65
	s_add_u32 s14, s22, s64
	s_addc_u32 s15, s33, s65
	s_waitcnt lgkmcnt(0)
	s_barrier
	s_and_saveexec_b64 s[66:67], s[16:17]
	s_cbranch_execz .LBB187_78
; %bb.64:                               ;   in Loop: Header=BB187_11 Depth=1
	s_ashr_i32 s61, s60, 31
	s_lshl_b64 s[4:5], s[60:61], 2
	s_add_u32 s4, s22, s4
	s_addc_u32 s5, s33, s5
	global_load_dword v3, v15, s[14:15]
	global_load_dword v4, v15, s[4:5]
	s_ashr_i32 s29, s28, 31
	s_lshl_b64 s[4:5], s[28:29], 2
	s_add_u32 s21, s14, s4
	s_addc_u32 s29, s15, s5
	s_waitcnt vmcnt(0)
	v_cmp_ge_f32_e64 s[4:5], |v3|, |v4|
	s_and_b64 s[24:25], s[4:5], exec
	s_cselect_b32 s25, s15, s29
	s_cselect_b32 s24, s14, s21
	global_load_dword v5, v15, s[24:25]
	v_cndmask_b32_e64 v2, 0, 1, s[4:5]
	ds_write_b32 v15, v2 offset:1028
	s_cmp_lt_i32 s28, 1
	s_waitcnt vmcnt(0)
	v_and_b32_e32 v2, 0x7fffffff, v5
	s_cbranch_scc1 .LBB187_71
; %bb.65:                               ;   in Loop: Header=BB187_11 Depth=1
	s_not_b32 s21, s62
	s_add_i32 s21, s21, s60
	s_mov_b32 s24, 0
	v_mov_b32_e32 v5, v2
	s_branch .LBB187_67
.LBB187_66:                             ;   in Loop: Header=BB187_67 Depth=2
	s_add_i32 s24, s24, 1
	s_and_b64 s[48:49], s[4:5], exec
	s_cselect_b32 s48, s24, s21
	s_ashr_i32 s49, s48, 31
	s_lshl_b64 s[48:49], s[48:49], 2
	s_add_u32 s48, s14, s48
	s_addc_u32 s49, s15, s49
	global_load_dword v7, v15, s[48:49]
	v_add_f32_e64 v6, v5, |v6|
	v_div_scale_f32 v8, s[48:49], v6, v6, v5
	v_rcp_f32_e32 v9, v8
	v_div_scale_f32 v10, vcc, v5, v6, v5
	s_add_i32 s21, s21, -1
	v_fma_f32 v11, -v8, v9, 1.0
	v_fmac_f32_e32 v9, v11, v9
	v_mul_f32_e32 v11, v10, v9
	v_fma_f32 v12, -v8, v11, v10
	v_fmac_f32_e32 v11, v12, v9
	v_fma_f32 v8, -v8, v11, v10
	v_div_fmas_f32 v8, v8, v9, v11
	v_div_fixup_f32 v5, v8, v6, v5
	s_cmp_eq_u32 s21, -1
	s_mov_b64 s[68:69], 0
	s_cselect_b64 s[70:71], -1, 0
	s_waitcnt vmcnt(0)
	v_mul_f32_e64 v5, v5, |v7|
	v_cmp_lt_f32_e32 vcc, v5, v2
	v_cndmask_b32_e32 v2, v2, v5, vcc
	s_andn2_b64 vcc, exec, s[70:71]
	s_cbranch_vccz .LBB187_69
.LBB187_67:                             ;   Parent Loop BB187_11 Depth=1
                                        ; =>  This Inner Loop Header: Depth=2
	s_and_b64 s[30:31], s[4:5], exec
	s_cselect_b32 s30, s24, s21
	s_ashr_i32 s31, s30, 31
	s_lshl_b64 s[30:31], s[30:31], 2
	s_add_u32 s30, s9, s30
	s_addc_u32 s31, s10, s31
	global_load_dword v6, v15, s[30:31]
	v_mul_f32_e32 v7, s58, v5
	s_waitcnt vmcnt(0)
	v_cmp_nle_f32_e64 s[48:49], |v6|, v7
	s_and_b64 vcc, exec, s[48:49]
	s_cbranch_vccnz .LBB187_66
; %bb.68:                               ;   in Loop: Header=BB187_11 Depth=1
	s_mov_b64 s[68:69], -1
                                        ; implicit-def: $vgpr5
                                        ; implicit-def: $sgpr21
                                        ; implicit-def: $sgpr24
                                        ; implicit-def: $vgpr2
.LBB187_69:                             ;   in Loop: Header=BB187_11 Depth=1
	s_and_b64 vcc, exec, s[68:69]
	s_cbranch_vccz .LBB187_71
; %bb.70:                               ;   in Loop: Header=BB187_11 Depth=1
	v_mov_b32_e32 v2, -1.0
	global_store_dword v15, v15, s[30:31]
.LBB187_71:                             ;   in Loop: Header=BB187_11 Depth=1
	v_cmp_nle_f32_e32 vcc, 0, v2
	v_and_b32_e32 v3, 0x7fffffff, v3
	v_and_b32_e32 v4, 0x7fffffff, v4
	ds_write_b32 v15, v2 offset:1032
	ds_write_b8 v15, v15 offset:1036
	s_cbranch_vccnz .LBB187_78
; %bb.72:                               ;   in Loop: Header=BB187_11 Depth=1
	ds_read_b64 v[6:7], v15
	s_mov_b64 s[30:31], -1
	s_waitcnt lgkmcnt(0)
	v_cmp_lt_f32_e32 vcc, v6, v7
	v_cndmask_b32_e32 v5, v6, v7, vcc
	v_div_scale_f32 v6, s[24:25], v5, v5, v2
	v_rcp_f32_e32 v7, v6
	v_div_scale_f32 v8, vcc, v2, v5, v2
	v_fma_f32 v9, -v6, v7, 1.0
	v_fmac_f32_e32 v7, v9, v7
	v_mul_f32_e32 v9, v8, v7
	v_fma_f32 v10, -v6, v9, v8
	v_fmac_f32_e32 v9, v10, v7
	v_fma_f32 v6, -v6, v9, v8
	v_div_fmas_f32 v6, v6, v7, v9
	v_div_fixup_f32 v5, v6, v5, v2
	v_cmp_ge_f32_e32 vcc, s59, v5
	s_cbranch_vccnz .LBB187_75
; %bb.73:                               ;   in Loop: Header=BB187_11 Depth=1
	v_cndmask_b32_e64 v3, v4, v3, s[4:5]
	v_cmp_lt_f32_e32 vcc, 0, v3
	s_mov_b64 s[30:31], 0
	s_cbranch_vccz .LBB187_75
; %bb.74:                               ;   in Loop: Header=BB187_11 Depth=1
	v_mul_f32_e32 v2, v2, v2
	v_div_scale_f32 v4, s[4:5], v3, v3, v2
	v_rcp_f32_e32 v5, v4
	v_div_scale_f32 v6, vcc, v2, v3, v2
	v_fma_f32 v7, -v4, v5, 1.0
	v_fmac_f32_e32 v5, v7, v5
	v_mul_f32_e32 v7, v6, v5
	v_fma_f32 v8, -v4, v7, v6
	v_fmac_f32_e32 v7, v8, v5
	v_fma_f32 v4, -v4, v7, v6
	v_div_fmas_f32 v4, v4, v5, v7
	v_div_fixup_f32 v2, v4, v3, v2
	v_div_scale_f32 v4, s[4:5], v3, v3, v2
	v_rcp_f32_e32 v5, v4
	v_fma_f32 v6, -v4, v5, 1.0
	v_fmac_f32_e32 v5, v6, v5
	v_div_scale_f32 v6, vcc, v2, v3, v2
	v_mul_f32_e32 v7, v6, v5
	v_fma_f32 v8, -v4, v7, v6
	v_fmac_f32_e32 v7, v8, v5
	v_fma_f32 v4, -v4, v7, v6
	v_div_fmas_f32 v4, v4, v5, v7
	v_div_fixup_f32 v2, v4, v3, v2
	v_cmp_gt_f32_e64 s[30:31], s57, v2
.LBB187_75:                             ;   in Loop: Header=BB187_11 Depth=1
	s_and_b64 vcc, exec, s[30:31]
	s_cbranch_vccz .LBB187_77
; %bb.76:                               ;   in Loop: Header=BB187_11 Depth=1
	ds_write_b32 v15, v15 offset:1032
.LBB187_77:                             ;   in Loop: Header=BB187_11 Depth=1
	ds_write_b8 v15, v25 offset:1036
.LBB187_78:                             ;   in Loop: Header=BB187_11 Depth=1
	s_or_b64 exec, exec, s[66:67]
	s_waitcnt lgkmcnt(0)
	s_barrier
	ds_read_u8 v2, v15 offset:1036
	s_mov_b64 s[4:5], -1
	s_waitcnt lgkmcnt(0)
	v_cmp_eq_u32_e32 vcc, 0, v2
	s_cbranch_vccz .LBB187_82
; %bb.79:                               ;   in Loop: Header=BB187_11 Depth=1
	s_and_saveexec_b64 s[4:5], s[16:17]
	s_cbranch_execz .LBB187_81
; %bb.80:                               ;   in Loop: Header=BB187_11 Depth=1
	global_store_dword v15, v15, s[12:13]
.LBB187_81:                             ;   in Loop: Header=BB187_11 Depth=1
	s_or_b64 exec, exec, s[4:5]
	s_mov_b64 s[4:5], 0
.LBB187_82:                             ;   in Loop: Header=BB187_11 Depth=1
	s_andn2_b64 vcc, exec, s[4:5]
	s_cbranch_vccnz .LBB187_10
; %bb.83:                               ;   in Loop: Header=BB187_11 Depth=1
	ds_read_b32 v2, v15 offset:1028
	s_waitcnt lgkmcnt(0)
	v_readfirstlane_b32 s66, v2
	s_and_saveexec_b64 s[4:5], s[16:17]
	s_cbranch_execz .LBB187_85
; %bb.84:                               ;   in Loop: Header=BB187_11 Depth=1
	s_cmp_eq_u32 s66, 0
	s_cselect_b32 s21, -1, 1
	v_mov_b32_e32 v2, s21
	global_store_dword v15, v2, s[12:13]
.LBB187_85:                             ;   in Loop: Header=BB187_11 Depth=1
	s_or_b64 exec, exec, s[4:5]
	s_add_i32 s78, s28, 1
	s_mul_i32 s68, s62, s77
	s_sub_i32 s76, 1, s66
	s_ashr_i32 s69, s68, 31
	s_sub_i32 s70, s66, s76
	s_lshl_b32 s12, s78, 1
	s_and_b64 s[4:5], s[26:27], exec
	s_cselect_b32 s29, s12, 0
	s_and_saveexec_b64 s[72:73], s[16:17]
	s_cbranch_execz .LBB187_158
; %bb.86:                               ;   in Loop: Header=BB187_11 Depth=1
	s_cmp_lg_u32 s66, 0
	s_cselect_b64 s[74:75], -1, 0
	s_and_b64 s[4:5], s[74:75], exec
	s_cselect_b32 s84, 0, s28
	s_ashr_i32 s85, s84, 31
	s_lshl_b64 s[4:5], s[84:85], 2
	s_add_u32 s14, s14, s4
	s_addc_u32 s15, s15, s5
	global_load_dword v2, v15, s[14:15]
	v_mov_b32_e32 v3, 0
	s_waitcnt vmcnt(0)
	v_cmp_eq_f32_e32 vcc, 0, v2
	s_cbranch_vccnz .LBB187_88
; %bb.87:                               ;   in Loop: Header=BB187_11 Depth=1
	ds_read_b32 v3, v15 offset:1032
	v_cmp_lt_f32_e32 vcc, 0, v2
	v_cndmask_b32_e64 v4, 0, 1, vcc
	v_cmp_gt_f32_e32 vcc, 0, v2
	v_subbrev_co_u32_e32 v4, vcc, 0, v4, vcc
	s_waitcnt lgkmcnt(0)
	v_div_scale_f32 v5, s[4:5], v2, v2, v3
	v_rcp_f32_e32 v6, v5
	v_cvt_f32_i32_e32 v4, v4
	v_sub_f32_e64 v7, |v2|, v3
	v_fma_f32 v8, -v5, v6, 1.0
	v_fmac_f32_e32 v6, v8, v6
	v_div_scale_f32 v8, vcc, v3, v2, v3
	v_mul_f32_e32 v9, v8, v6
	v_fma_f32 v10, -v5, v9, v8
	v_fmac_f32_e32 v9, v10, v6
	v_fma_f32 v5, -v5, v9, v8
	v_div_fmas_f32 v5, v5, v6, v9
	v_div_fixup_f32 v3, v5, v2, v3
	v_add_f32_e32 v3, v3, v4
	v_mul_f32_e32 v3, v7, v3
.LBB187_88:                             ;   in Loop: Header=BB187_11 Depth=1
	s_cmp_gt_i32 s28, 0
	s_cbranch_scc1 .LBB187_90
; %bb.89:                               ;   in Loop: Header=BB187_11 Depth=1
	s_add_i32 s61, s28, -1
	s_cbranch_execz .LBB187_91
	s_branch .LBB187_157
.LBB187_90:                             ;   in Loop: Header=BB187_11 Depth=1
                                        ; implicit-def: $sgpr61
.LBB187_91:                             ;   in Loop: Header=BB187_11 Depth=1
	s_ashr_i32 s67, s66, 31
	s_sub_u32 s12, 0, s66
	s_subb_u32 s13, 0, s67
	s_add_u32 s80, s84, s66
	s_addc_u32 s81, s85, s67
	s_lshl_b64 s[82:83], s[80:81], 2
	s_add_u32 s86, s9, s82
	s_addc_u32 s87, s10, s83
	global_load_dword v4, v15, s[86:87] offset:-4
	v_writelane_b32 v38, s90, 22
	v_writelane_b32 v38, s91, 23
	v_mov_b32_e32 v5, 0
	v_writelane_b32 v38, s88, 24
	v_writelane_b32 v38, s89, 25
	s_waitcnt vmcnt(0)
	v_cmp_eq_f32_e32 vcc, 0, v4
	s_cbranch_vccnz .LBB187_95
; %bb.92:                               ;   in Loop: Header=BB187_11 Depth=1
	v_cmp_eq_f32_e32 vcc, 0, v3
	v_mov_b32_e32 v6, 0
	s_cbranch_vccnz .LBB187_96
; %bb.93:                               ;   in Loop: Header=BB187_11 Depth=1
	v_cmp_gt_f32_e64 s[4:5], |v4|, |v3|
	s_and_b64 vcc, exec, s[4:5]
	s_cbranch_vccnz .LBB187_97
; %bb.94:                               ;   in Loop: Header=BB187_11 Depth=1
	v_div_scale_f32 v5, s[4:5], v3, v3, -v4
	v_rcp_f32_e32 v6, v5
	v_div_scale_f32 v7, vcc, -v4, v3, -v4
	v_fma_f32 v8, -v5, v6, 1.0
	v_fmac_f32_e32 v6, v8, v6
	v_mul_f32_e32 v8, v7, v6
	v_fma_f32 v9, -v5, v8, v7
	v_fmac_f32_e32 v8, v9, v6
	v_fma_f32 v5, -v5, v8, v7
	v_div_fmas_f32 v5, v5, v6, v8
	v_div_fixup_f32 v5, v5, v3, -v4
	v_fma_f32 v6, v5, v5, 1.0
	v_mul_f32_e32 v7, 0x4f800000, v6
	v_cmp_gt_f32_e32 vcc, s11, v6
	v_cndmask_b32_e32 v6, v6, v7, vcc
	v_sqrt_f32_e32 v7, v6
	v_add_u32_e32 v8, -1, v7
	v_fma_f32 v9, -v8, v7, v6
	v_cmp_ge_f32_e64 s[4:5], 0, v9
	v_add_u32_e32 v9, 1, v7
	v_cndmask_b32_e64 v8, v7, v8, s[4:5]
	v_fma_f32 v7, -v9, v7, v6
	v_cmp_lt_f32_e64 s[4:5], 0, v7
	v_cndmask_b32_e64 v7, v8, v9, s[4:5]
	v_mul_f32_e32 v8, 0x37800000, v7
	v_cndmask_b32_e32 v7, v7, v8, vcc
	v_cmp_class_f32_e32 vcc, v6, v24
	v_cndmask_b32_e32 v6, v7, v6, vcc
	v_div_scale_f32 v7, s[4:5], v6, v6, 1.0
	v_rcp_f32_e32 v8, v7
	s_mov_b64 s[4:5], 0
	v_fma_f32 v9, -v7, v8, 1.0
	v_fmac_f32_e32 v8, v9, v8
	v_div_scale_f32 v9, vcc, 1.0, v6, 1.0
	v_mul_f32_e32 v10, v9, v8
	v_fma_f32 v11, -v7, v10, v9
	v_fmac_f32_e32 v10, v11, v8
	v_fma_f32 v7, -v7, v10, v9
	v_div_fmas_f32 v7, v7, v8, v10
	v_div_fixup_f32 v6, v7, v6, 1.0
	v_mul_f32_e32 v5, v5, v6
	s_branch .LBB187_98
.LBB187_95:                             ;   in Loop: Header=BB187_11 Depth=1
	v_mov_b32_e32 v6, 1.0
	s_branch .LBB187_100
.LBB187_96:                             ;   in Loop: Header=BB187_11 Depth=1
	v_mov_b32_e32 v5, 1.0
	s_branch .LBB187_100
.LBB187_97:                             ;   in Loop: Header=BB187_11 Depth=1
	s_mov_b64 s[4:5], -1
                                        ; implicit-def: $vgpr6
                                        ; implicit-def: $vgpr5
.LBB187_98:                             ;   in Loop: Header=BB187_11 Depth=1
	s_andn2_b64 vcc, exec, s[4:5]
	s_cbranch_vccnz .LBB187_100
; %bb.99:                               ;   in Loop: Header=BB187_11 Depth=1
	v_div_scale_f32 v5, s[4:5], v4, v4, -v3
	v_rcp_f32_e32 v6, v5
	v_div_scale_f32 v7, vcc, -v3, v4, -v3
	v_fma_f32 v8, -v5, v6, 1.0
	v_fmac_f32_e32 v6, v8, v6
	v_mul_f32_e32 v8, v7, v6
	v_fma_f32 v9, -v5, v8, v7
	v_fmac_f32_e32 v8, v9, v6
	v_fma_f32 v5, -v5, v8, v7
	v_div_fmas_f32 v5, v5, v6, v8
	v_div_fixup_f32 v3, v5, v4, -v3
	v_fma_f32 v5, v3, v3, 1.0
	v_mul_f32_e32 v6, 0x4f800000, v5
	v_cmp_gt_f32_e32 vcc, s11, v5
	v_cndmask_b32_e32 v5, v5, v6, vcc
	v_sqrt_f32_e32 v6, v5
	v_add_u32_e32 v7, -1, v6
	v_fma_f32 v8, -v7, v6, v5
	v_cmp_ge_f32_e64 s[4:5], 0, v8
	v_add_u32_e32 v8, 1, v6
	v_cndmask_b32_e64 v7, v6, v7, s[4:5]
	v_fma_f32 v6, -v8, v6, v5
	v_cmp_lt_f32_e64 s[4:5], 0, v6
	v_cndmask_b32_e64 v6, v7, v8, s[4:5]
	v_mul_f32_e32 v7, 0x37800000, v6
	v_cndmask_b32_e32 v6, v6, v7, vcc
	v_cmp_class_f32_e32 vcc, v5, v24
	v_cndmask_b32_e32 v5, v6, v5, vcc
	v_div_scale_f32 v6, s[4:5], v5, v5, 1.0
	v_rcp_f32_e32 v7, v6
	v_fma_f32 v8, -v6, v7, 1.0
	v_fmac_f32_e32 v7, v8, v7
	v_div_scale_f32 v8, vcc, 1.0, v5, 1.0
	v_mul_f32_e32 v9, v8, v7
	v_fma_f32 v10, -v6, v9, v8
	v_fmac_f32_e32 v9, v10, v7
	v_fma_f32 v6, -v6, v9, v8
	v_div_fmas_f32 v6, v6, v7, v9
	v_div_fixup_f32 v5, v6, v5, 1.0
	v_mul_f32_e32 v6, v3, v5
.LBB187_100:                            ;   in Loop: Header=BB187_11 Depth=1
	s_lshl_b64 s[88:89], s[68:69], 2
	s_and_b64 s[4:5], s[26:27], s[74:75]
	s_add_u32 s21, s46, s88
	s_addc_u32 s24, s47, s89
	s_add_u32 s21, s21, 16
	s_addc_u32 s24, s24, 0
	s_sub_u32 s90, s66, s12
	s_subb_u32 s91, s67, s13
	v_mul_f32_e32 v3, v4, v6
	s_lshl_b64 s[12:13], s[90:91], 2
	v_fmac_f32_e32 v3, v2, v5
	s_add_u32 s94, s14, s12
	global_store_dword v15, v3, s[86:87] offset:-4
	s_addc_u32 s95, s15, s13
	global_load_dword v7, v15, s[94:95] offset:-4
	v_cndmask_b32_e64 v3, 0, 1, s[4:5]
	s_mov_b64 s[18:19], s[92:93]
	v_cmp_ne_u32_e64 s[12:13], 1, v3
	s_andn2_b64 vcc, exec, s[4:5]
	s_waitcnt vmcnt(0)
	v_mul_f32_e32 v3, v6, v7
	global_store_dword v15, v3, s[94:95] offset:-4
	s_cbranch_vccnz .LBB187_102
; %bb.101:                              ;   in Loop: Header=BB187_11 Depth=1
	s_add_u32 s4, s21, s82
	s_addc_u32 s5, s24, s83
	s_ashr_i32 s79, s78, 31
	s_lshl_b64 s[30:31], s[78:79], 2
	s_add_u32 s30, s4, s30
	s_addc_u32 s31, s5, s31
	global_store_dword v15, v6, s[4:5] offset:-4
	global_store_dword v15, v5, s[30:31] offset:-4
.LBB187_102:                            ;   in Loop: Header=BB187_11 Depth=1
	s_cmp_lg_u32 s66, 1
	s_cselect_b64 s[30:31], -1, 0
	s_cmp_eq_u32 s66, 1
	v_readlane_b32 s48, v38, 2
	s_cselect_b64 s[4:5], -1, 0
	v_readlane_b32 s49, v38, 3
	s_or_b64 s[92:93], s[48:49], s[4:5]
	s_and_b64 vcc, exec, s[92:93]
	s_cbranch_vccnz .LBB187_104
; %bb.103:                              ;   in Loop: Header=BB187_11 Depth=1
	s_ashr_i32 s5, s29, 31
	s_add_u32 s4, s80, s29
	s_addc_u32 s5, s81, s5
	s_lshl_b64 s[4:5], s[4:5], 2
	s_add_u32 s4, s21, s4
	s_addc_u32 s5, s24, s5
	s_ashr_i32 s79, s78, 31
	s_lshl_b64 s[48:49], s[78:79], 2
	s_add_u32 s48, s4, s48
	s_addc_u32 s49, s5, s49
	global_store_dword v15, v6, s[4:5] offset:-4
	global_store_dword v15, v5, s[48:49] offset:-4
.LBB187_104:                            ;   in Loop: Header=BB187_11 Depth=1
	v_mul_f32_e32 v3, v4, v5
	v_fma_f32 v3, v2, v6, -v3
	v_mul_f32_e64 v2, v7, -v5
	v_cmp_eq_f32_e32 vcc, 0, v2
	v_mov_b32_e32 v5, 0
	s_cbranch_vccnz .LBB187_108
; %bb.105:                              ;   in Loop: Header=BB187_11 Depth=1
	v_cmp_eq_f32_e32 vcc, 0, v3
	s_cbranch_vccnz .LBB187_109
; %bb.106:                              ;   in Loop: Header=BB187_11 Depth=1
	v_cmp_gt_f32_e64 s[4:5], |v2|, |v3|
	s_and_b64 vcc, exec, s[4:5]
	s_cbranch_vccnz .LBB187_110
; %bb.107:                              ;   in Loop: Header=BB187_11 Depth=1
	v_div_scale_f32 v4, s[4:5], v3, v3, -v2
	v_rcp_f32_e32 v5, v4
	v_div_scale_f32 v6, vcc, -v2, v3, -v2
	v_fma_f32 v7, -v4, v5, 1.0
	v_fmac_f32_e32 v5, v7, v5
	v_mul_f32_e32 v7, v6, v5
	v_fma_f32 v8, -v4, v7, v6
	v_fmac_f32_e32 v7, v8, v5
	v_fma_f32 v4, -v4, v7, v6
	v_div_fmas_f32 v4, v4, v5, v7
	v_div_fixup_f32 v5, v4, v3, -v2
	v_fma_f32 v4, v5, v5, 1.0
	v_mul_f32_e32 v6, 0x4f800000, v4
	v_cmp_gt_f32_e32 vcc, s11, v4
	v_cndmask_b32_e32 v4, v4, v6, vcc
	v_sqrt_f32_e32 v6, v4
	v_add_u32_e32 v7, -1, v6
	v_fma_f32 v9, -v7, v6, v4
	v_add_u32_e32 v8, 1, v6
	v_cmp_ge_f32_e64 s[4:5], 0, v9
	v_cndmask_b32_e64 v7, v6, v7, s[4:5]
	v_fma_f32 v6, -v8, v6, v4
	v_cmp_lt_f32_e64 s[4:5], 0, v6
	v_cndmask_b32_e64 v6, v7, v8, s[4:5]
	v_mul_f32_e32 v7, 0x37800000, v6
	v_cndmask_b32_e32 v6, v6, v7, vcc
	v_cmp_class_f32_e32 vcc, v4, v24
	v_cndmask_b32_e32 v4, v6, v4, vcc
	v_div_scale_f32 v6, s[4:5], v4, v4, 1.0
	v_rcp_f32_e32 v7, v6
	s_mov_b64 s[4:5], 0
	v_fma_f32 v8, -v6, v7, 1.0
	v_fmac_f32_e32 v7, v8, v7
	v_div_scale_f32 v8, vcc, 1.0, v4, 1.0
	v_mul_f32_e32 v9, v8, v7
	v_fma_f32 v10, -v6, v9, v8
	v_fmac_f32_e32 v9, v10, v7
	v_fma_f32 v6, -v6, v9, v8
	v_div_fmas_f32 v6, v6, v7, v9
	v_div_fixup_f32 v4, v6, v4, 1.0
	v_mul_f32_e32 v5, v5, v4
	s_branch .LBB187_111
.LBB187_108:                            ;   in Loop: Header=BB187_11 Depth=1
	v_mov_b32_e32 v4, 1.0
	s_branch .LBB187_115
.LBB187_109:                            ;   in Loop: Header=BB187_11 Depth=1
                                        ; implicit-def: $vgpr3
                                        ; implicit-def: $vgpr4
                                        ; implicit-def: $vgpr5
	s_cbranch_execnz .LBB187_114
	s_branch .LBB187_115
.LBB187_110:                            ;   in Loop: Header=BB187_11 Depth=1
	s_mov_b64 s[4:5], -1
                                        ; implicit-def: $vgpr4
                                        ; implicit-def: $vgpr5
.LBB187_111:                            ;   in Loop: Header=BB187_11 Depth=1
	s_andn2_b64 vcc, exec, s[4:5]
	s_cbranch_vccnz .LBB187_113
; %bb.112:                              ;   in Loop: Header=BB187_11 Depth=1
	v_div_scale_f32 v4, s[4:5], v2, v2, -v3
	v_rcp_f32_e32 v5, v4
	v_div_scale_f32 v6, vcc, -v3, v2, -v3
	v_fma_f32 v7, -v4, v5, 1.0
	v_fmac_f32_e32 v5, v7, v5
	v_mul_f32_e32 v7, v6, v5
	v_fma_f32 v8, -v4, v7, v6
	v_fmac_f32_e32 v7, v8, v5
	v_fma_f32 v4, -v4, v7, v6
	v_div_fmas_f32 v4, v4, v5, v7
	v_div_fixup_f32 v4, v4, v2, -v3
	v_fma_f32 v5, v4, v4, 1.0
	v_mul_f32_e32 v6, 0x4f800000, v5
	v_cmp_gt_f32_e32 vcc, s11, v5
	v_cndmask_b32_e32 v5, v5, v6, vcc
	v_sqrt_f32_e32 v6, v5
	v_add_u32_e32 v7, -1, v6
	v_fma_f32 v9, -v7, v6, v5
	v_add_u32_e32 v8, 1, v6
	v_cmp_ge_f32_e64 s[4:5], 0, v9
	v_cndmask_b32_e64 v7, v6, v7, s[4:5]
	v_fma_f32 v6, -v8, v6, v5
	v_cmp_lt_f32_e64 s[4:5], 0, v6
	v_cndmask_b32_e64 v6, v7, v8, s[4:5]
	v_mul_f32_e32 v7, 0x37800000, v6
	v_cndmask_b32_e32 v6, v6, v7, vcc
	v_cmp_class_f32_e32 vcc, v5, v24
	v_cndmask_b32_e32 v5, v6, v5, vcc
	v_div_scale_f32 v6, s[4:5], v5, v5, 1.0
	v_rcp_f32_e32 v7, v6
	v_fma_f32 v8, -v6, v7, 1.0
	v_fmac_f32_e32 v7, v8, v7
	v_div_scale_f32 v8, vcc, 1.0, v5, 1.0
	v_mul_f32_e32 v9, v8, v7
	v_fma_f32 v10, -v6, v9, v8
	v_fmac_f32_e32 v9, v10, v7
	v_fma_f32 v6, -v6, v9, v8
	v_div_fmas_f32 v6, v6, v7, v9
	v_div_fixup_f32 v5, v6, v5, 1.0
	v_mul_f32_e32 v4, v4, v5
.LBB187_113:                            ;   in Loop: Header=BB187_11 Depth=1
	v_mul_f32_e32 v6, v2, v5
	v_fma_f32 v3, v3, v4, -v6
	s_branch .LBB187_115
.LBB187_114:                            ;   in Loop: Header=BB187_11 Depth=1
	v_xor_b32_e32 v3, 0x80000000, v2
	v_mov_b32_e32 v4, 0
	v_mov_b32_e32 v5, 1.0
.LBB187_115:                            ;   in Loop: Header=BB187_11 Depth=1
	global_store_dword v15, v3, s[14:15]
	global_load_dword v6, v15, s[94:95] offset:-4
	s_nop 0
	global_load_dword v3, v15, s[86:87] offset:-4
	s_cmp_eq_u32 s78, 2
	s_waitcnt vmcnt(1)
	v_mul_f32_e32 v7, v4, v6
	s_waitcnt vmcnt(0)
	v_fmac_f32_e32 v7, v5, v3
	global_store_dword v15, v7, s[94:95] offset:-4
	s_cbranch_scc1 .LBB187_117
; %bb.116:                              ;   in Loop: Header=BB187_11 Depth=1
	s_ashr_i32 s71, s70, 31
	s_lshl_b64 s[4:5], s[70:71], 2
	s_add_u32 s4, s86, s4
	s_addc_u32 s5, s87, s5
	global_load_dword v7, v15, s[4:5] offset:-4
	s_waitcnt vmcnt(0)
	v_mul_f32_e64 v2, v7, -v5
	v_mul_f32_e32 v7, v4, v7
	global_store_dword v15, v7, s[4:5] offset:-4
.LBB187_117:                            ;   in Loop: Header=BB187_11 Depth=1
	s_and_b64 s[4:5], s[26:27], s[30:31]
	v_cndmask_b32_e64 v7, 0, 1, s[4:5]
	v_readlane_b32 s86, v38, 18
	v_readlane_b32 s94, v38, 20
	v_cmp_ne_u32_e64 s[14:15], 1, v7
	s_andn2_b64 vcc, exec, s[4:5]
	v_readlane_b32 s87, v38, 19
	v_readlane_b32 s95, v38, 21
	s_cbranch_vccnz .LBB187_119
; %bb.118:                              ;   in Loop: Header=BB187_11 Depth=1
	s_add_u32 s4, s21, s82
	s_addc_u32 s5, s24, s83
	s_ashr_i32 s79, s78, 31
	s_lshl_b64 s[30:31], s[78:79], 2
	s_add_u32 s30, s4, s30
	s_addc_u32 s31, s5, s31
	global_store_dword v15, v4, s[4:5] offset:-4
	global_store_dword v15, v5, s[30:31] offset:-4
.LBB187_119:                            ;   in Loop: Header=BB187_11 Depth=1
	v_readlane_b32 s30, v38, 2
	s_xor_b64 s[4:5], s[74:75], -1
	v_readlane_b32 s31, v38, 3
	s_or_b64 s[4:5], s[30:31], s[4:5]
	s_and_b64 vcc, exec, s[4:5]
	s_cbranch_vccnz .LBB187_121
; %bb.120:                              ;   in Loop: Header=BB187_11 Depth=1
	s_ashr_i32 s25, s29, 31
	s_add_u32 s30, s80, s29
	s_addc_u32 s31, s81, s25
	s_lshl_b64 s[30:31], s[30:31], 2
	s_add_u32 s30, s21, s30
	s_addc_u32 s31, s24, s31
	s_ashr_i32 s79, s78, 31
	s_lshl_b64 s[24:25], s[78:79], 2
	s_add_u32 s24, s30, s24
	s_addc_u32 s25, s31, s25
	global_store_dword v15, v4, s[30:31] offset:-4
	global_store_dword v15, v5, s[24:25] offset:-4
.LBB187_121:                            ;   in Loop: Header=BB187_11 Depth=1
	v_mul_f32_e32 v5, v5, v6
	v_fma_f32 v3, v4, v3, -v5
	s_cmp_eq_u32 s28, 1
	s_mov_b32 s61, 0
	s_cbranch_scc1 .LBB187_154
; %bb.122:                              ;   in Loop: Header=BB187_11 Depth=1
	s_xor_b64 s[80:81], s[92:93], -1
	s_xor_b64 s[82:83], s[4:5], -1
	s_add_i32 s4, s84, s70
	s_add_i32 s61, s28, -1
	s_sub_i32 s30, s84, s76
	s_ashr_i32 s21, s29, 31
	s_ashr_i32 s79, s78, 31
	s_lshl_b64 s[24:25], s[66:67], 3
	s_add_u32 s52, s24, s64
	s_addc_u32 s53, s25, s65
	s_ashr_i32 s5, s4, 31
	s_lshl_b64 s[4:5], s[4:5], 2
	v_writelane_b32 v38, s77, 26
	s_add_u32 s31, s52, s4
	s_addc_u32 s48, s53, s5
	v_readlane_b32 s49, v38, 8
	s_add_u32 s67, s49, s31
	v_readlane_b32 s31, v38, 9
	s_addc_u32 s71, s31, s48
	s_lshl_b32 s31, s66, 1
	s_add_i32 s48, s31, -2
	s_ashr_i32 s49, s48, 31
	s_lshl_b64 s[84:85], s[48:49], 2
	s_or_b32 s84, s84, 4
	s_add_u32 s4, s64, s4
	s_addc_u32 s5, s65, s5
	s_add_u32 s93, s22, s4
	s_addc_u32 s94, s33, s5
	s_add_u32 s4, s90, s29
	s_addc_u32 s5, s91, s21
	s_ashr_i32 s31, s30, 31
	s_add_u32 s4, s4, s30
	s_addc_u32 s5, s5, s31
	s_lshl_b64 s[4:5], s[4:5], 2
	s_add_u32 s21, s4, s88
	s_addc_u32 s48, s5, s89
	s_lshl_b64 s[4:5], s[78:79], 2
	s_add_u32 s49, s21, s4
	s_addc_u32 s54, s48, s5
	v_readlane_b32 s77, v38, 11
	s_add_u32 s90, s77, s49
	v_readlane_b32 s49, v38, 13
	s_addc_u32 s91, s49, s54
	s_add_u32 s95, s77, s21
	s_addc_u32 s21, s49, s48
	s_add_u32 s24, s24, s88
	s_addc_u32 s25, s25, s89
	s_lshl_b64 s[54:55], s[30:31], 2
	s_add_u32 s24, s24, s54
	s_addc_u32 s25, s25, s55
	s_add_u32 s4, s24, s4
	s_addc_u32 s5, s25, s5
	;; [unrolled: 2-line block ×4, first 2 shown]
	v_readlane_b32 s4, v38, 0
	v_readlane_b32 s5, v38, 1
	s_add_u32 s4, s4, s62
	s_addc_u32 s5, s5, s63
	s_add_u32 s4, s4, s30
	s_addc_u32 s5, s5, s31
	s_mul_i32 s49, s66, 12
	s_lshl_b64 s[4:5], s[4:5], 2
	s_mul_hi_i32 s48, s66, 12
	s_add_u32 s30, s49, s4
	s_addc_u32 s31, s48, s5
	s_ashr_i32 s77, s76, 31
	s_lshl_b64 s[4:5], s[76:77], 2
	s_sub_u32 s4, s30, s4
	s_subb_u32 s5, s31, s5
	v_readlane_b32 s30, v38, 14
	s_add_u32 s48, s30, s4
	v_readlane_b32 s4, v38, 16
	s_addc_u32 s49, s4, s5
	s_add_u32 s4, s52, s54
	s_addc_u32 s5, s53, s55
	v_readlane_b32 s30, v38, 15
	s_add_u32 s52, s30, s4
	v_readlane_b32 s4, v38, 17
	s_addc_u32 s53, s4, s5
	s_add_u32 s4, s64, s54
	s_addc_u32 s5, s65, s55
	s_add_u32 s54, s36, s4
	s_mov_b32 s92, 1
	s_addc_u32 s55, s42, s5
	s_mov_b64 s[76:77], 0
	s_branch .LBB187_124
.LBB187_123:                            ;   in Loop: Header=BB187_124 Depth=2
	s_add_i32 s92, s92, 1
	s_add_u32 s76, s76, s84
	v_mul_f32_e32 v5, v5, v6
	s_addc_u32 s77, s77, s85
	s_cmp_eq_u32 s28, s92
	v_fma_f32 v3, v4, v3, -v5
	s_cbranch_scc1 .LBB187_155
.LBB187_124:                            ;   Parent Loop BB187_11 Depth=1
                                        ; =>  This Inner Loop Header: Depth=2
	v_cmp_eq_f32_e32 vcc, 0, v2
	v_mov_b32_e32 v4, 0
	s_cbranch_vccnz .LBB187_128
; %bb.125:                              ;   in Loop: Header=BB187_124 Depth=2
	v_cmp_neq_f32_e32 vcc, 0, v3
	s_cbranch_vccz .LBB187_129
; %bb.126:                              ;   in Loop: Header=BB187_124 Depth=2
	v_cmp_ngt_f32_e64 s[4:5], |v2|, |v3|
	s_and_b64 vcc, exec, s[4:5]
	s_cbranch_vccz .LBB187_130
; %bb.127:                              ;   in Loop: Header=BB187_124 Depth=2
	v_div_scale_f32 v4, s[4:5], v3, v3, -v2
	v_rcp_f32_e32 v5, v4
	v_div_scale_f32 v6, vcc, -v2, v3, -v2
	v_fma_f32 v7, -v4, v5, 1.0
	v_fmac_f32_e32 v5, v7, v5
	v_mul_f32_e32 v7, v6, v5
	v_fma_f32 v8, -v4, v7, v6
	v_fmac_f32_e32 v7, v8, v5
	v_fma_f32 v4, -v4, v7, v6
	v_div_fmas_f32 v4, v4, v5, v7
	v_div_fixup_f32 v4, v4, v3, -v2
	v_fma_f32 v5, v4, v4, 1.0
	v_mul_f32_e32 v6, 0x4f800000, v5
	v_cmp_gt_f32_e32 vcc, s11, v5
	v_cndmask_b32_e32 v5, v5, v6, vcc
	v_sqrt_f32_e32 v6, v5
	v_add_u32_e32 v7, -1, v6
	v_fma_f32 v9, -v7, v6, v5
	v_add_u32_e32 v8, 1, v6
	v_cmp_ge_f32_e64 s[4:5], 0, v9
	v_cndmask_b32_e64 v7, v6, v7, s[4:5]
	v_fma_f32 v6, -v8, v6, v5
	v_cmp_lt_f32_e64 s[4:5], 0, v6
	v_cndmask_b32_e64 v6, v7, v8, s[4:5]
	v_mul_f32_e32 v7, 0x37800000, v6
	v_cndmask_b32_e32 v6, v6, v7, vcc
	v_cmp_class_f32_e32 vcc, v5, v24
	v_cndmask_b32_e32 v5, v6, v5, vcc
	v_div_scale_f32 v6, s[4:5], v5, v5, 1.0
	v_rcp_f32_e32 v7, v6
	v_fma_f32 v8, -v6, v7, 1.0
	v_fmac_f32_e32 v7, v8, v7
	v_div_scale_f32 v8, vcc, 1.0, v5, 1.0
	v_mul_f32_e32 v9, v8, v7
	v_fma_f32 v10, -v6, v9, v8
	v_fmac_f32_e32 v9, v10, v7
	v_fma_f32 v6, -v6, v9, v8
	v_div_fmas_f32 v6, v6, v7, v9
	v_div_fixup_f32 v5, v6, v5, 1.0
	v_mul_f32_e32 v4, v4, v5
	s_cbranch_execz .LBB187_131
	s_branch .LBB187_132
.LBB187_128:                            ;   in Loop: Header=BB187_124 Depth=2
	v_mov_b32_e32 v5, 1.0
	s_branch .LBB187_134
.LBB187_129:                            ;   in Loop: Header=BB187_124 Depth=2
                                        ; implicit-def: $vgpr3
                                        ; implicit-def: $vgpr5
                                        ; implicit-def: $vgpr4
	s_cbranch_execnz .LBB187_133
	s_branch .LBB187_134
.LBB187_130:                            ;   in Loop: Header=BB187_124 Depth=2
                                        ; implicit-def: $vgpr5
                                        ; implicit-def: $vgpr4
.LBB187_131:                            ;   in Loop: Header=BB187_124 Depth=2
	v_div_scale_f32 v4, s[4:5], v2, v2, -v3
	v_rcp_f32_e32 v5, v4
	v_div_scale_f32 v6, vcc, -v3, v2, -v3
	v_fma_f32 v7, -v4, v5, 1.0
	v_fmac_f32_e32 v5, v7, v5
	v_mul_f32_e32 v7, v6, v5
	v_fma_f32 v8, -v4, v7, v6
	v_fmac_f32_e32 v7, v8, v5
	v_fma_f32 v4, -v4, v7, v6
	v_div_fmas_f32 v4, v4, v5, v7
	v_div_fixup_f32 v5, v4, v2, -v3
	v_fma_f32 v4, v5, v5, 1.0
	v_mul_f32_e32 v6, 0x4f800000, v4
	v_cmp_gt_f32_e32 vcc, s11, v4
	v_cndmask_b32_e32 v4, v4, v6, vcc
	v_sqrt_f32_e32 v6, v4
	v_add_u32_e32 v7, -1, v6
	v_fma_f32 v9, -v7, v6, v4
	v_add_u32_e32 v8, 1, v6
	v_cmp_ge_f32_e64 s[4:5], 0, v9
	v_cndmask_b32_e64 v7, v6, v7, s[4:5]
	v_fma_f32 v6, -v8, v6, v4
	v_cmp_lt_f32_e64 s[4:5], 0, v6
	v_cndmask_b32_e64 v6, v7, v8, s[4:5]
	v_mul_f32_e32 v7, 0x37800000, v6
	v_cndmask_b32_e32 v6, v6, v7, vcc
	v_cmp_class_f32_e32 vcc, v4, v24
	v_cndmask_b32_e32 v4, v6, v4, vcc
	v_div_scale_f32 v6, s[4:5], v4, v4, 1.0
	v_rcp_f32_e32 v7, v6
	v_fma_f32 v8, -v6, v7, 1.0
	v_fmac_f32_e32 v7, v8, v7
	v_div_scale_f32 v8, vcc, 1.0, v4, 1.0
	v_mul_f32_e32 v9, v8, v7
	v_fma_f32 v10, -v6, v9, v8
	v_fmac_f32_e32 v9, v10, v7
	v_fma_f32 v6, -v6, v9, v8
	v_div_fmas_f32 v6, v6, v7, v9
	v_div_fixup_f32 v4, v6, v4, 1.0
	v_mul_f32_e32 v5, v5, v4
.LBB187_132:                            ;   in Loop: Header=BB187_124 Depth=2
	v_mul_f32_e32 v6, v2, v4
	v_fma_f32 v3, v3, v5, -v6
	s_branch .LBB187_134
.LBB187_133:                            ;   in Loop: Header=BB187_124 Depth=2
	v_xor_b32_e32 v3, 0x80000000, v2
	v_mov_b32_e32 v5, 0
	v_mov_b32_e32 v4, 1.0
.LBB187_134:                            ;   in Loop: Header=BB187_124 Depth=2
	s_add_u32 s4, s54, s76
	s_addc_u32 s5, s55, s77
	s_add_u32 s78, s93, s76
	s_addc_u32 s79, s94, s77
	s_add_u32 s30, s52, s76
	global_store_dword v15, v3, s[4:5]
	s_addc_u32 s31, s53, s77
	global_load_dword v3, v15, s[30:31]
	global_load_dword v2, v15, s[78:79]
	s_add_u32 s86, s67, s76
	s_addc_u32 s87, s71, s77
	s_and_b64 vcc, exec, s[12:13]
	s_waitcnt vmcnt(1)
	v_mul_f32_e32 v6, v5, v3
	s_waitcnt vmcnt(0)
	v_fmac_f32_e32 v6, v4, v2
	global_store_dword v15, v6, s[30:31]
	global_load_dword v6, v15, s[86:87]
	s_waitcnt vmcnt(0)
	v_mul_f32_e32 v7, v5, v6
	global_store_dword v15, v7, s[86:87]
	s_cbranch_vccnz .LBB187_136
; %bb.135:                              ;   in Loop: Header=BB187_124 Depth=2
	s_add_u32 s4, s24, s76
	s_addc_u32 s5, s25, s77
	s_add_u32 vcc_lo, s88, s76
	s_addc_u32 vcc_hi, s89, s77
	global_store_dword v15, v5, s[4:5]
	global_store_dword v15, v4, vcc
.LBB187_136:                            ;   in Loop: Header=BB187_124 Depth=2
	s_andn2_b64 vcc, exec, s[80:81]
	s_cbranch_vccnz .LBB187_138
; %bb.137:                              ;   in Loop: Header=BB187_124 Depth=2
	s_add_u32 s4, s95, s76
	s_addc_u32 s5, s21, s77
	s_add_u32 vcc_lo, s90, s76
	s_addc_u32 vcc_hi, s91, s77
	global_store_dword v15, v5, s[4:5]
	global_store_dword v15, v4, vcc
.LBB187_138:                            ;   in Loop: Header=BB187_124 Depth=2
	v_mul_f32_e32 v3, v4, v3
	v_fma_f32 v3, v5, v2, -v3
	v_mul_f32_e64 v2, v6, -v4
	v_cmp_eq_f32_e32 vcc, 0, v2
	v_mov_b32_e32 v5, 0
	s_cbranch_vccnz .LBB187_142
; %bb.139:                              ;   in Loop: Header=BB187_124 Depth=2
	v_cmp_neq_f32_e32 vcc, 0, v3
	s_cbranch_vccz .LBB187_143
; %bb.140:                              ;   in Loop: Header=BB187_124 Depth=2
	v_cmp_ngt_f32_e64 s[4:5], |v2|, |v3|
	s_and_b64 vcc, exec, s[4:5]
	s_cbranch_vccz .LBB187_144
; %bb.141:                              ;   in Loop: Header=BB187_124 Depth=2
	v_div_scale_f32 v4, s[4:5], v3, v3, -v2
	v_rcp_f32_e32 v5, v4
	v_div_scale_f32 v6, vcc, -v2, v3, -v2
	v_fma_f32 v7, -v4, v5, 1.0
	v_fmac_f32_e32 v5, v7, v5
	v_mul_f32_e32 v7, v6, v5
	v_fma_f32 v8, -v4, v7, v6
	v_fmac_f32_e32 v7, v8, v5
	v_fma_f32 v4, -v4, v7, v6
	v_div_fmas_f32 v4, v4, v5, v7
	v_div_fixup_f32 v5, v4, v3, -v2
	v_fma_f32 v4, v5, v5, 1.0
	v_mul_f32_e32 v6, 0x4f800000, v4
	v_cmp_gt_f32_e32 vcc, s11, v4
	v_cndmask_b32_e32 v4, v4, v6, vcc
	v_sqrt_f32_e32 v6, v4
	v_add_u32_e32 v7, -1, v6
	v_fma_f32 v9, -v7, v6, v4
	v_add_u32_e32 v8, 1, v6
	v_cmp_ge_f32_e64 s[4:5], 0, v9
	v_cndmask_b32_e64 v7, v6, v7, s[4:5]
	v_fma_f32 v6, -v8, v6, v4
	v_cmp_lt_f32_e64 s[4:5], 0, v6
	v_cndmask_b32_e64 v6, v7, v8, s[4:5]
	v_mul_f32_e32 v7, 0x37800000, v6
	v_cndmask_b32_e32 v6, v6, v7, vcc
	v_cmp_class_f32_e32 vcc, v4, v24
	v_cndmask_b32_e32 v4, v6, v4, vcc
	v_div_scale_f32 v6, s[4:5], v4, v4, 1.0
	v_rcp_f32_e32 v7, v6
	v_fma_f32 v8, -v6, v7, 1.0
	v_fmac_f32_e32 v7, v8, v7
	v_div_scale_f32 v8, vcc, 1.0, v4, 1.0
	v_mul_f32_e32 v9, v8, v7
	v_fma_f32 v10, -v6, v9, v8
	v_fmac_f32_e32 v9, v10, v7
	v_fma_f32 v6, -v6, v9, v8
	v_div_fmas_f32 v6, v6, v7, v9
	v_div_fixup_f32 v4, v6, v4, 1.0
	v_mul_f32_e32 v5, v5, v4
	s_cbranch_execz .LBB187_145
	s_branch .LBB187_146
.LBB187_142:                            ;   in Loop: Header=BB187_124 Depth=2
	v_mov_b32_e32 v4, 1.0
	s_branch .LBB187_148
.LBB187_143:                            ;   in Loop: Header=BB187_124 Depth=2
                                        ; implicit-def: $vgpr3
                                        ; implicit-def: $vgpr4
                                        ; implicit-def: $vgpr5
	s_cbranch_execnz .LBB187_147
	s_branch .LBB187_148
.LBB187_144:                            ;   in Loop: Header=BB187_124 Depth=2
                                        ; implicit-def: $vgpr4
                                        ; implicit-def: $vgpr5
.LBB187_145:                            ;   in Loop: Header=BB187_124 Depth=2
	v_div_scale_f32 v4, s[4:5], v2, v2, -v3
	v_rcp_f32_e32 v5, v4
	v_div_scale_f32 v6, vcc, -v3, v2, -v3
	v_fma_f32 v7, -v4, v5, 1.0
	v_fmac_f32_e32 v5, v7, v5
	v_mul_f32_e32 v7, v6, v5
	v_fma_f32 v8, -v4, v7, v6
	v_fmac_f32_e32 v7, v8, v5
	v_fma_f32 v4, -v4, v7, v6
	v_div_fmas_f32 v4, v4, v5, v7
	v_div_fixup_f32 v4, v4, v2, -v3
	v_fma_f32 v5, v4, v4, 1.0
	v_mul_f32_e32 v6, 0x4f800000, v5
	v_cmp_gt_f32_e32 vcc, s11, v5
	v_cndmask_b32_e32 v5, v5, v6, vcc
	v_sqrt_f32_e32 v6, v5
	v_add_u32_e32 v7, -1, v6
	v_fma_f32 v9, -v7, v6, v5
	v_add_u32_e32 v8, 1, v6
	v_cmp_ge_f32_e64 s[4:5], 0, v9
	v_cndmask_b32_e64 v7, v6, v7, s[4:5]
	v_fma_f32 v6, -v8, v6, v5
	v_cmp_lt_f32_e64 s[4:5], 0, v6
	v_cndmask_b32_e64 v6, v7, v8, s[4:5]
	v_mul_f32_e32 v7, 0x37800000, v6
	v_cndmask_b32_e32 v6, v6, v7, vcc
	v_cmp_class_f32_e32 vcc, v5, v24
	v_cndmask_b32_e32 v5, v6, v5, vcc
	v_div_scale_f32 v6, s[4:5], v5, v5, 1.0
	v_rcp_f32_e32 v7, v6
	v_fma_f32 v8, -v6, v7, 1.0
	v_fmac_f32_e32 v7, v8, v7
	v_div_scale_f32 v8, vcc, 1.0, v5, 1.0
	v_mul_f32_e32 v9, v8, v7
	v_fma_f32 v10, -v6, v9, v8
	v_fmac_f32_e32 v9, v10, v7
	v_fma_f32 v6, -v6, v9, v8
	v_div_fmas_f32 v6, v6, v7, v9
	v_div_fixup_f32 v5, v6, v5, 1.0
	v_mul_f32_e32 v4, v4, v5
.LBB187_146:                            ;   in Loop: Header=BB187_124 Depth=2
	v_mul_f32_e32 v6, v2, v5
	v_fma_f32 v3, v3, v4, -v6
	s_branch .LBB187_148
.LBB187_147:                            ;   in Loop: Header=BB187_124 Depth=2
	v_xor_b32_e32 v3, 0x80000000, v2
	v_mov_b32_e32 v4, 0
	v_mov_b32_e32 v5, 1.0
.LBB187_148:                            ;   in Loop: Header=BB187_124 Depth=2
	global_store_dword v15, v3, s[78:79]
	global_load_dword v6, v15, s[86:87]
	s_nop 0
	global_load_dword v3, v15, s[30:31]
	s_cmp_ge_i32 s92, s61
	s_waitcnt vmcnt(1)
	v_mul_f32_e32 v7, v4, v6
	s_waitcnt vmcnt(0)
	v_fmac_f32_e32 v7, v5, v3
	global_store_dword v15, v7, s[86:87]
	s_cbranch_scc0 .LBB187_151
; %bb.149:                              ;   in Loop: Header=BB187_124 Depth=2
	s_and_b64 vcc, exec, s[14:15]
	s_cbranch_vccz .LBB187_152
.LBB187_150:                            ;   in Loop: Header=BB187_124 Depth=2
	s_andn2_b64 vcc, exec, s[82:83]
	s_cbranch_vccnz .LBB187_123
	s_branch .LBB187_153
.LBB187_151:                            ;   in Loop: Header=BB187_124 Depth=2
	s_add_u32 s4, s48, s76
	s_addc_u32 s5, s49, s77
	global_load_dword v7, v15, s[4:5]
	s_waitcnt vmcnt(0)
	v_mul_f32_e64 v2, v7, -v5
	v_mul_f32_e32 v7, v4, v7
	global_store_dword v15, v7, s[4:5]
	s_and_b64 vcc, exec, s[14:15]
	s_cbranch_vccnz .LBB187_150
.LBB187_152:                            ;   in Loop: Header=BB187_124 Depth=2
	s_add_u32 s4, s24, s76
	s_addc_u32 s5, s25, s77
	s_add_u32 s30, s88, s76
	s_addc_u32 s31, s89, s77
	global_store_dword v15, v4, s[4:5]
	global_store_dword v15, v5, s[30:31]
	s_andn2_b64 vcc, exec, s[82:83]
	s_cbranch_vccnz .LBB187_123
.LBB187_153:                            ;   in Loop: Header=BB187_124 Depth=2
	s_add_u32 s4, s95, s76
	s_addc_u32 s5, s21, s77
	s_add_u32 s30, s90, s76
	s_addc_u32 s31, s91, s77
	global_store_dword v15, v4, s[4:5]
	global_store_dword v15, v5, s[30:31]
	s_branch .LBB187_123
.LBB187_154:                            ;   in Loop: Header=BB187_11 Depth=1
	v_readlane_b32 s90, v38, 22
	v_readlane_b32 s91, v38, 23
	s_branch .LBB187_156
.LBB187_155:                            ;   in Loop: Header=BB187_11 Depth=1
	v_readlane_b32 s90, v38, 22
	v_readlane_b32 s86, v38, 18
	;; [unrolled: 1-line block ×7, first 2 shown]
.LBB187_156:                            ;   in Loop: Header=BB187_11 Depth=1
	v_readlane_b32 s88, v38, 24
	v_readlane_b32 s89, v38, 25
	s_mov_b64 s[92:93], s[18:19]
.LBB187_157:                            ;   in Loop: Header=BB187_11 Depth=1
	s_and_b64 s[4:5], s[74:75], exec
	s_cselect_b32 s4, s61, 0
	s_ashr_i32 s5, s4, 31
	s_lshl_b64 s[4:5], s[4:5], 2
	s_add_u32 s4, s9, s4
	s_addc_u32 s5, s10, s5
	global_store_dword v15, v3, s[4:5]
.LBB187_158:                            ;   in Loop: Header=BB187_11 Depth=1
	s_or_b64 exec, exec, s[72:73]
	s_andn2_b64 vcc, exec, s[90:91]
	s_barrier
	s_cbranch_vccnz .LBB187_166
; %bb.159:                              ;   in Loop: Header=BB187_11 Depth=1
	s_mov_b32 s19, s77
	s_and_saveexec_b64 s[12:13], s[92:93]
	s_cbranch_execz .LBB187_165
; %bb.160:                              ;   in Loop: Header=BB187_11 Depth=1
	s_lshl_b64 s[4:5], s[62:63], 3
	s_add_u32 s14, s40, s4
	s_addc_u32 s15, s41, s5
	s_load_dword s5, s[50:51], 0xc
	s_add_i32 s4, s28, -1
	s_cmp_eq_u32 s66, 0
	s_cselect_b32 s9, s28, 0
	s_cselect_b32 s4, s4, 0
	s_cmp_gt_i32 s28, 0
	s_cselect_b64 s[30:31], -1, 0
	s_waitcnt lgkmcnt(0)
	s_and_b32 s10, s5, 0xffff
	s_lshl_b32 s5, s66, 1
	s_add_i32 s48, s5, -2
	s_ashr_i32 s49, s48, 31
	s_add_i32 s5, s5, s9
	s_lshl_b64 s[72:73], s[48:49], 3
	v_add_u32_e32 v4, s5, v21
	s_ashr_i32 s5, s4, 31
	s_or_b32 s72, s72, 8
	s_not_b64 s[74:75], s[48:49]
	s_or_b32 s24, s48, 1
	s_lshl_b64 s[4:5], s[4:5], 2
	s_lshl_b64 s[52:53], s[68:69], 2
	s_add_u32 s4, s4, s52
	s_addc_u32 s5, s5, s53
	v_readlane_b32 s18, v38, 10
	s_add_u32 s76, s18, s4
	v_readlane_b32 s4, v38, 12
	s_addc_u32 s77, s4, s5
	s_lshl_b64 s[78:79], s[48:49], 2
	s_ashr_i32 s61, s60, 31
	s_or_b32 s78, s78, 4
	s_lshl_b64 s[4:5], s[60:61], 2
	s_sub_u32 s4, s4, s64
	s_subb_u32 s5, s5, s65
	s_add_u32 s48, s4, 20
	v_add_u32_e32 v2, s9, v20
	s_mul_i32 s21, s23, s10
	s_mov_b32 s25, s49
	s_addc_u32 s49, s5, 0
	s_mov_b64 s[80:81], 0
	v_mov_b32_e32 v26, v0
	s_branch .LBB187_162
.LBB187_161:                            ;   in Loop: Header=BB187_162 Depth=2
	v_lshlrev_b64 v[8:9], 3, v[8:9]
	v_mov_b32_e32 v3, s15
	v_add_co_u32_e32 v8, vcc, s14, v8
	v_addc_co_u32_e32 v9, vcc, v3, v9, vcc
	v_add_u32_e32 v26, s10, v26
	v_cmp_le_i32_e32 vcc, s37, v26
	v_add_u32_e32 v2, s21, v2
	s_or_b64 s[80:81], vcc, s[80:81]
	v_add_u32_e32 v4, s21, v4
	s_waitcnt vmcnt(0) lgkmcnt(0)
	flat_store_dwordx2 v[8:9], v[6:7]
	s_andn2_b64 exec, exec, s[80:81]
	s_cbranch_execz .LBB187_165
.LBB187_162:                            ;   Parent Loop BB187_11 Depth=1
                                        ; =>  This Loop Header: Depth=2
                                        ;       Child Loop BB187_164 Depth 3
	v_mul_lo_u32 v3, v26, s23
	v_add_u32_e32 v8, s9, v3
	v_ashrrev_i32_e32 v9, 31, v8
	v_lshlrev_b64 v[6:7], 3, v[8:9]
	v_mov_b32_e32 v3, s15
	v_add_co_u32_e32 v6, vcc, s14, v6
	v_addc_co_u32_e32 v7, vcc, v3, v7, vcc
	flat_load_dwordx2 v[6:7], v[6:7]
	s_andn2_b64 vcc, exec, s[30:31]
	s_cbranch_vccnz .LBB187_161
; %bb.163:                              ;   in Loop: Header=BB187_162 Depth=2
	v_ashrrev_i32_e32 v3, 31, v2
	v_lshlrev_b64 v[10:11], 3, v[2:3]
	v_ashrrev_i32_e32 v5, 31, v4
	v_mov_b32_e32 v3, s75
	v_add_co_u32_e32 v8, vcc, s74, v4
	v_addc_co_u32_e32 v9, vcc, v3, v5, vcc
	v_lshlrev_b64 v[12:13], 3, v[4:5]
	s_mov_b64 s[82:83], s[76:77]
	s_mov_b64 s[84:85], s[14:15]
	s_mov_b32 s52, s28
.LBB187_164:                            ;   Parent Loop BB187_11 Depth=1
                                        ;     Parent Loop BB187_162 Depth=2
                                        ; =>    This Inner Loop Header: Depth=3
	v_mov_b32_e32 v3, s85
	v_add_co_u32_e32 v28, vcc, s84, v12
	s_add_u32 s4, s82, s48
	v_addc_co_u32_e32 v29, vcc, v3, v13, vcc
	s_addc_u32 s5, s83, s49
	flat_load_dwordx2 v[28:29], v[28:29]
	s_nop 0
	global_load_dword v30, v15, s[4:5]
	global_load_dword v32, v15, s[82:83] offset:16
	s_add_i32 s52, s52, -1
	v_add_co_u32_e64 v34, s[4:5], s84, v10
	s_add_u32 s84, s84, s72
	s_addc_u32 s85, s85, s73
	v_mov_b32_e32 v5, s25
	v_add_co_u32_e32 v8, vcc, s24, v8
	s_add_u32 s82, s82, s78
	v_addc_co_u32_e64 v35, s[4:5], v3, v11, s[4:5]
	v_addc_co_u32_e32 v9, vcc, v9, v5, vcc
	s_addc_u32 s83, s83, s79
	s_cmp_eq_u32 s52, 0
	s_waitcnt vmcnt(0) lgkmcnt(0)
	v_mul_f32_e32 v3, v28, v30
	v_mul_f32_e32 v5, v29, v30
	v_pk_mul_f32 v[30:31], v[6:7], v[30:31] op_sel_hi:[1,0]
	v_fma_f32 v36, v6, v32, -v3
	v_fma_f32 v37, v7, v32, -v5
	v_pk_fma_f32 v[6:7], v[28:29], v[32:33], v[30:31] op_sel_hi:[1,0,1]
	flat_store_dwordx2 v[34:35], v[36:37]
	s_cbranch_scc0 .LBB187_164
	s_branch .LBB187_161
.LBB187_165:                            ;   in Loop: Header=BB187_11 Depth=1
	s_or_b64 exec, exec, s[12:13]
	s_mov_b32 s77, s19
.LBB187_166:                            ;   in Loop: Header=BB187_11 Depth=1
	s_andn2_b64 vcc, exec, s[86:87]
	s_cbranch_vccnz .LBB187_174
; %bb.167:                              ;   in Loop: Header=BB187_11 Depth=1
	s_and_saveexec_b64 s[4:5], s[94:95]
	s_cbranch_execz .LBB187_173
; %bb.168:                              ;   in Loop: Header=BB187_11 Depth=1
	s_mul_i32 s12, s62, s89
	s_ashr_i32 s13, s12, 31
	s_lshl_b64 s[12:13], s[12:13], 3
	s_add_u32 s9, s34, s12
	s_addc_u32 s10, s35, s13
	s_add_i32 s12, s28, -1
	s_load_dword s15, s[50:51], 0xc
	s_cmp_eq_u32 s66, 0
	s_cselect_b32 s12, s12, 0
	s_cselect_b32 s52, s28, 0
	s_add_i32 s14, s12, s29
	s_cmp_gt_i32 s28, 0
	s_cselect_b64 s[12:13], -1, 0
	s_waitcnt lgkmcnt(0)
	s_and_b32 s24, s15, 0xffff
	s_ashr_i32 s15, s14, 31
	s_lshl_b64 s[30:31], s[68:69], 2
	s_lshl_b64 s[14:15], s[14:15], 2
	s_add_u32 s14, s30, s14
	s_addc_u32 s15, s31, s15
	v_readlane_b32 s18, v38, 10
	s_add_u32 s14, s18, s14
	v_readlane_b32 s18, v38, 12
	s_addc_u32 s15, s18, s15
	s_lshl_b32 s53, s66, 1
	s_add_i32 s30, s53, -2
	s_ashr_i32 s31, s30, 31
	s_lshl_b64 s[30:31], s[30:31], 2
	s_ashr_i32 s61, s60, 31
	s_or_b32 s30, s30, 4
	s_lshl_b64 s[48:49], s[60:61], 2
	s_sub_u32 s25, s48, s64
	s_subb_u32 s48, s49, s65
	s_add_u32 s25, s25, 20
	s_mul_i32 s21, s52, s89
	s_addc_u32 s48, s48, 0
	s_add_i32 s52, s52, s53
	s_add_i32 s52, s52, -1
	s_mul_i32 s52, s89, s52
	v_add_u32_e32 v6, s21, v0
	s_mul_i32 s49, s89, s70
	v_add_u32_e32 v7, s52, v0
	s_mov_b64 s[70:71], 0
	v_mov_b32_e32 v8, v0
	s_branch .LBB187_170
.LBB187_169:                            ;   in Loop: Header=BB187_170 Depth=2
	v_lshlrev_b64 v[4:5], 3, v[4:5]
	v_mov_b32_e32 v9, s10
	v_add_co_u32_e32 v4, vcc, s9, v4
	v_addc_co_u32_e32 v5, vcc, v9, v5, vcc
	v_add_u32_e32 v8, s24, v8
	v_cmp_le_i32_e32 vcc, s38, v8
	v_add_u32_e32 v6, s24, v6
	s_or_b64 s[70:71], vcc, s[70:71]
	v_add_u32_e32 v7, s24, v7
	s_waitcnt vmcnt(0) lgkmcnt(0)
	flat_store_dwordx2 v[4:5], v[2:3]
	s_andn2_b64 exec, exec, s[70:71]
	s_cbranch_execz .LBB187_173
.LBB187_170:                            ;   Parent Loop BB187_11 Depth=1
                                        ; =>  This Loop Header: Depth=2
                                        ;       Child Loop BB187_172 Depth 3
	v_add_u32_e32 v4, s21, v8
	v_ashrrev_i32_e32 v5, 31, v4
	v_lshlrev_b64 v[2:3], 3, v[4:5]
	v_mov_b32_e32 v9, s10
	v_add_co_u32_e32 v2, vcc, s9, v2
	v_addc_co_u32_e32 v3, vcc, v9, v3, vcc
	flat_load_dwordx2 v[2:3], v[2:3]
	s_andn2_b64 vcc, exec, s[12:13]
	s_cbranch_vccnz .LBB187_169
; %bb.171:                              ;   in Loop: Header=BB187_170 Depth=2
	s_mov_b32 s52, 0
	s_mov_b64 s[72:73], s[14:15]
	s_mov_b32 s53, s28
.LBB187_172:                            ;   Parent Loop BB187_11 Depth=1
                                        ;     Parent Loop BB187_170 Depth=2
                                        ; =>    This Inner Loop Header: Depth=3
	v_add_u32_e32 v4, s52, v7
	v_ashrrev_i32_e32 v5, 31, v4
	v_lshlrev_b64 v[12:13], 3, v[4:5]
	v_mov_b32_e32 v9, s10
	s_add_u32 s54, s72, s25
	v_add_co_u32_e32 v12, vcc, s9, v12
	s_addc_u32 s55, s73, s48
	v_addc_co_u32_e32 v13, vcc, v9, v13, vcc
	global_load_dword v10, v15, s[72:73] offset:16
	global_load_dword v26, v15, s[54:55]
	v_add_u32_e32 v28, s52, v6
	flat_load_dwordx2 v[12:13], v[12:13]
	v_ashrrev_i32_e32 v29, 31, v28
	s_add_i32 s53, s53, -1
	v_lshlrev_b64 v[28:29], 3, v[28:29]
	s_add_u32 s72, s72, s30
	v_add_co_u32_e32 v28, vcc, s9, v28
	v_addc_co_u32_e32 v29, vcc, v9, v29, vcc
	s_addc_u32 s73, s73, s31
	s_add_i32 s52, s52, s49
	s_cmp_eq_u32 s53, 0
	s_waitcnt vmcnt(0) lgkmcnt(0)
	v_pk_mul_f32 v[30:31], v[2:3], v[26:27] op_sel_hi:[1,0]
	v_mul_f32_e32 v9, v12, v26
	v_mul_f32_e32 v11, v13, v26
	v_fma_f32 v26, v2, v10, -v9
	v_fma_f32 v27, v3, v10, -v11
	v_pk_fma_f32 v[2:3], v[12:13], v[10:11], v[30:31] op_sel_hi:[1,0,1]
	flat_store_dwordx2 v[28:29], v[26:27]
	s_cbranch_scc0 .LBB187_172
	s_branch .LBB187_169
.LBB187_173:                            ;   in Loop: Header=BB187_11 Depth=1
	s_or_b64 exec, exec, s[4:5]
.LBB187_174:                            ;   in Loop: Header=BB187_11 Depth=1
	v_readlane_b32 s4, v38, 4
	v_readlane_b32 s5, v38, 5
	s_andn2_b64 vcc, exec, s[4:5]
	s_cbranch_vccnz .LBB187_10
; %bb.175:                              ;   in Loop: Header=BB187_11 Depth=1
	s_mov_b64 s[12:13], exec
	v_readlane_b32 s4, v38, 6
	v_readlane_b32 s5, v38, 7
	s_and_b64 s[4:5], s[12:13], s[4:5]
	s_mov_b64 exec, s[4:5]
	s_cbranch_execz .LBB187_9
; %bb.176:                              ;   in Loop: Header=BB187_11 Depth=1
	s_lshl_b64 s[4:5], s[62:63], 3
	s_add_u32 s14, s44, s4
	s_addc_u32 s15, s45, s5
	s_add_i32 s4, s28, -1
	s_load_dword s5, s[50:51], 0xc
	s_cmp_eq_u32 s66, 0
	s_cselect_b32 s4, s4, 0
	s_cselect_b32 s9, s28, 0
	s_add_i32 s4, s4, s29
	s_cmp_gt_i32 s28, 0
	s_cselect_b64 s[30:31], -1, 0
	s_waitcnt lgkmcnt(0)
	s_and_b32 s10, s5, 0xffff
	s_ashr_i32 s5, s4, 31
	s_lshl_b64 s[24:25], s[68:69], 2
	s_lshl_b64 s[4:5], s[4:5], 2
	s_add_u32 s4, s24, s4
	s_addc_u32 s5, s25, s5
	v_readlane_b32 s18, v38, 10
	s_add_u32 s62, s18, s4
	v_readlane_b32 s4, v38, 12
	s_addc_u32 s63, s4, s5
	s_lshl_b32 s25, s66, 1
	s_add_i32 s66, s25, -2
	s_ashr_i32 s67, s66, 31
	s_lshl_b64 s[68:69], s[66:67], 2
	s_ashr_i32 s61, s60, 31
	s_or_b32 s68, s68, 4
	s_lshl_b64 s[4:5], s[60:61], 2
	s_sub_u32 s4, s4, s64
	s_subb_u32 s5, s5, s65
	s_add_u32 s21, s4, 20
	s_addc_u32 s24, s5, 0
	s_add_i32 s25, s25, s9
	s_lshl_b64 s[60:61], s[66:67], 3
	v_add_u32_e32 v2, s25, v23
	s_mul_i32 s25, s43, s10
	s_or_b32 s60, s60, 8
	v_add_u32_e32 v4, s9, v22
	s_not_b64 s[64:65], s[66:67]
	s_or_b32 s66, s66, 1
	s_mov_b64 s[70:71], 0
	v_mov_b32_e32 v26, v0
	s_branch .LBB187_178
.LBB187_177:                            ;   in Loop: Header=BB187_178 Depth=2
	v_lshlrev_b64 v[8:9], 3, v[8:9]
	v_mov_b32_e32 v3, s15
	v_add_co_u32_e32 v8, vcc, s14, v8
	v_addc_co_u32_e32 v9, vcc, v3, v9, vcc
	v_add_u32_e32 v26, s10, v26
	v_cmp_le_i32_e32 vcc, s39, v26
	v_add_u32_e32 v2, s25, v2
	s_or_b64 s[70:71], vcc, s[70:71]
	v_add_u32_e32 v4, s25, v4
	s_waitcnt vmcnt(0) lgkmcnt(0)
	flat_store_dwordx2 v[8:9], v[6:7]
	s_andn2_b64 exec, exec, s[70:71]
	s_cbranch_execz .LBB187_9
.LBB187_178:                            ;   Parent Loop BB187_11 Depth=1
                                        ; =>  This Loop Header: Depth=2
                                        ;       Child Loop BB187_180 Depth 3
	v_mul_lo_u32 v3, v26, s43
	v_add_u32_e32 v8, s9, v3
	v_ashrrev_i32_e32 v9, 31, v8
	v_lshlrev_b64 v[6:7], 3, v[8:9]
	v_mov_b32_e32 v3, s15
	v_add_co_u32_e32 v6, vcc, s14, v6
	v_addc_co_u32_e32 v7, vcc, v3, v7, vcc
	flat_load_dwordx2 v[6:7], v[6:7]
	s_andn2_b64 vcc, exec, s[30:31]
	s_cbranch_vccnz .LBB187_177
; %bb.179:                              ;   in Loop: Header=BB187_178 Depth=2
	v_ashrrev_i32_e32 v5, 31, v4
	v_ashrrev_i32_e32 v3, 31, v2
	v_lshlrev_b64 v[12:13], 3, v[4:5]
	v_mov_b32_e32 v5, s65
	v_add_co_u32_e32 v8, vcc, s64, v2
	v_lshlrev_b64 v[10:11], 3, v[2:3]
	v_addc_co_u32_e32 v9, vcc, v5, v3, vcc
	s_mov_b64 s[72:73], s[14:15]
	s_mov_b64 s[74:75], s[62:63]
	s_mov_b32 s29, s28
.LBB187_180:                            ;   Parent Loop BB187_11 Depth=1
                                        ;     Parent Loop BB187_178 Depth=2
                                        ; =>    This Inner Loop Header: Depth=3
	v_mov_b32_e32 v3, s73
	s_add_u32 s4, s74, s21
	v_add_co_u32_e32 v30, vcc, s72, v10
	v_addc_co_u32_e32 v31, vcc, v3, v11, vcc
	s_addc_u32 s5, s75, s24
	global_load_dword v28, v15, s[74:75] offset:16
	global_load_dword v32, v15, s[4:5]
	s_nop 0
	flat_load_dwordx2 v[30:31], v[30:31]
	s_add_i32 s29, s29, -1
	s_add_u32 s74, s74, s68
	s_addc_u32 s75, s75, s69
	v_mov_b32_e32 v5, s67
	v_add_co_u32_e32 v8, vcc, s66, v8
	v_add_co_u32_e64 v34, s[4:5], s72, v12
	s_add_u32 s72, s72, s60
	v_addc_co_u32_e64 v35, s[4:5], v3, v13, s[4:5]
	v_addc_co_u32_e32 v9, vcc, v9, v5, vcc
	s_addc_u32 s73, s73, s61
	s_cmp_eq_u32 s29, 0
	s_waitcnt vmcnt(0) lgkmcnt(0)
	v_mul_f32_e32 v3, v30, v32
	v_mul_f32_e32 v5, v31, v32
	v_pk_mul_f32 v[32:33], v[6:7], v[32:33] op_sel_hi:[1,0]
	v_fma_f32 v36, v6, v28, -v3
	v_fma_f32 v37, v7, v28, -v5
	v_pk_fma_f32 v[6:7], v[30:31], v[28:29], v[32:33] op_sel_hi:[1,0,1]
	flat_store_dwordx2 v[34:35], v[36:37]
	s_cbranch_scc0 .LBB187_180
	s_branch .LBB187_177
.LBB187_181:
	s_endpgm
	.section	.rodata,"a",@progbits
	.p2align	6, 0x0
	.amdhsa_kernel _ZN9rocsolver6v33100L13bdsqr_computeILi256E19rocblas_complex_numIfEfPS3_S4_S4_EEviiiiPT1_lS6_lT2_iilT3_iilT4_iiliS5_S5_S5_S5_PiS6_ilSA_
		.amdhsa_group_segment_fixed_size 1040
		.amdhsa_private_segment_fixed_size 0
		.amdhsa_kernarg_size 440
		.amdhsa_user_sgpr_count 6
		.amdhsa_user_sgpr_private_segment_buffer 1
		.amdhsa_user_sgpr_dispatch_ptr 0
		.amdhsa_user_sgpr_queue_ptr 0
		.amdhsa_user_sgpr_kernarg_segment_ptr 1
		.amdhsa_user_sgpr_dispatch_id 0
		.amdhsa_user_sgpr_flat_scratch_init 0
		.amdhsa_user_sgpr_kernarg_preload_length 0
		.amdhsa_user_sgpr_kernarg_preload_offset 0
		.amdhsa_user_sgpr_private_segment_size 0
		.amdhsa_uses_dynamic_stack 0
		.amdhsa_system_sgpr_private_segment_wavefront_offset 0
		.amdhsa_system_sgpr_workgroup_id_x 1
		.amdhsa_system_sgpr_workgroup_id_y 1
		.amdhsa_system_sgpr_workgroup_id_z 1
		.amdhsa_system_sgpr_workgroup_info 0
		.amdhsa_system_vgpr_workitem_id 0
		.amdhsa_next_free_vgpr 39
		.amdhsa_next_free_sgpr 96
		.amdhsa_accum_offset 40
		.amdhsa_reserve_vcc 1
		.amdhsa_reserve_flat_scratch 0
		.amdhsa_float_round_mode_32 0
		.amdhsa_float_round_mode_16_64 0
		.amdhsa_float_denorm_mode_32 3
		.amdhsa_float_denorm_mode_16_64 3
		.amdhsa_dx10_clamp 1
		.amdhsa_ieee_mode 1
		.amdhsa_fp16_overflow 0
		.amdhsa_tg_split 0
		.amdhsa_exception_fp_ieee_invalid_op 0
		.amdhsa_exception_fp_denorm_src 0
		.amdhsa_exception_fp_ieee_div_zero 0
		.amdhsa_exception_fp_ieee_overflow 0
		.amdhsa_exception_fp_ieee_underflow 0
		.amdhsa_exception_fp_ieee_inexact 0
		.amdhsa_exception_int_div_zero 0
	.end_amdhsa_kernel
	.section	.text._ZN9rocsolver6v33100L13bdsqr_computeILi256E19rocblas_complex_numIfEfPS3_S4_S4_EEviiiiPT1_lS6_lT2_iilT3_iilT4_iiliS5_S5_S5_S5_PiS6_ilSA_,"axG",@progbits,_ZN9rocsolver6v33100L13bdsqr_computeILi256E19rocblas_complex_numIfEfPS3_S4_S4_EEviiiiPT1_lS6_lT2_iilT3_iilT4_iiliS5_S5_S5_S5_PiS6_ilSA_,comdat
.Lfunc_end187:
	.size	_ZN9rocsolver6v33100L13bdsqr_computeILi256E19rocblas_complex_numIfEfPS3_S4_S4_EEviiiiPT1_lS6_lT2_iilT3_iilT4_iiliS5_S5_S5_S5_PiS6_ilSA_, .Lfunc_end187-_ZN9rocsolver6v33100L13bdsqr_computeILi256E19rocblas_complex_numIfEfPS3_S4_S4_EEviiiiPT1_lS6_lT2_iilT3_iilT4_iiliS5_S5_S5_S5_PiS6_ilSA_
                                        ; -- End function
	.section	.AMDGPU.csdata,"",@progbits
; Kernel info:
; codeLenInByte = 8772
; NumSgprs: 100
; NumVgprs: 39
; NumAgprs: 0
; TotalNumVgprs: 39
; ScratchSize: 0
; MemoryBound: 0
; FloatMode: 240
; IeeeMode: 1
; LDSByteSize: 1040 bytes/workgroup (compile time only)
; SGPRBlocks: 12
; VGPRBlocks: 4
; NumSGPRsForWavesPerEU: 100
; NumVGPRsForWavesPerEU: 39
; AccumOffset: 40
; Occupancy: 8
; WaveLimiterHint : 1
; COMPUTE_PGM_RSRC2:SCRATCH_EN: 0
; COMPUTE_PGM_RSRC2:USER_SGPR: 6
; COMPUTE_PGM_RSRC2:TRAP_HANDLER: 0
; COMPUTE_PGM_RSRC2:TGID_X_EN: 1
; COMPUTE_PGM_RSRC2:TGID_Y_EN: 1
; COMPUTE_PGM_RSRC2:TGID_Z_EN: 1
; COMPUTE_PGM_RSRC2:TIDIG_COMP_CNT: 0
; COMPUTE_PGM_RSRC3_GFX90A:ACCUM_OFFSET: 9
; COMPUTE_PGM_RSRC3_GFX90A:TG_SPLIT: 0
	.section	.text._ZN9rocsolver6v33100L12bdsqr_rotateI19rocblas_complex_numIfEfPS3_S4_S4_EEviiiiT1_iilT2_iilT3_iiliPiPT0_ilS8_,"axG",@progbits,_ZN9rocsolver6v33100L12bdsqr_rotateI19rocblas_complex_numIfEfPS3_S4_S4_EEviiiiT1_iilT2_iilT3_iiliPiPT0_ilS8_,comdat
	.globl	_ZN9rocsolver6v33100L12bdsqr_rotateI19rocblas_complex_numIfEfPS3_S4_S4_EEviiiiT1_iilT2_iilT3_iiliPiPT0_ilS8_ ; -- Begin function _ZN9rocsolver6v33100L12bdsqr_rotateI19rocblas_complex_numIfEfPS3_S4_S4_EEviiiiT1_iilT2_iilT3_iiliPiPT0_ilS8_
	.p2align	8
	.type	_ZN9rocsolver6v33100L12bdsqr_rotateI19rocblas_complex_numIfEfPS3_S4_S4_EEviiiiT1_iilT2_iilT3_iiliPiPT0_ilS8_,@function
_ZN9rocsolver6v33100L12bdsqr_rotateI19rocblas_complex_numIfEfPS3_S4_S4_EEviiiiT1_iilT2_iilT3_iiliPiPT0_ilS8_: ; @_ZN9rocsolver6v33100L12bdsqr_rotateI19rocblas_complex_numIfEfPS3_S4_S4_EEviiiiT1_iilT2_iilT3_iiliPiPT0_ilS8_
; %bb.0:
	s_load_dwordx4 s[0:3], s[4:5], 0x78
	s_ashr_i32 s9, s8, 31
	s_lshl_b64 s[10:11], s[8:9], 2
	s_waitcnt lgkmcnt(0)
	s_add_u32 s2, s2, s10
	s_addc_u32 s3, s3, s11
	s_load_dword s2, s[2:3], 0x8
	s_waitcnt lgkmcnt(0)
	s_cmp_lg_u32 s2, 0
	s_cbranch_scc1 .LBB188_25
; %bb.1:
	s_load_dwordx8 s[12:19], s[4:5], 0x10
	s_add_u32 s24, s4, 0x88
	s_addc_u32 s25, s5, 0
	s_mov_b64 s[2:3], 0
	s_mov_b64 s[10:11], 0
	s_waitcnt lgkmcnt(0)
	s_cmp_eq_u64 s[12:13], 0
	s_cbranch_scc1 .LBB188_3
; %bb.2:
	s_ashr_i32 s11, s14, 31
	s_mov_b32 s10, s14
	s_mul_i32 s14, s8, s17
	s_mul_hi_u32 s17, s8, s16
	s_add_i32 s14, s17, s14
	s_mul_i32 s17, s9, s16
	s_add_i32 s17, s14, s17
	s_mul_i32 s16, s8, s16
	s_lshl_b64 s[16:17], s[16:17], 3
	s_add_u32 s12, s12, s16
	s_addc_u32 s13, s13, s17
	s_lshl_b64 s[10:11], s[10:11], 3
	s_add_u32 s10, s12, s10
	s_addc_u32 s11, s13, s11
.LBB188_3:
	s_load_dwordx2 s[12:13], s[4:5], 0x30
	s_load_dwordx4 s[20:23], s[4:5], 0x38
	s_cmp_eq_u64 s[18:19], 0
	s_cbranch_scc1 .LBB188_5
; %bb.4:
	s_waitcnt lgkmcnt(0)
	s_ashr_i32 s3, s12, 31
	s_mov_b32 s2, s12
	s_mul_i32 s12, s8, s21
	s_mul_hi_u32 s14, s8, s20
	s_add_i32 s12, s14, s12
	s_mul_i32 s14, s9, s20
	s_add_i32 s17, s12, s14
	s_mul_i32 s16, s8, s20
	s_lshl_b64 s[16:17], s[16:17], 3
	s_add_u32 s12, s18, s16
	s_addc_u32 s14, s19, s17
	s_lshl_b64 s[2:3], s[2:3], 3
	s_add_u32 s2, s12, s2
	s_addc_u32 s3, s14, s3
.LBB188_5:
	s_load_dwordx2 s[26:27], s[4:5], 0x48
	s_waitcnt lgkmcnt(0)
	s_cmp_eq_u64 s[22:23], 0
	s_mov_b64 s[20:21], 0
	s_cbranch_scc1 .LBB188_7
; %bb.6:
	s_load_dwordx2 s[16:17], s[4:5], 0x50
	s_ashr_i32 s19, s26, 31
	s_mov_b32 s18, s26
	s_waitcnt lgkmcnt(0)
	s_mul_i32 s12, s8, s17
	s_mul_hi_u32 s14, s8, s16
	s_mul_i32 s17, s9, s16
	s_add_i32 s12, s14, s12
	s_add_i32 s17, s12, s17
	s_mul_i32 s16, s8, s16
	s_lshl_b64 s[16:17], s[16:17], 3
	s_add_u32 s12, s22, s16
	s_addc_u32 s14, s23, s17
	s_lshl_b64 s[16:17], s[18:19], 3
	s_add_u32 s20, s12, s16
	s_addc_u32 s21, s14, s17
.LBB188_7:
	s_load_dwordx4 s[16:19], s[4:5], 0x60
	s_mul_i32 s1, s8, s1
	s_mul_hi_u32 s12, s8, s0
	s_add_i32 s1, s12, s1
	s_mul_i32 s9, s9, s0
	s_add_i32 s1, s1, s9
	s_mul_i32 s0, s8, s0
	s_lshl_b64 s[22:23], s[0:1], 2
	s_waitcnt lgkmcnt(0)
	s_add_u32 s0, s18, s22
	s_addc_u32 s1, s19, s23
	s_load_dword s0, s[0:1], 0x8
	s_waitcnt lgkmcnt(0)
	v_cvt_i32_f32_e32 v6, s0
	v_cmp_ge_i32_e32 vcc, s7, v6
	s_cbranch_vccnz .LBB188_25
; %bb.8:
	s_load_dwordx4 s[28:31], s[4:5], 0x0
	s_load_dword s12, s[4:5], 0x58
	s_load_dword s9, s[4:5], 0x94
	;; [unrolled: 1-line block ×3, first 2 shown]
	v_mov_b32_e32 v10, 0
	s_waitcnt lgkmcnt(0)
	s_mul_i32 s0, s8, s28
	s_lshl_b32 s0, s0, 1
	s_ashr_i32 s1, s0, 31
	s_lshl_b64 s[0:1], s[0:1], 2
	s_add_u32 s40, s16, s0
	s_addc_u32 s41, s17, s1
	s_and_b32 s0, 0xffff, s9
	s_mul_i32 s6, s6, s0
	s_cmp_eq_u32 s29, 0
	v_add_u32_e32 v7, s6, v0
	s_cselect_b64 s[0:1], -1, 0
	s_cmp_lg_u64 s[10:11], 0
	s_cselect_b64 s[4:5], -1, 0
	v_cmp_gt_i32_e32 vcc, s29, v7
	s_and_b64 s[4:5], vcc, s[4:5]
	s_cmp_lg_u64 s[2:3], 0
	s_cselect_b64 s[8:9], -1, 0
	v_cmp_gt_i32_e32 vcc, s30, v7
	s_and_b64 s[8:9], vcc, s[8:9]
	s_cmp_lg_u64 s[20:21], 0
	s_load_dword s6, s[24:25], 0x4
	v_mul_lo_u32 v8, v7, s15
	s_cselect_b64 s[14:15], -1, 0
	v_cmp_gt_i32_e32 vcc, s31, v7
	s_and_b64 s[14:15], vcc, s[14:15]
	s_add_u32 s42, s18, s22
	v_mul_lo_u32 v9, v7, s27
	s_addc_u32 s43, s19, s23
	s_branch .LBB188_12
.LBB188_9:                              ;   in Loop: Header=BB188_12 Depth=1
	v_mov_b32_e32 v2, s27
	v_subrev_co_u32_e32 v3, vcc, s26, v4
	v_subb_co_u32_e32 v4, vcc, v5, v2, vcc
	v_mov_b32_e32 v5, s19
	v_add_co_u32_e32 v2, vcc, s18, v3
	v_addc_co_u32_e32 v3, vcc, v5, v4, vcc
	flat_store_dwordx2 v[2:3], v[0:1]
.LBB188_10:                             ;   in Loop: Header=BB188_12 Depth=1
	s_or_b64 exec, exec, s[28:29]
.LBB188_11:                             ;   in Loop: Header=BB188_12 Depth=1
	s_add_i32 s7, s6, s7
	v_cmp_lt_i32_e32 vcc, s7, v6
	s_cbranch_vccz .LBB188_25
.LBB188_12:                             ; =>This Loop Header: Depth=1
                                        ;     Child Loop BB188_16 Depth 2
                                        ;     Child Loop BB188_20 Depth 2
	;; [unrolled: 1-line block ×3, first 2 shown]
	s_lshl_b32 s16, s7, 2
	s_ashr_i32 s17, s16, 31
	s_lshl_b64 s[16:17], s[16:17], 2
	s_add_u32 s16, s40, s16
	s_addc_u32 s17, s41, s17
	s_load_dwordx2 s[18:19], s[16:17], 0x0
	s_load_dword s24, s[16:17], 0x8
	s_waitcnt lgkmcnt(0)
	s_cmp_le_i32 s24, s19
	s_cbranch_scc1 .LBB188_11
; %bb.13:                               ;   in Loop: Header=BB188_12 Depth=1
	s_load_dword s16, s[16:17], 0xc
	s_waitcnt lgkmcnt(0)
	s_cmp_lt_i32 s16, s12
	s_cselect_b64 s[16:17], -1, 0
	s_cmp_lg_u32 s18, 0
	s_cselect_b64 s[22:23], -1, 0
	s_and_b64 s[16:17], s[16:17], s[22:23]
	s_andn2_b64 vcc, exec, s[16:17]
	s_cbranch_vccnz .LBB188_11
; %bb.14:                               ;   in Loop: Header=BB188_12 Depth=1
	s_mul_i32 s22, s19, s33
	s_ashr_i32 s23, s22, 31
	s_cmp_gt_i32 s18, 0
	s_cselect_b64 s[26:27], -1, 0
	s_sub_i32 s16, s24, s19
	s_and_saveexec_b64 s[28:29], s[4:5]
	s_cbranch_execz .LBB188_18
; %bb.15:                               ;   in Loop: Header=BB188_12 Depth=1
	s_and_b64 s[30:31], s[26:27], exec
	s_cselect_b32 s17, s19, s24
	v_add_u32_e32 v4, s17, v8
	v_ashrrev_i32_e32 v5, 31, v4
	v_lshlrev_b64 v[2:3], 3, v[4:5]
	v_mov_b32_e32 v1, s11
	v_add_co_u32_e32 v0, vcc, s10, v2
	v_addc_co_u32_e32 v1, vcc, v1, v3, vcc
	flat_load_dwordx2 v[0:1], v[0:1]
	s_add_i32 s17, s16, -1
	s_and_b64 s[30:31], s[26:27], exec
	s_cselect_b32 s34, 0, s17
	s_ashr_i32 s37, s18, 31
	s_mov_b32 s36, s18
	s_ashr_i32 s35, s34, 31
	s_lshl_b64 s[30:31], s[36:37], 3
	s_lshl_b64 s[34:35], s[34:35], 2
	;; [unrolled: 1-line block ×3, first 2 shown]
	s_add_u32 s17, s34, s38
	s_addc_u32 s25, s35, s39
	s_add_u32 s34, s42, s17
	s_addc_u32 s35, s43, s25
	s_ashr_i32 s25, s24, 31
	s_ashr_i32 s45, s19, 31
	s_mov_b32 s44, s19
	s_lshl_b64 s[36:37], s[36:37], 2
	s_lshl_b64 s[38:39], s[24:25], 2
	;; [unrolled: 1-line block ×3, first 2 shown]
	s_sub_u32 s17, s38, s44
	v_add_u32_e32 v4, s18, v4
	s_subb_u32 s25, s39, s45
	v_ashrrev_i32_e32 v5, 31, v4
	s_add_u32 s17, s17, 20
	v_lshlrev_b64 v[4:5], 3, v[4:5]
	s_addc_u32 s25, s25, 0
	s_mov_b32 s44, s16
	s_mov_b64 s[38:39], s[10:11]
.LBB188_16:                             ;   Parent Loop BB188_12 Depth=1
                                        ; =>  This Inner Loop Header: Depth=2
	v_mov_b32_e32 v11, s39
	s_add_u32 s46, s34, s17
	v_add_co_u32_e32 v14, vcc, s38, v4
	v_addc_co_u32_e32 v15, vcc, v11, v5, vcc
	s_addc_u32 s47, s35, s25
	global_load_dword v12, v10, s[34:35] offset:16
	global_load_dword v16, v10, s[46:47]
	s_nop 0
	flat_load_dwordx2 v[14:15], v[14:15]
	v_add_co_u32_e32 v18, vcc, s38, v2
	s_add_u32 s38, s38, s30
	s_addc_u32 s39, s39, s31
	s_add_u32 s34, s34, s36
	v_addc_co_u32_e32 v19, vcc, v11, v3, vcc
	s_addc_u32 s35, s35, s37
	s_add_i32 s44, s44, -1
	s_cmp_eq_u32 s44, 0
	s_waitcnt vmcnt(0) lgkmcnt(0)
	v_mul_f32_e32 v11, v14, v16
	v_mul_f32_e32 v13, v15, v16
	v_pk_mul_f32 v[16:17], v[0:1], v[16:17] op_sel_hi:[1,0]
	v_fma_f32 v20, v0, v12, -v11
	v_fma_f32 v21, v1, v12, -v13
	v_pk_fma_f32 v[0:1], v[14:15], v[12:13], v[16:17] op_sel_hi:[1,0,1]
	flat_store_dwordx2 v[18:19], v[20:21]
	s_cbranch_scc0 .LBB188_16
; %bb.17:                               ;   in Loop: Header=BB188_12 Depth=1
	v_mov_b32_e32 v2, s31
	v_subrev_co_u32_e32 v3, vcc, s30, v4
	v_subb_co_u32_e32 v4, vcc, v5, v2, vcc
	v_mov_b32_e32 v5, s39
	v_add_co_u32_e32 v2, vcc, s38, v3
	v_addc_co_u32_e32 v3, vcc, v5, v4, vcc
	flat_store_dwordx2 v[2:3], v[0:1]
.LBB188_18:                             ;   in Loop: Header=BB188_12 Depth=1
	s_or_b64 exec, exec, s[28:29]
	s_lshl_b32 s17, s16, 1
	s_add_i32 s17, s17, 2
	s_and_b64 s[28:29], s[0:1], exec
	s_cselect_b32 s25, 0, s17
	s_and_saveexec_b64 s[28:29], s[8:9]
	s_cbranch_execz .LBB188_22
; %bb.19:                               ;   in Loop: Header=BB188_12 Depth=1
	s_and_b64 s[30:31], s[26:27], exec
	s_cselect_b32 s34, s19, s24
	s_mul_i32 s36, s34, s13
	v_add_u32_e32 v0, s36, v7
	v_ashrrev_i32_e32 v1, 31, v0
	v_lshlrev_b64 v[0:1], 3, v[0:1]
	v_mov_b32_e32 v2, s3
	v_add_co_u32_e32 v0, vcc, s2, v0
	v_addc_co_u32_e32 v1, vcc, v2, v1, vcc
	flat_load_dwordx2 v[0:1], v[0:1]
	s_add_i32 s17, s16, -1
	s_and_b64 s[30:31], s[26:27], exec
	s_cselect_b32 s17, 0, s17
	s_add_i32 s30, s25, s17
	s_add_i32 s34, s34, s18
	s_ashr_i32 s31, s30, 31
	s_ashr_i32 s17, s16, 31
	s_mul_i32 s37, s13, s34
	s_lshl_b64 s[34:35], s[22:23], 2
	s_lshl_b64 s[30:31], s[30:31], 2
	s_add_u32 s30, s34, s30
	s_addc_u32 s31, s35, s31
	s_add_u32 s30, s42, s30
	s_addc_u32 s31, s43, s31
	s_ashr_i32 s35, s18, 31
	s_mov_b32 s34, s18
	s_lshl_b64 s[34:35], s[34:35], 2
	s_lshl_b64 s[44:45], s[16:17], 2
	s_add_u32 s17, s44, 20
	s_mul_i32 s38, s13, s18
	s_addc_u32 s39, s45, 0
	s_mov_b32 s44, s16
	v_mov_b32_e32 v4, v7
.LBB188_20:                             ;   Parent Loop BB188_12 Depth=1
                                        ; =>  This Inner Loop Header: Depth=2
	v_add_u32_e32 v2, s37, v4
	v_ashrrev_i32_e32 v3, 31, v2
	v_lshlrev_b64 v[2:3], 3, v[2:3]
	v_mov_b32_e32 v5, s3
	s_add_u32 s46, s30, s17
	v_add_co_u32_e32 v2, vcc, s2, v2
	s_addc_u32 s47, s31, s39
	v_addc_co_u32_e32 v3, vcc, v5, v3, vcc
	global_load_dword v12, v10, s[30:31] offset:16
	global_load_dword v14, v10, s[46:47]
	flat_load_dwordx2 v[16:17], v[2:3]
	v_add_u32_e32 v18, s36, v4
	v_ashrrev_i32_e32 v19, 31, v18
	v_lshlrev_b64 v[18:19], 3, v[18:19]
	s_add_u32 s30, s30, s34
	v_add_co_u32_e32 v18, vcc, s2, v18
	v_addc_co_u32_e32 v19, vcc, v5, v19, vcc
	s_addc_u32 s31, s31, s35
	s_add_i32 s44, s44, -1
	v_add_u32_e32 v4, s38, v4
	s_cmp_eq_u32 s44, 0
	s_waitcnt vmcnt(0) lgkmcnt(0)
	v_pk_mul_f32 v[20:21], v[0:1], v[14:15] op_sel_hi:[1,0]
	v_mul_f32_e32 v5, v16, v14
	v_mul_f32_e32 v11, v17, v14
	v_fma_f32 v14, v0, v12, -v5
	v_fma_f32 v15, v1, v12, -v11
	v_pk_fma_f32 v[0:1], v[16:17], v[12:13], v[20:21] op_sel_hi:[1,0,1]
	flat_store_dwordx2 v[18:19], v[14:15]
	s_cbranch_scc0 .LBB188_20
; %bb.21:                               ;   in Loop: Header=BB188_12 Depth=1
	flat_store_dwordx2 v[2:3], v[0:1]
.LBB188_22:                             ;   in Loop: Header=BB188_12 Depth=1
	s_or_b64 exec, exec, s[28:29]
	s_and_saveexec_b64 s[28:29], s[14:15]
	s_cbranch_execz .LBB188_10
; %bb.23:                               ;   in Loop: Header=BB188_12 Depth=1
	s_and_b64 s[30:31], s[26:27], exec
	s_cselect_b32 s17, s19, s24
	v_add_u32_e32 v4, s17, v9
	v_ashrrev_i32_e32 v5, 31, v4
	v_lshlrev_b64 v[2:3], 3, v[4:5]
	v_mov_b32_e32 v1, s21
	v_add_co_u32_e32 v0, vcc, s20, v2
	v_addc_co_u32_e32 v1, vcc, v1, v3, vcc
	flat_load_dwordx2 v[0:1], v[0:1]
	s_add_i32 s17, s16, -1
	s_and_b64 s[26:27], s[26:27], exec
	s_cselect_b32 s17, 0, s17
	s_add_i32 s24, s25, s17
	s_ashr_i32 s25, s24, 31
	s_ashr_i32 s17, s16, 31
	s_lshl_b64 s[22:23], s[22:23], 2
	s_lshl_b64 s[24:25], s[24:25], 2
	s_add_u32 s19, s22, s24
	s_addc_u32 s23, s23, s25
	s_add_u32 s22, s42, s19
	s_addc_u32 s23, s43, s23
	s_ashr_i32 s19, s18, 31
	s_lshl_b64 s[24:25], s[18:19], 2
	s_lshl_b64 s[26:27], s[16:17], 2
	v_add_u32_e32 v4, s18, v4
	s_add_u32 s17, s26, 20
	v_ashrrev_i32_e32 v5, 31, v4
	s_addc_u32 s30, s27, 0
	v_lshlrev_b64 v[4:5], 3, v[4:5]
	s_lshl_b64 s[26:27], s[18:19], 3
	s_mov_b64 s[18:19], s[20:21]
.LBB188_24:                             ;   Parent Loop BB188_12 Depth=1
                                        ; =>  This Inner Loop Header: Depth=2
	s_add_u32 s34, s22, s17
	v_mov_b32_e32 v11, s19
	v_add_co_u32_e32 v14, vcc, s18, v4
	s_addc_u32 s35, s23, s30
	global_load_dword v12, v10, s[22:23] offset:16
	v_addc_co_u32_e32 v15, vcc, v11, v5, vcc
	global_load_dword v16, v10, s[34:35]
	flat_load_dwordx2 v[18:19], v[14:15]
	s_add_i32 s16, s16, -1
	s_add_u32 s22, s22, s24
	s_addc_u32 s23, s23, s25
	v_add_co_u32_e32 v14, vcc, s18, v2
	s_add_u32 s18, s18, s26
	v_addc_co_u32_e32 v15, vcc, v11, v3, vcc
	s_addc_u32 s19, s19, s27
	s_cmp_eq_u32 s16, 0
	s_waitcnt vmcnt(0) lgkmcnt(0)
	v_mul_f32_e32 v11, v18, v16
	v_mul_f32_e32 v13, v19, v16
	v_pk_mul_f32 v[16:17], v[0:1], v[16:17] op_sel_hi:[1,0]
	v_fma_f32 v20, v0, v12, -v11
	v_fma_f32 v21, v1, v12, -v13
	v_pk_fma_f32 v[0:1], v[18:19], v[12:13], v[16:17] op_sel_hi:[1,0,1]
	flat_store_dwordx2 v[14:15], v[20:21]
	s_cbranch_scc0 .LBB188_24
	s_branch .LBB188_9
.LBB188_25:
	s_endpgm
	.section	.rodata,"a",@progbits
	.p2align	6, 0x0
	.amdhsa_kernel _ZN9rocsolver6v33100L12bdsqr_rotateI19rocblas_complex_numIfEfPS3_S4_S4_EEviiiiT1_iilT2_iilT3_iiliPiPT0_ilS8_
		.amdhsa_group_segment_fixed_size 0
		.amdhsa_private_segment_fixed_size 0
		.amdhsa_kernarg_size 392
		.amdhsa_user_sgpr_count 6
		.amdhsa_user_sgpr_private_segment_buffer 1
		.amdhsa_user_sgpr_dispatch_ptr 0
		.amdhsa_user_sgpr_queue_ptr 0
		.amdhsa_user_sgpr_kernarg_segment_ptr 1
		.amdhsa_user_sgpr_dispatch_id 0
		.amdhsa_user_sgpr_flat_scratch_init 0
		.amdhsa_user_sgpr_kernarg_preload_length 0
		.amdhsa_user_sgpr_kernarg_preload_offset 0
		.amdhsa_user_sgpr_private_segment_size 0
		.amdhsa_uses_dynamic_stack 0
		.amdhsa_system_sgpr_private_segment_wavefront_offset 0
		.amdhsa_system_sgpr_workgroup_id_x 1
		.amdhsa_system_sgpr_workgroup_id_y 1
		.amdhsa_system_sgpr_workgroup_id_z 1
		.amdhsa_system_sgpr_workgroup_info 0
		.amdhsa_system_vgpr_workitem_id 0
		.amdhsa_next_free_vgpr 22
		.amdhsa_next_free_sgpr 48
		.amdhsa_accum_offset 24
		.amdhsa_reserve_vcc 1
		.amdhsa_reserve_flat_scratch 0
		.amdhsa_float_round_mode_32 0
		.amdhsa_float_round_mode_16_64 0
		.amdhsa_float_denorm_mode_32 3
		.amdhsa_float_denorm_mode_16_64 3
		.amdhsa_dx10_clamp 1
		.amdhsa_ieee_mode 1
		.amdhsa_fp16_overflow 0
		.amdhsa_tg_split 0
		.amdhsa_exception_fp_ieee_invalid_op 0
		.amdhsa_exception_fp_denorm_src 0
		.amdhsa_exception_fp_ieee_div_zero 0
		.amdhsa_exception_fp_ieee_overflow 0
		.amdhsa_exception_fp_ieee_underflow 0
		.amdhsa_exception_fp_ieee_inexact 0
		.amdhsa_exception_int_div_zero 0
	.end_amdhsa_kernel
	.section	.text._ZN9rocsolver6v33100L12bdsqr_rotateI19rocblas_complex_numIfEfPS3_S4_S4_EEviiiiT1_iilT2_iilT3_iiliPiPT0_ilS8_,"axG",@progbits,_ZN9rocsolver6v33100L12bdsqr_rotateI19rocblas_complex_numIfEfPS3_S4_S4_EEviiiiT1_iilT2_iilT3_iiliPiPT0_ilS8_,comdat
.Lfunc_end188:
	.size	_ZN9rocsolver6v33100L12bdsqr_rotateI19rocblas_complex_numIfEfPS3_S4_S4_EEviiiiT1_iilT2_iilT3_iiliPiPT0_ilS8_, .Lfunc_end188-_ZN9rocsolver6v33100L12bdsqr_rotateI19rocblas_complex_numIfEfPS3_S4_S4_EEviiiiT1_iilT2_iilT3_iiliPiPT0_ilS8_
                                        ; -- End function
	.section	.AMDGPU.csdata,"",@progbits
; Kernel info:
; codeLenInByte = 1680
; NumSgprs: 52
; NumVgprs: 22
; NumAgprs: 0
; TotalNumVgprs: 22
; ScratchSize: 0
; MemoryBound: 0
; FloatMode: 240
; IeeeMode: 1
; LDSByteSize: 0 bytes/workgroup (compile time only)
; SGPRBlocks: 6
; VGPRBlocks: 2
; NumSGPRsForWavesPerEU: 52
; NumVGPRsForWavesPerEU: 22
; AccumOffset: 24
; Occupancy: 8
; WaveLimiterHint : 1
; COMPUTE_PGM_RSRC2:SCRATCH_EN: 0
; COMPUTE_PGM_RSRC2:USER_SGPR: 6
; COMPUTE_PGM_RSRC2:TRAP_HANDLER: 0
; COMPUTE_PGM_RSRC2:TGID_X_EN: 1
; COMPUTE_PGM_RSRC2:TGID_Y_EN: 1
; COMPUTE_PGM_RSRC2:TGID_Z_EN: 1
; COMPUTE_PGM_RSRC2:TIDIG_COMP_CNT: 0
; COMPUTE_PGM_RSRC3_GFX90A:ACCUM_OFFSET: 5
; COMPUTE_PGM_RSRC3_GFX90A:TG_SPLIT: 0
	.section	.text._ZN9rocsolver6v33100L14bdsqr_finalizeI19rocblas_complex_numIfEfPS3_S4_S4_EEviiiiPT0_lS6_lT1_iilT2_iilT3_iilPiSA_SA_,"axG",@progbits,_ZN9rocsolver6v33100L14bdsqr_finalizeI19rocblas_complex_numIfEfPS3_S4_S4_EEviiiiPT0_lS6_lT1_iilT2_iilT3_iilPiSA_SA_,comdat
	.globl	_ZN9rocsolver6v33100L14bdsqr_finalizeI19rocblas_complex_numIfEfPS3_S4_S4_EEviiiiPT0_lS6_lT1_iilT2_iilT3_iilPiSA_SA_ ; -- Begin function _ZN9rocsolver6v33100L14bdsqr_finalizeI19rocblas_complex_numIfEfPS3_S4_S4_EEviiiiPT0_lS6_lT1_iilT2_iilT3_iilPiSA_SA_
	.p2align	8
	.type	_ZN9rocsolver6v33100L14bdsqr_finalizeI19rocblas_complex_numIfEfPS3_S4_S4_EEviiiiPT0_lS6_lT1_iilT2_iilT3_iilPiSA_SA_,@function
_ZN9rocsolver6v33100L14bdsqr_finalizeI19rocblas_complex_numIfEfPS3_S4_S4_EEviiiiPT0_lS6_lT1_iilT2_iilT3_iilPiSA_SA_: ; @_ZN9rocsolver6v33100L14bdsqr_finalizeI19rocblas_complex_numIfEfPS3_S4_S4_EEviiiiPT0_lS6_lT1_iilT2_iilT3_iilPiSA_SA_
; %bb.0:
	s_add_u32 flat_scratch_lo, s6, s10
	s_load_dwordx8 s[36:43], s[4:5], 0x70
	s_addc_u32 flat_scratch_hi, s7, 0
	s_add_u32 s0, s0, s10
	s_addc_u32 s1, s1, 0
	s_mov_b32 s12, s9
	s_ashr_i32 s13, s9, 31
	s_lshl_b64 s[26:27], s[12:13], 2
	s_waitcnt lgkmcnt(0)
	s_add_u32 s6, s42, s26
	s_addc_u32 s7, s43, s27
	s_load_dword s6, s[6:7], 0x8
	s_mov_b32 s32, 0
	s_waitcnt lgkmcnt(0)
	s_cmp_gt_i32 s6, 1
	s_cbranch_scc1 .LBB189_264
; %bb.1:
	s_load_dwordx2 s[6:7], s[4:5], 0x9c
	s_load_dwordx8 s[44:51], s[4:5], 0x30
	s_load_dwordx8 s[52:59], s[4:5], 0x10
	s_mov_b64 s[28:29], 0
	s_mov_b64 s[34:35], 0
	s_waitcnt lgkmcnt(0)
	s_and_b32 s7, s7, 0xffff
	s_cmp_eq_u64 s[44:45], 0
	s_cbranch_scc1 .LBB189_3
; %bb.2:
	s_mul_i32 s10, s12, s49
	s_mul_hi_u32 s11, s12, s48
	s_add_i32 s10, s11, s10
	s_mul_i32 s11, s13, s48
	s_add_i32 s11, s10, s11
	s_mul_i32 s10, s12, s48
	s_ashr_i32 s9, s46, 31
	s_lshl_b64 s[10:11], s[10:11], 3
	s_mov_b32 s8, s46
	s_add_u32 s10, s44, s10
	s_addc_u32 s11, s45, s11
	s_lshl_b64 s[8:9], s[8:9], 3
	s_add_u32 s34, s10, s8
	s_addc_u32 s35, s11, s9
.LBB189_3:
	s_load_dwordx2 s[42:43], s[4:5], 0x50
	s_load_dwordx4 s[8:11], s[4:5], 0x58
	s_cmp_eq_u64 s[50:51], 0
	s_cbranch_scc1 .LBB189_5
; %bb.4:
	s_waitcnt lgkmcnt(0)
	s_mul_i32 s9, s12, s9
	s_mul_hi_u32 s16, s12, s8
	s_add_i32 s9, s16, s9
	s_mul_i32 s16, s13, s8
	s_add_i32 s9, s9, s16
	s_mul_i32 s8, s12, s8
	s_ashr_i32 s15, s42, 31
	s_lshl_b64 s[8:9], s[8:9], 3
	s_mov_b32 s14, s42
	s_add_u32 s16, s50, s8
	s_addc_u32 s17, s51, s9
	s_lshl_b64 s[8:9], s[14:15], 3
	s_add_u32 s28, s16, s8
	s_addc_u32 s29, s17, s9
.LBB189_5:
	s_load_dwordx2 s[60:61], s[4:5], 0x68
	s_waitcnt lgkmcnt(0)
	s_cmp_eq_u64 s[10:11], 0
	s_mov_b64 s[44:45], 0
	s_cbranch_scc1 .LBB189_7
; %bb.6:
	s_mul_i32 s14, s12, s37
	s_mul_hi_u32 s15, s12, s36
	s_add_i32 s14, s15, s14
	s_mul_i32 s15, s13, s36
	s_add_i32 s15, s14, s15
	s_mul_i32 s14, s12, s36
	s_ashr_i32 s9, s60, 31
	s_lshl_b64 s[14:15], s[14:15], 3
	s_mov_b32 s8, s60
	s_add_u32 s10, s10, s14
	s_addc_u32 s11, s11, s15
	s_lshl_b64 s[8:9], s[8:9], 3
	s_add_u32 s44, s10, s8
	s_addc_u32 s45, s11, s9
.LBB189_7:
	s_mul_i32 s8, s12, s55
	s_mul_hi_u32 s9, s12, s54
	s_add_i32 s8, s9, s8
	s_mul_i32 s9, s13, s54
	s_add_i32 s9, s8, s9
	s_mul_i32 s8, s12, s54
	s_lshl_b64 s[54:55], s[8:9], 2
	s_add_u32 s36, s52, s54
	s_load_dwordx4 s[48:51], s[4:5], 0x0
	s_addc_u32 s37, s53, s55
	s_lshr_b32 s8, s6, 16
	s_and_b32 s42, s6, 0xffff
	v_bfe_u32 v43, v0, 10, 10
	v_bfe_u32 v44, v0, 20, 10
	s_mul_i32 s60, s8, s42
	v_and_b32_e32 v42, 0x3ff, v0
	v_mul_u32_u24_e32 v1, s42, v43
	v_mul_lo_u32 v0, s60, v44
	v_add3_u32 v41, v1, v42, v0
	s_and_b32 s6, s7, 0xffff
	s_mul_i32 s60, s60, s6
	s_waitcnt lgkmcnt(0)
	s_cmp_lt_i32 s48, 1
	v_cmp_eq_u32_e64 s[6:7], 0, v41
	s_cbranch_scc1 .LBB189_22
; %bb.8:
	s_mul_i32 s8, s12, s59
	s_mul_hi_u32 s9, s12, s58
	s_add_i32 s8, s9, s8
	s_mul_i32 s9, s13, s58
	s_add_i32 s9, s8, s9
	s_mul_i32 s8, s12, s58
	s_lshl_b64 s[8:9], s[8:9], 2
	s_add_u32 s13, s56, s8
	s_addc_u32 s22, s57, s9
	s_add_i32 s23, s48, -1
	s_cmp_lg_u32 s49, 0
	s_cselect_b64 s[10:11], -1, 0
	s_mov_b32 s15, 0
	v_cndmask_b32_e64 v0, 0, 1, s[10:11]
	v_cmp_gt_u32_e64 s[8:9], s49, v41
	s_ashr_i32 s24, s47, 31
	s_mov_b32 s25, s47
	v_mov_b32_e32 v2, 0
	v_cmp_ne_u32_e64 s[10:11], 1, v0
	v_mov_b32_e32 v3, s35
	s_mov_b32 s14, s15
	s_mov_b32 s46, s15
	s_branch .LBB189_11
.LBB189_9:                              ;   in Loop: Header=BB189_11 Depth=1
	s_or_b64 exec, exec, s[18:19]
.LBB189_10:                             ;   in Loop: Header=BB189_11 Depth=1
	s_add_i32 s14, s14, 1
	s_cmp_eq_u32 s14, s48
	s_cbranch_scc1 .LBB189_23
.LBB189_11:                             ; =>This Loop Header: Depth=1
                                        ;     Child Loop BB189_18 Depth 2
	s_cmp_ge_i32 s14, s23
	s_cbranch_scc1 .LBB189_14
; %bb.12:                               ;   in Loop: Header=BB189_11 Depth=1
	s_lshl_b64 s[16:17], s[14:15], 2
	s_add_u32 s16, s13, s16
	s_addc_u32 s17, s22, s17
	global_load_dword v0, v2, s[16:17]
	s_waitcnt vmcnt(0)
	v_cmp_eq_f32_e32 vcc, 0, v0
	s_cbranch_vccnz .LBB189_14
; %bb.13:                               ;   in Loop: Header=BB189_11 Depth=1
	s_add_i32 s46, s46, 1
.LBB189_14:                             ;   in Loop: Header=BB189_11 Depth=1
	s_lshl_b64 s[16:17], s[14:15], 2
	s_add_u32 s16, s36, s16
	s_addc_u32 s17, s37, s17
	global_load_dword v0, v2, s[16:17]
	s_waitcnt vmcnt(0)
	v_cmp_ngt_f32_e32 vcc, 0, v0
	s_cbranch_vccnz .LBB189_10
; %bb.15:                               ;   in Loop: Header=BB189_11 Depth=1
	s_and_b64 vcc, exec, s[10:11]
	s_cbranch_vccnz .LBB189_20
; %bb.16:                               ;   in Loop: Header=BB189_11 Depth=1
	s_and_saveexec_b64 s[18:19], s[8:9]
	s_cbranch_execz .LBB189_19
; %bb.17:                               ;   in Loop: Header=BB189_11 Depth=1
	s_mov_b64 s[20:21], 0
	v_pk_mov_b32 v[0:1], s[14:15], s[14:15] op_sel:[0,1]
	v_mov_b32_e32 v4, v41
.LBB189_18:                             ;   Parent Loop BB189_11 Depth=1
                                        ; =>  This Inner Loop Header: Depth=2
	v_mad_u64_u32 v[6:7], s[30:31], v4, s25, v[0:1]
	v_mov_b32_e32 v8, v7
	v_mad_u64_u32 v[8:9], s[30:31], v4, s24, v[8:9]
	v_mov_b32_e32 v7, v8
	v_lshlrev_b64 v[6:7], 3, v[6:7]
	v_add_co_u32_e32 v6, vcc, s34, v6
	v_addc_co_u32_e32 v7, vcc, v3, v7, vcc
	flat_load_dwordx2 v[8:9], v[6:7]
	v_add_u32_e32 v4, s60, v4
	v_cmp_le_u32_e32 vcc, s49, v4
	s_or_b64 s[20:21], vcc, s[20:21]
	s_waitcnt vmcnt(0) lgkmcnt(0)
	v_pk_add_f32 v[8:9], v[8:9], 0 neg_lo:[1,1] neg_hi:[1,1]
	flat_store_dwordx2 v[6:7], v[8:9]
	s_andn2_b64 exec, exec, s[20:21]
	s_cbranch_execnz .LBB189_18
.LBB189_19:                             ;   in Loop: Header=BB189_11 Depth=1
	s_or_b64 exec, exec, s[18:19]
	s_waitcnt lgkmcnt(0)
	s_barrier
.LBB189_20:                             ;   in Loop: Header=BB189_11 Depth=1
	s_and_saveexec_b64 s[18:19], s[6:7]
	s_cbranch_execz .LBB189_9
; %bb.21:                               ;   in Loop: Header=BB189_11 Depth=1
	global_load_dword v0, v2, s[16:17]
	s_waitcnt vmcnt(0)
	v_xor_b32_e32 v0, 0x80000000, v0
	global_store_dword v2, v0, s[16:17]
	s_branch .LBB189_9
.LBB189_22:
	s_mov_b32 s46, 0
.LBB189_23:
	s_cmp_lt_i32 s46, 1
	s_mov_b64 s[6:7], -1
	s_cbranch_scc0 .LBB189_261
; %bb.24:
	s_mul_i32 s6, s12, s48
	s_lshl_b32 s6, s6, 1
	s_ashr_i32 s7, s6, 31
	s_lshl_b64 s[6:7], s[6:7], 2
	s_add_u32 s6, s40, s6
	s_addc_u32 s7, s41, s7
	s_cmp_lg_u64 s[40:41], 0
	s_cselect_b32 s57, s7, 0
	s_cselect_b32 s56, s6, 0
	s_mov_b64 s[62:63], 0
	s_cmp_lg_u64 s[56:57], 0
	s_barrier
	s_cbranch_scc0 .LBB189_40
; %bb.25:
	s_or_b32 s6, s50, s49
	s_or_b32 s8, s6, s51
	s_cmp_gt_i32 s48, 0
	s_cselect_b64 s[64:65], -1, 0
	s_cmp_lg_u64 s[52:53], 0
	s_cselect_b64 s[6:7], -1, 0
	s_and_b64 s[40:41], s[64:65], s[6:7]
	s_cmp_eq_u32 s8, 0
	s_cbranch_scc1 .LBB189_41
; %bb.26:
	s_mov_b64 s[66:67], -1
	s_mov_b64 s[58:59], 0
	s_and_b64 vcc, exec, s[40:41]
	s_cbranch_vccz .LBB189_119
; %bb.27:
	v_cmp_gt_u32_e32 vcc, s48, v41
	s_barrier
	s_and_saveexec_b64 s[6:7], vcc
	s_cbranch_execz .LBB189_30
; %bb.28:
	s_mov_b64 s[8:9], 0
	v_mov_b32_e32 v1, 0
	v_mov_b32_e32 v2, s57
	;; [unrolled: 1-line block ×3, first 2 shown]
.LBB189_29:                             ; =>This Inner Loop Header: Depth=1
	v_lshlrev_b64 v[4:5], 2, v[0:1]
	v_add_co_u32_e32 v4, vcc, s56, v4
	v_addc_co_u32_e32 v5, vcc, v2, v5, vcc
	global_store_dword v[4:5], v0, off
	v_add_u32_e32 v0, s60, v0
	v_cmp_le_u32_e32 vcc, s48, v0
	s_or_b64 s[8:9], vcc, s[8:9]
	s_andn2_b64 exec, exec, s[8:9]
	s_cbranch_execnz .LBB189_29
.LBB189_30:
	s_or_b64 exec, exec, s[6:7]
	v_or3_b32 v0, v43, v44, v42
	v_cmp_eq_u32_e32 vcc, 0, v0
	s_barrier
	s_and_saveexec_b64 s[6:7], vcc
	s_cbranch_execz .LBB189_103
; %bb.31:
	s_cmpk_lt_i32 s48, 0x2be
	s_cbranch_scc1 .LBB189_42
; %bb.32:
	s_add_u32 s8, s56, 0xaf4
	s_addc_u32 s9, s57, 0
	s_mov_b64 s[10:11], 0x2bd
	v_mov_b32_e32 v0, 0
	s_mov_b64 s[12:13], s[36:37]
	s_branch .LBB189_34
.LBB189_33:                             ;   in Loop: Header=BB189_34 Depth=1
	s_lshl_b64 s[14:15], s[14:15], 2
	s_add_u32 s16, s36, s14
	s_addc_u32 s17, s37, s15
	s_add_u32 s14, s56, s14
	s_addc_u32 s15, s57, s15
	;; [unrolled: 2-line block ×5, first 2 shown]
	s_cmp_eq_u32 s10, s48
	global_store_dword v0, v2, s[16:17]
	global_store_dword v0, v1, s[14:15]
	s_cbranch_scc1 .LBB189_42
.LBB189_34:                             ; =>This Loop Header: Depth=1
                                        ;     Child Loop BB189_36 Depth 2
	s_lshl_b64 s[14:15], s[10:11], 2
	s_and_b32 s15, s15, 3
	s_add_u32 s16, s36, s14
	s_addc_u32 s17, s37, s15
	s_add_u32 s14, s56, s14
	s_addc_u32 s15, s57, s15
	global_load_dword v2, v0, s[16:17]
	global_load_dword v1, v0, s[14:15]
	s_mov_b64 s[16:17], s[12:13]
	s_mov_b64 s[18:19], s[8:9]
	;; [unrolled: 1-line block ×3, first 2 shown]
	s_branch .LBB189_36
.LBB189_35:                             ;   in Loop: Header=BB189_36 Depth=2
	global_load_dword v4, v0, s[18:19] offset:-2804
	s_add_u32 s30, s18, 0xfffff50c
	s_addc_u32 s31, s19, -1
	s_add_u32 s22, s14, 0xfffffd43
	s_addc_u32 s23, s15, -1
	global_store_dword v0, v3, s[16:17] offset:2804
	s_add_u32 s16, s16, 0xfffff50c
	s_addc_u32 s17, s17, -1
	s_cmpk_lt_i32 s14, 0x57a
	s_mov_b64 s[20:21], 0
	s_mov_b64 s[14:15], s[22:23]
	s_cselect_b64 s[24:25], -1, 0
	s_waitcnt vmcnt(1)
	global_store_dword v0, v4, s[18:19]
	s_mov_b64 s[18:19], s[30:31]
	s_andn2_b64 vcc, exec, s[24:25]
	s_cbranch_vccz .LBB189_38
.LBB189_36:                             ;   Parent Loop BB189_34 Depth=1
                                        ; =>  This Inner Loop Header: Depth=2
	global_load_dword v3, v0, s[16:17]
	s_mov_b64 s[20:21], -1
	s_waitcnt vmcnt(0)
	v_cmp_nlt_f32_e32 vcc, v3, v2
	s_cbranch_vccz .LBB189_35
; %bb.37:                               ;   in Loop: Header=BB189_34 Depth=1
                                        ; implicit-def: $sgpr18_sgpr19
                                        ; implicit-def: $sgpr16_sgpr17
                                        ; implicit-def: $sgpr22_sgpr23
.LBB189_38:                             ;   in Loop: Header=BB189_34 Depth=1
	s_andn2_b64 vcc, exec, s[20:21]
	s_cbranch_vccz .LBB189_33
; %bb.39:                               ;   in Loop: Header=BB189_34 Depth=1
	s_bfe_i64 s[14:15], s[22:23], 0x200000
	s_branch .LBB189_33
.LBB189_40:
	s_branch .LBB189_237
.LBB189_41:
	s_mov_b64 s[58:59], 0
	s_cbranch_execnz .LBB189_144
	s_branch .LBB189_232
.LBB189_42:
	s_cmpk_lt_i32 s48, 0x12e
	s_cbranch_scc1 .LBB189_51
; %bb.43:
	s_add_u32 s8, s56, 0x4b4
	s_addc_u32 s9, s57, 0
	s_mov_b64 s[10:11], 0x12d
	v_mov_b32_e32 v0, 0
	s_mov_b64 s[12:13], s[36:37]
	s_branch .LBB189_45
.LBB189_44:                             ;   in Loop: Header=BB189_45 Depth=1
	s_lshl_b64 s[14:15], s[14:15], 2
	s_add_u32 s16, s36, s14
	s_addc_u32 s17, s37, s15
	s_add_u32 s14, s56, s14
	s_addc_u32 s15, s57, s15
	;; [unrolled: 2-line block ×5, first 2 shown]
	s_cmp_lg_u32 s10, s48
	global_store_dword v0, v2, s[16:17]
	global_store_dword v0, v1, s[14:15]
	s_cbranch_scc0 .LBB189_51
.LBB189_45:                             ; =>This Loop Header: Depth=1
                                        ;     Child Loop BB189_47 Depth 2
	s_lshl_b64 s[14:15], s[10:11], 2
	s_and_b32 s15, s15, 3
	s_add_u32 s16, s36, s14
	s_addc_u32 s17, s37, s15
	s_add_u32 s14, s56, s14
	s_addc_u32 s15, s57, s15
	global_load_dword v2, v0, s[16:17]
	global_load_dword v1, v0, s[14:15]
	s_mov_b64 s[16:17], s[12:13]
	s_mov_b64 s[18:19], s[8:9]
	;; [unrolled: 1-line block ×3, first 2 shown]
	s_branch .LBB189_47
.LBB189_46:                             ;   in Loop: Header=BB189_47 Depth=2
	global_load_dword v4, v0, s[18:19] offset:-1204
	s_add_u32 s30, s18, 0xfffffb4c
	s_addc_u32 s31, s19, -1
	s_add_u32 s22, s14, 0xfffffed3
	s_addc_u32 s23, s15, -1
	global_store_dword v0, v3, s[16:17] offset:1204
	s_add_u32 s16, s16, 0xfffffb4c
	s_addc_u32 s17, s17, -1
	s_cmpk_lt_i32 s14, 0x25a
	s_mov_b64 s[20:21], 0
	s_mov_b64 s[14:15], s[22:23]
	s_cselect_b64 s[24:25], -1, 0
	s_waitcnt vmcnt(1)
	global_store_dword v0, v4, s[18:19]
	s_mov_b64 s[18:19], s[30:31]
	s_andn2_b64 vcc, exec, s[24:25]
	s_cbranch_vccz .LBB189_49
.LBB189_47:                             ;   Parent Loop BB189_45 Depth=1
                                        ; =>  This Inner Loop Header: Depth=2
	global_load_dword v3, v0, s[16:17]
	s_mov_b64 s[20:21], -1
	s_waitcnt vmcnt(0)
	v_cmp_nlt_f32_e32 vcc, v3, v2
	s_cbranch_vccz .LBB189_46
; %bb.48:                               ;   in Loop: Header=BB189_45 Depth=1
                                        ; implicit-def: $sgpr18_sgpr19
                                        ; implicit-def: $sgpr16_sgpr17
                                        ; implicit-def: $sgpr22_sgpr23
.LBB189_49:                             ;   in Loop: Header=BB189_45 Depth=1
	s_andn2_b64 vcc, exec, s[20:21]
	s_cbranch_vccz .LBB189_44
; %bb.50:                               ;   in Loop: Header=BB189_45 Depth=1
	s_bfe_i64 s[14:15], s[22:23], 0x200000
	s_branch .LBB189_44
.LBB189_51:
	s_cmpk_lt_i32 s48, 0x85
	s_cbranch_scc1 .LBB189_60
; %bb.52:
	s_add_u32 s8, s56, 0x210
	s_addc_u32 s9, s57, 0
	s_mov_b64 s[10:11], 0x84
	v_mov_b32_e32 v0, 0
	s_mov_b64 s[12:13], s[36:37]
	s_branch .LBB189_54
.LBB189_53:                             ;   in Loop: Header=BB189_54 Depth=1
	s_lshl_b64 s[14:15], s[14:15], 2
	s_add_u32 s16, s36, s14
	s_addc_u32 s17, s37, s15
	s_add_u32 s14, s56, s14
	s_addc_u32 s15, s57, s15
	;; [unrolled: 2-line block ×5, first 2 shown]
	s_cmp_lg_u32 s10, s48
	global_store_dword v0, v2, s[16:17]
	global_store_dword v0, v1, s[14:15]
	s_cbranch_scc0 .LBB189_60
.LBB189_54:                             ; =>This Loop Header: Depth=1
                                        ;     Child Loop BB189_56 Depth 2
	s_lshl_b64 s[14:15], s[10:11], 2
	s_and_b32 s15, s15, 3
	s_add_u32 s16, s36, s14
	s_addc_u32 s17, s37, s15
	s_add_u32 s14, s56, s14
	s_addc_u32 s15, s57, s15
	global_load_dword v2, v0, s[16:17]
	global_load_dword v1, v0, s[14:15]
	s_mov_b64 s[16:17], s[12:13]
	s_mov_b64 s[18:19], s[8:9]
	;; [unrolled: 1-line block ×3, first 2 shown]
	s_branch .LBB189_56
.LBB189_55:                             ;   in Loop: Header=BB189_56 Depth=2
	global_load_dword v4, v0, s[18:19] offset:-528
	s_add_u32 s30, s18, 0xfffffdf0
	s_addc_u32 s31, s19, -1
	s_add_u32 s22, s14, 0xffffff7c
	s_addc_u32 s23, s15, -1
	global_store_dword v0, v3, s[16:17] offset:528
	s_add_u32 s16, s16, 0xfffffdf0
	s_addc_u32 s17, s17, -1
	s_cmpk_lt_i32 s14, 0x108
	s_mov_b64 s[20:21], 0
	s_mov_b64 s[14:15], s[22:23]
	s_cselect_b64 s[24:25], -1, 0
	s_waitcnt vmcnt(1)
	global_store_dword v0, v4, s[18:19]
	s_mov_b64 s[18:19], s[30:31]
	s_andn2_b64 vcc, exec, s[24:25]
	s_cbranch_vccz .LBB189_58
.LBB189_56:                             ;   Parent Loop BB189_54 Depth=1
                                        ; =>  This Inner Loop Header: Depth=2
	global_load_dword v3, v0, s[16:17]
	s_mov_b64 s[20:21], -1
	s_waitcnt vmcnt(0)
	v_cmp_nlt_f32_e32 vcc, v3, v2
	s_cbranch_vccz .LBB189_55
; %bb.57:                               ;   in Loop: Header=BB189_54 Depth=1
                                        ; implicit-def: $sgpr18_sgpr19
                                        ; implicit-def: $sgpr16_sgpr17
                                        ; implicit-def: $sgpr22_sgpr23
.LBB189_58:                             ;   in Loop: Header=BB189_54 Depth=1
	s_andn2_b64 vcc, exec, s[20:21]
	s_cbranch_vccz .LBB189_53
; %bb.59:                               ;   in Loop: Header=BB189_54 Depth=1
	s_bfe_i64 s[14:15], s[22:23], 0x200000
	s_branch .LBB189_53
.LBB189_60:
	s_cmp_lt_i32 s48, 58
	s_cbranch_scc1 .LBB189_69
; %bb.61:
	s_add_u32 s8, s56, 0xe4
	s_addc_u32 s9, s57, 0
	s_mov_b64 s[10:11], 57
	v_mov_b32_e32 v0, 0
	s_mov_b64 s[12:13], s[36:37]
	s_branch .LBB189_63
.LBB189_62:                             ;   in Loop: Header=BB189_63 Depth=1
	s_lshl_b64 s[14:15], s[14:15], 2
	s_add_u32 s16, s36, s14
	s_addc_u32 s17, s37, s15
	s_add_u32 s14, s56, s14
	s_addc_u32 s15, s57, s15
	;; [unrolled: 2-line block ×5, first 2 shown]
	s_cmp_lg_u32 s10, s48
	global_store_dword v0, v2, s[16:17]
	global_store_dword v0, v1, s[14:15]
	s_cbranch_scc0 .LBB189_69
.LBB189_63:                             ; =>This Loop Header: Depth=1
                                        ;     Child Loop BB189_65 Depth 2
	s_lshl_b64 s[14:15], s[10:11], 2
	s_and_b32 s15, s15, 3
	s_add_u32 s16, s36, s14
	s_addc_u32 s17, s37, s15
	s_add_u32 s14, s56, s14
	s_addc_u32 s15, s57, s15
	global_load_dword v2, v0, s[16:17]
	global_load_dword v1, v0, s[14:15]
	s_mov_b64 s[16:17], s[12:13]
	s_mov_b64 s[18:19], s[8:9]
	;; [unrolled: 1-line block ×3, first 2 shown]
	s_branch .LBB189_65
.LBB189_64:                             ;   in Loop: Header=BB189_65 Depth=2
	global_load_dword v4, v0, s[18:19] offset:-228
	s_add_u32 s30, s18, 0xffffff1c
	s_addc_u32 s31, s19, -1
	s_add_u32 s22, s14, 0xffffffc7
	s_addc_u32 s23, s15, -1
	global_store_dword v0, v3, s[16:17] offset:228
	s_add_u32 s16, s16, 0xffffff1c
	s_addc_u32 s17, s17, -1
	s_cmpk_lt_i32 s14, 0x72
	s_mov_b64 s[20:21], 0
	s_mov_b64 s[14:15], s[22:23]
	s_cselect_b64 s[24:25], -1, 0
	s_waitcnt vmcnt(1)
	global_store_dword v0, v4, s[18:19]
	s_mov_b64 s[18:19], s[30:31]
	s_andn2_b64 vcc, exec, s[24:25]
	s_cbranch_vccz .LBB189_67
.LBB189_65:                             ;   Parent Loop BB189_63 Depth=1
                                        ; =>  This Inner Loop Header: Depth=2
	global_load_dword v3, v0, s[16:17]
	s_mov_b64 s[20:21], -1
	s_waitcnt vmcnt(0)
	v_cmp_nlt_f32_e32 vcc, v3, v2
	s_cbranch_vccz .LBB189_64
; %bb.66:                               ;   in Loop: Header=BB189_63 Depth=1
                                        ; implicit-def: $sgpr18_sgpr19
                                        ; implicit-def: $sgpr16_sgpr17
                                        ; implicit-def: $sgpr22_sgpr23
.LBB189_67:                             ;   in Loop: Header=BB189_63 Depth=1
	s_andn2_b64 vcc, exec, s[20:21]
	s_cbranch_vccz .LBB189_62
; %bb.68:                               ;   in Loop: Header=BB189_63 Depth=1
	s_bfe_i64 s[14:15], s[22:23], 0x200000
	s_branch .LBB189_62
.LBB189_69:
	s_cmp_lt_i32 s48, 24
	s_cbranch_scc1 .LBB189_78
; %bb.70:
	s_add_u32 s8, s56, 0x5c
	s_addc_u32 s9, s57, 0
	s_mov_b64 s[10:11], 23
	v_mov_b32_e32 v0, 0
	s_mov_b64 s[12:13], s[36:37]
	s_branch .LBB189_72
.LBB189_71:                             ;   in Loop: Header=BB189_72 Depth=1
	s_lshl_b64 s[14:15], s[14:15], 2
	s_add_u32 s16, s36, s14
	s_addc_u32 s17, s37, s15
	s_add_u32 s14, s56, s14
	s_addc_u32 s15, s57, s15
	;; [unrolled: 2-line block ×5, first 2 shown]
	s_cmp_lg_u32 s10, s48
	global_store_dword v0, v2, s[16:17]
	global_store_dword v0, v1, s[14:15]
	s_cbranch_scc0 .LBB189_78
.LBB189_72:                             ; =>This Loop Header: Depth=1
                                        ;     Child Loop BB189_74 Depth 2
	s_lshl_b64 s[14:15], s[10:11], 2
	s_and_b32 s15, s15, 3
	s_add_u32 s16, s36, s14
	s_addc_u32 s17, s37, s15
	s_add_u32 s14, s56, s14
	s_addc_u32 s15, s57, s15
	global_load_dword v2, v0, s[16:17]
	global_load_dword v1, v0, s[14:15]
	s_mov_b64 s[16:17], s[12:13]
	s_mov_b64 s[18:19], s[8:9]
	;; [unrolled: 1-line block ×3, first 2 shown]
	s_branch .LBB189_74
.LBB189_73:                             ;   in Loop: Header=BB189_74 Depth=2
	global_load_dword v4, v0, s[18:19] offset:-92
	s_add_u32 s30, s18, 0xffffffa4
	s_addc_u32 s31, s19, -1
	s_add_u32 s22, s14, 0xffffffe9
	s_addc_u32 s23, s15, -1
	global_store_dword v0, v3, s[16:17] offset:92
	s_add_u32 s16, s16, 0xffffffa4
	s_addc_u32 s17, s17, -1
	s_cmp_lt_i32 s14, 46
	s_mov_b64 s[20:21], 0
	s_mov_b64 s[14:15], s[22:23]
	s_cselect_b64 s[24:25], -1, 0
	s_waitcnt vmcnt(1)
	global_store_dword v0, v4, s[18:19]
	s_mov_b64 s[18:19], s[30:31]
	s_andn2_b64 vcc, exec, s[24:25]
	s_cbranch_vccz .LBB189_76
.LBB189_74:                             ;   Parent Loop BB189_72 Depth=1
                                        ; =>  This Inner Loop Header: Depth=2
	global_load_dword v3, v0, s[16:17]
	s_mov_b64 s[20:21], -1
	s_waitcnt vmcnt(0)
	v_cmp_nlt_f32_e32 vcc, v3, v2
	s_cbranch_vccz .LBB189_73
; %bb.75:                               ;   in Loop: Header=BB189_72 Depth=1
                                        ; implicit-def: $sgpr18_sgpr19
                                        ; implicit-def: $sgpr16_sgpr17
                                        ; implicit-def: $sgpr22_sgpr23
.LBB189_76:                             ;   in Loop: Header=BB189_72 Depth=1
	s_andn2_b64 vcc, exec, s[20:21]
	s_cbranch_vccz .LBB189_71
; %bb.77:                               ;   in Loop: Header=BB189_72 Depth=1
	s_bfe_i64 s[14:15], s[22:23], 0x200000
	s_branch .LBB189_71
.LBB189_78:
	s_cmp_lt_i32 s48, 11
	s_cbranch_scc1 .LBB189_87
; %bb.79:
	s_add_u32 s8, s56, 40
	s_addc_u32 s9, s57, 0
	s_mov_b64 s[10:11], 10
	v_mov_b32_e32 v0, 0
	s_mov_b64 s[12:13], s[36:37]
	s_branch .LBB189_81
.LBB189_80:                             ;   in Loop: Header=BB189_81 Depth=1
	s_lshl_b64 s[14:15], s[14:15], 2
	s_add_u32 s16, s36, s14
	s_addc_u32 s17, s37, s15
	s_add_u32 s14, s56, s14
	s_addc_u32 s15, s57, s15
	;; [unrolled: 2-line block ×5, first 2 shown]
	s_cmp_lg_u32 s10, s48
	global_store_dword v0, v2, s[16:17]
	global_store_dword v0, v1, s[14:15]
	s_cbranch_scc0 .LBB189_87
.LBB189_81:                             ; =>This Loop Header: Depth=1
                                        ;     Child Loop BB189_83 Depth 2
	s_lshl_b64 s[14:15], s[10:11], 2
	s_and_b32 s15, s15, 3
	s_add_u32 s16, s36, s14
	s_addc_u32 s17, s37, s15
	s_add_u32 s14, s56, s14
	s_addc_u32 s15, s57, s15
	global_load_dword v2, v0, s[16:17]
	global_load_dword v1, v0, s[14:15]
	s_mov_b64 s[16:17], s[12:13]
	s_mov_b64 s[18:19], s[8:9]
	;; [unrolled: 1-line block ×3, first 2 shown]
	s_branch .LBB189_83
.LBB189_82:                             ;   in Loop: Header=BB189_83 Depth=2
	global_load_dword v4, v0, s[18:19] offset:-40
	s_add_u32 s30, s18, 0xffffffd8
	s_addc_u32 s31, s19, -1
	s_add_u32 s22, s14, -10
	s_addc_u32 s23, s15, -1
	global_store_dword v0, v3, s[16:17] offset:40
	s_add_u32 s16, s16, 0xffffffd8
	s_addc_u32 s17, s17, -1
	s_cmp_lt_i32 s14, 20
	s_mov_b64 s[20:21], 0
	s_mov_b64 s[14:15], s[22:23]
	s_cselect_b64 s[24:25], -1, 0
	s_waitcnt vmcnt(1)
	global_store_dword v0, v4, s[18:19]
	s_mov_b64 s[18:19], s[30:31]
	s_andn2_b64 vcc, exec, s[24:25]
	s_cbranch_vccz .LBB189_85
.LBB189_83:                             ;   Parent Loop BB189_81 Depth=1
                                        ; =>  This Inner Loop Header: Depth=2
	global_load_dword v3, v0, s[16:17]
	s_mov_b64 s[20:21], -1
	s_waitcnt vmcnt(0)
	v_cmp_nlt_f32_e32 vcc, v3, v2
	s_cbranch_vccz .LBB189_82
; %bb.84:                               ;   in Loop: Header=BB189_81 Depth=1
                                        ; implicit-def: $sgpr18_sgpr19
                                        ; implicit-def: $sgpr16_sgpr17
                                        ; implicit-def: $sgpr22_sgpr23
.LBB189_85:                             ;   in Loop: Header=BB189_81 Depth=1
	s_andn2_b64 vcc, exec, s[20:21]
	s_cbranch_vccz .LBB189_80
; %bb.86:                               ;   in Loop: Header=BB189_81 Depth=1
	s_bfe_i64 s[14:15], s[22:23], 0x200000
	s_branch .LBB189_80
.LBB189_87:
	s_cmp_lt_i32 s48, 5
	s_cbranch_scc1 .LBB189_96
; %bb.88:
	s_add_u32 s8, s56, 16
	s_addc_u32 s9, s57, 0
	s_add_u32 s10, s54, s52
	s_addc_u32 s11, s55, s53
	;; [unrolled: 2-line block ×3, first 2 shown]
	s_mov_b64 s[12:13], 4
	v_mov_b32_e32 v0, 0
	s_branch .LBB189_90
.LBB189_89:                             ;   in Loop: Header=BB189_90 Depth=1
	s_lshl_b64 s[14:15], s[14:15], 2
	s_add_u32 s16, s36, s14
	s_addc_u32 s17, s37, s15
	s_add_u32 s14, s56, s14
	s_addc_u32 s15, s57, s15
	;; [unrolled: 2-line block ×5, first 2 shown]
	s_cmp_lg_u32 s12, s48
	global_store_dword v0, v2, s[16:17]
	global_store_dword v0, v1, s[14:15]
	s_cbranch_scc0 .LBB189_96
.LBB189_90:                             ; =>This Loop Header: Depth=1
                                        ;     Child Loop BB189_92 Depth 2
	s_lshl_b64 s[14:15], s[12:13], 2
	s_and_b32 s15, s15, 3
	s_add_u32 s16, s36, s14
	s_addc_u32 s17, s37, s15
	s_add_u32 s14, s56, s14
	s_addc_u32 s15, s57, s15
	global_load_dword v2, v0, s[16:17]
	global_load_dword v1, v0, s[14:15]
	s_mov_b64 s[18:19], s[10:11]
	s_mov_b64 s[16:17], s[8:9]
	;; [unrolled: 1-line block ×3, first 2 shown]
	s_branch .LBB189_92
.LBB189_91:                             ;   in Loop: Header=BB189_92 Depth=2
	global_load_dword v4, v0, s[16:17] offset:-16
	s_mov_b64 s[20:21], 0
	global_store_dword v0, v3, s[18:19]
	s_add_u32 s18, s16, -16
	s_addc_u32 s19, s17, -1
	s_add_u32 s22, s14, -4
	s_addc_u32 s23, s15, -1
	s_cmp_lt_i32 s14, 8
	s_mov_b64 s[14:15], s[22:23]
	s_cselect_b64 s[30:31], -1, 0
	s_waitcnt vmcnt(1)
	global_store_dword v0, v4, s[16:17]
	s_mov_b64 s[16:17], s[18:19]
	s_mov_b64 s[18:19], s[24:25]
	s_andn2_b64 vcc, exec, s[30:31]
	s_cbranch_vccz .LBB189_94
.LBB189_92:                             ;   Parent Loop BB189_90 Depth=1
                                        ; =>  This Inner Loop Header: Depth=2
	global_load_dword v3, v0, s[18:19] offset:-16
	s_add_u32 s24, s18, -16
	s_addc_u32 s25, s19, -1
	s_mov_b64 s[20:21], -1
	s_waitcnt vmcnt(0)
	v_cmp_nlt_f32_e32 vcc, v3, v2
	s_cbranch_vccz .LBB189_91
; %bb.93:                               ;   in Loop: Header=BB189_90 Depth=1
                                        ; implicit-def: $sgpr16_sgpr17
                                        ; implicit-def: $sgpr18_sgpr19
                                        ; implicit-def: $sgpr22_sgpr23
.LBB189_94:                             ;   in Loop: Header=BB189_90 Depth=1
	s_andn2_b64 vcc, exec, s[20:21]
	s_cbranch_vccz .LBB189_89
; %bb.95:                               ;   in Loop: Header=BB189_90 Depth=1
	s_bfe_i64 s[14:15], s[22:23], 0x200000
	s_branch .LBB189_89
.LBB189_96:
	s_cmp_lt_i32 s48, 2
	s_cbranch_scc1 .LBB189_103
; %bb.97:
	s_add_u32 s8, s56, 4
	s_addc_u32 s9, s57, 0
	s_add_u32 s10, s54, s52
	s_addc_u32 s11, s55, s53
	;; [unrolled: 2-line block ×3, first 2 shown]
	s_mov_b64 s[12:13], 1
	v_mov_b32_e32 v0, 0
	s_branch .LBB189_99
.LBB189_98:                             ;   in Loop: Header=BB189_99 Depth=1
	s_lshl_b64 s[14:15], s[22:23], 2
	s_add_u32 s16, s36, s14
	s_addc_u32 s17, s37, s15
	s_add_u32 s14, s56, s14
	s_addc_u32 s15, s57, s15
	;; [unrolled: 2-line block ×5, first 2 shown]
	s_cmp_eq_u32 s12, s48
	global_store_dword v0, v2, s[16:17]
	global_store_dword v0, v1, s[14:15]
	s_cbranch_scc1 .LBB189_103
.LBB189_99:                             ; =>This Loop Header: Depth=1
                                        ;     Child Loop BB189_101 Depth 2
	s_lshl_b64 s[14:15], s[12:13], 2
	s_and_b32 s15, s15, 3
	s_add_u32 s16, s36, s14
	s_addc_u32 s17, s37, s15
	s_add_u32 s14, s56, s14
	s_addc_u32 s15, s57, s15
	global_load_dword v2, v0, s[16:17]
	global_load_dword v1, v0, s[14:15]
	s_mov_b64 s[18:19], s[10:11]
	s_mov_b64 s[14:15], s[8:9]
	;; [unrolled: 1-line block ×3, first 2 shown]
	s_branch .LBB189_101
.LBB189_100:                            ;   in Loop: Header=BB189_101 Depth=2
	global_load_dword v4, v0, s[14:15] offset:-4
	s_mov_b64 s[22:23], 0
	global_store_dword v0, v3, s[18:19]
	s_add_u32 s18, s14, -4
	s_addc_u32 s19, s15, -1
	s_add_u32 s24, s16, -1
	s_addc_u32 s25, s17, -1
	s_cmp_lt_i32 s16, 2
	s_mov_b64 s[16:17], s[24:25]
	s_cselect_b64 s[24:25], -1, 0
	s_waitcnt vmcnt(1)
	global_store_dword v0, v4, s[14:15]
	s_mov_b64 s[14:15], s[18:19]
	s_mov_b64 s[18:19], s[20:21]
	s_andn2_b64 vcc, exec, s[24:25]
	s_cbranch_vccz .LBB189_98
.LBB189_101:                            ;   Parent Loop BB189_99 Depth=1
                                        ; =>  This Inner Loop Header: Depth=2
	global_load_dword v3, v0, s[18:19] offset:-4
	s_add_u32 s20, s18, -4
	s_addc_u32 s21, s19, -1
	s_mov_b64 s[24:25], -1
	s_waitcnt vmcnt(0)
	v_cmp_nlt_f32_e32 vcc, v3, v2
	s_cbranch_vccz .LBB189_100
; %bb.102:                              ;   in Loop: Header=BB189_101 Depth=2
                                        ; implicit-def: $sgpr14_sgpr15
                                        ; implicit-def: $sgpr18_sgpr19
	s_mov_b64 s[22:23], s[16:17]
	s_andn2_b64 vcc, exec, s[24:25]
	s_cbranch_vccnz .LBB189_101
	s_branch .LBB189_98
.LBB189_103:
	s_or_b64 exec, exec, s[6:7]
	s_cmp_lt_i32 s48, 2
	s_cselect_b64 s[10:11], -1, 0
	s_mov_b64 s[66:67], 0
	s_and_b64 vcc, exec, s[10:11]
	s_barrier
	s_cbranch_vccnz .LBB189_111
; %bb.104:
	s_add_i32 s20, s48, -1
	v_cmp_gt_u32_e32 vcc, s20, v41
	s_mov_b64 s[10:11], -1
	s_mov_b64 s[6:7], 0
	s_and_saveexec_b64 s[8:9], vcc
	s_cbranch_execz .LBB189_113
; %bb.105:
	s_add_u32 s21, s36, 4
	s_addc_u32 s22, s37, 0
	s_mov_b64 s[10:11], 0
	v_mov_b32_e32 v1, 0
	v_mov_b32_e32 v2, s37
	v_mov_b32_e32 v0, v41
                                        ; implicit-def: $sgpr12_sgpr13
	s_branch .LBB189_107
.LBB189_106:                            ;   in Loop: Header=BB189_107 Depth=1
	s_or_b64 exec, exec, s[18:19]
	s_xor_b64 s[14:15], s[14:15], -1
	s_and_b64 s[6:7], exec, s[6:7]
	s_or_b64 s[10:11], s[6:7], s[10:11]
	s_andn2_b64 s[6:7], s[12:13], exec
	s_and_b64 s[12:13], s[14:15], exec
	s_or_b64 s[12:13], s[6:7], s[12:13]
	s_andn2_b64 exec, exec, s[10:11]
	s_cbranch_execz .LBB189_112
.LBB189_107:                            ; =>This Inner Loop Header: Depth=1
	v_lshlrev_b64 v[4:5], 2, v[0:1]
	v_add_co_u32_e32 v4, vcc, s36, v4
	v_addc_co_u32_e32 v5, vcc, v2, v5, vcc
	global_load_dword v3, v[4:5], off
                                        ; implicit-def: $sgpr14_sgpr15
	s_waitcnt vmcnt(0)
	v_cmp_u_f32_e64 s[16:17], v3, v3
	v_cmp_o_f32_e32 vcc, v3, v3
	s_and_saveexec_b64 s[18:19], vcc
	s_cbranch_execz .LBB189_109
; %bb.108:                              ;   in Loop: Header=BB189_107 Depth=1
	v_ashrrev_i32_e32 v5, 31, v0
	v_mov_b32_e32 v4, v0
	v_lshlrev_b64 v[4:5], 2, v[4:5]
	v_mov_b32_e32 v6, s22
	v_add_co_u32_e32 v4, vcc, s21, v4
	v_addc_co_u32_e32 v5, vcc, v6, v5, vcc
	global_load_dword v4, v[4:5], off
	s_andn2_b64 s[16:17], s[16:17], exec
	s_mov_b64 s[14:15], -1
	s_waitcnt vmcnt(0)
	v_cmp_u_f32_e32 vcc, v4, v4
	v_cmp_ge_f32_e64 s[6:7], v3, v4
	s_or_b64 s[6:7], vcc, s[6:7]
	s_and_b64 s[6:7], s[6:7], exec
	s_or_b64 s[16:17], s[16:17], s[6:7]
.LBB189_109:                            ;   in Loop: Header=BB189_107 Depth=1
	s_or_b64 exec, exec, s[18:19]
	s_mov_b64 s[6:7], -1
	s_and_saveexec_b64 s[18:19], s[16:17]
	s_cbranch_execz .LBB189_106
; %bb.110:                              ;   in Loop: Header=BB189_107 Depth=1
	v_add_u32_e32 v0, s60, v0
	v_cmp_le_u32_e32 vcc, s20, v0
	s_andn2_b64 s[14:15], s[14:15], exec
	s_orn2_b64 s[6:7], vcc, exec
	s_branch .LBB189_106
.LBB189_111:
	s_mov_b64 s[6:7], 0
	s_branch .LBB189_114
.LBB189_112:
	s_or_b64 exec, exec, s[10:11]
	s_mov_b64 s[6:7], exec
	s_orn2_b64 s[10:11], s[12:13], exec
.LBB189_113:
	s_or_b64 exec, exec, s[8:9]
.LBB189_114:
	s_and_saveexec_b64 s[8:9], s[10:11]
	s_cbranch_execz .LBB189_116
; %bb.115:
	s_mov_b64 s[66:67], exec
	s_barrier
	s_andn2_b64 s[6:7], s[6:7], exec
.LBB189_116:
	s_or_b64 exec, exec, s[8:9]
	s_mov_b64 s[62:63], 0
	s_and_saveexec_b64 s[68:69], s[6:7]
	s_cbranch_execz .LBB189_118
; %bb.117:
	s_add_u32 s8, s4, 0x90
	s_addc_u32 s9, s5, 0
	s_getpc_b64 s[6:7]
	s_add_u32 s6, s6, __PRETTY_FUNCTION__._ZN9rocsolver6v33100L21shell_sort_descendingIfiEEvT0_PT_PS2_@rel32@lo+4
	s_addc_u32 s7, s7, __PRETTY_FUNCTION__._ZN9rocsolver6v33100L21shell_sort_descendingIfiEEvT0_PT_PS2_@rel32@hi+12
	v_mov_b32_e32 v0, s6
	v_mov_b32_e32 v1, s7
	s_getpc_b64 s[10:11]
	s_add_u32 s10, s10, __assert_fail@rel32@lo+4
	s_addc_u32 s11, s11, __assert_fail@rel32@hi+12
	s_mov_b64 s[62:63], s[4:5]
	s_swappc_b64 s[30:31], s[10:11]
	s_mov_b64 s[4:5], s[62:63]
	s_mov_b64 s[62:63], exec
.LBB189_118:
	s_or_b64 exec, exec, s[68:69]
.LBB189_119:
	s_and_saveexec_b64 s[20:21], s[66:67]
	s_cbranch_execz .LBB189_143
; %bb.120:
	s_andn2_b64 vcc, exec, s[64:65]
	s_barrier
	s_cbranch_vccnz .LBB189_142
; %bb.121:
	s_cmp_gt_i32 s49, 0
	s_cselect_b64 s[14:15], -1, 0
	s_ashr_i32 s33, s47, 31
	s_cmp_gt_i32 s50, 0
	s_cselect_b64 s[16:17], -1, 0
	s_cmp_gt_i32 s51, 0
	v_cndmask_b32_e64 v0, 0, 1, s[14:15]
	s_cselect_b64 s[18:19], -1, 0
	v_cmp_ne_u32_e64 s[14:15], 1, v0
	v_cndmask_b32_e64 v0, 0, 1, s[16:17]
	s_mov_b32 s23, 0
	v_cmp_ne_u32_e64 s[16:17], 1, v0
	v_cndmask_b32_e64 v0, 0, 1, s[18:19]
	v_cmp_eq_u32_e64 s[6:7], 0, v41
	v_cmp_gt_u32_e64 s[8:9], s49, v41
	s_mov_b32 s72, s47
	v_cmp_gt_u32_e64 s[10:11], s50, v41
	s_mov_b32 s73, s43
	v_cmp_gt_u32_e64 s[12:13], s51, v41
	s_ashr_i32 s74, s61, 31
	s_mov_b32 s75, s61
	v_mov_b32_e32 v1, 0
	v_cmp_ne_u32_e64 s[18:19], 1, v0
	s_mov_b32 s22, s23
	s_branch .LBB189_123
.LBB189_122:                            ;   in Loop: Header=BB189_123 Depth=1
	s_add_i32 s22, s22, 1
	s_cmp_eq_u32 s22, s48
	s_cbranch_scc1 .LBB189_142
.LBB189_123:                            ; =>This Loop Header: Depth=1
                                        ;     Child Loop BB189_126 Depth 2
                                        ;       Child Loop BB189_131 Depth 3
                                        ;       Child Loop BB189_136 Depth 3
	;; [unrolled: 1-line block ×3, first 2 shown]
	s_lshl_b64 s[24:25], s[22:23], 2
	s_add_u32 s24, s56, s24
	s_addc_u32 s25, s57, s25
	global_load_dword v0, v1, s[24:25]
	s_waitcnt vmcnt(0)
	v_cmp_eq_u32_e32 vcc, s22, v0
	v_readfirstlane_b32 s30, v0
	s_cbranch_vccz .LBB189_126
	s_branch .LBB189_122
.LBB189_124:                            ;   in Loop: Header=BB189_126 Depth=2
	s_or_b64 exec, exec, s[64:65]
	s_waitcnt lgkmcnt(0)
	s_barrier
.LBB189_125:                            ;   in Loop: Header=BB189_126 Depth=2
	global_load_dword v0, v1, s[24:25]
	s_waitcnt vmcnt(0)
	v_cmp_ne_u32_e32 vcc, s22, v0
	v_readfirstlane_b32 s30, v0
	s_cbranch_vccz .LBB189_122
.LBB189_126:                            ;   Parent Loop BB189_123 Depth=1
                                        ; =>  This Loop Header: Depth=2
                                        ;       Child Loop BB189_131 Depth 3
                                        ;       Child Loop BB189_136 Depth 3
	;; [unrolled: 1-line block ×3, first 2 shown]
	s_ashr_i32 s31, s30, 31
	s_lshl_b64 s[58:59], s[30:31], 2
	s_add_u32 s64, s56, s58
	s_addc_u32 s65, s57, s59
	global_load_dword v0, v1, s[64:65]
	s_barrier
	s_waitcnt vmcnt(0)
	v_readfirstlane_b32 s58, v0
	s_and_saveexec_b64 s[66:67], s[6:7]
	s_cbranch_execz .LBB189_128
; %bb.127:                              ;   in Loop: Header=BB189_126 Depth=2
	v_mov_b32_e32 v0, s30
	global_store_dword v1, v0, s[64:65]
	v_mov_b32_e32 v0, s58
	global_store_dword v1, v0, s[24:25]
.LBB189_128:                            ;   in Loop: Header=BB189_126 Depth=2
	s_or_b64 exec, exec, s[66:67]
	s_and_b64 vcc, exec, s[14:15]
	s_barrier
	s_cbranch_vccnz .LBB189_133
; %bb.129:                              ;   in Loop: Header=BB189_126 Depth=2
	s_and_saveexec_b64 s[64:65], s[8:9]
	s_cbranch_execz .LBB189_132
; %bb.130:                              ;   in Loop: Header=BB189_126 Depth=2
	s_ashr_i32 s59, s58, 31
	s_mov_b64 s[66:67], 0
	s_lshl_b64 s[68:69], s[30:31], 3
	s_lshl_b64 s[70:71], s[58:59], 3
	v_mov_b32_e32 v0, v41
.LBB189_131:                            ;   Parent Loop BB189_123 Depth=1
                                        ;     Parent Loop BB189_126 Depth=2
                                        ; =>    This Inner Loop Header: Depth=3
	v_mad_u64_u32 v[2:3], s[76:77], v0, s72, 0
	v_mov_b32_e32 v4, v3
	v_mad_u64_u32 v[4:5], s[76:77], v0, s33, v[4:5]
	v_mov_b32_e32 v3, v4
	v_lshlrev_b64 v[2:3], 3, v[2:3]
	v_mov_b32_e32 v6, s35
	v_add_co_u32_e32 v4, vcc, s34, v2
	v_addc_co_u32_e32 v5, vcc, v6, v3, vcc
	v_mov_b32_e32 v7, s69
	v_add_co_u32_e32 v2, vcc, s68, v4
	v_addc_co_u32_e32 v3, vcc, v5, v7, vcc
	;; [unrolled: 3-line block ×3, first 2 shown]
	flat_load_dwordx2 v[6:7], v[4:5]
	flat_load_dwordx2 v[8:9], v[2:3]
	v_add_u32_e32 v0, s60, v0
	v_cmp_le_u32_e32 vcc, s49, v0
	s_or_b64 s[66:67], vcc, s[66:67]
	s_waitcnt vmcnt(0) lgkmcnt(0)
	flat_store_dwordx2 v[2:3], v[6:7]
	flat_store_dwordx2 v[4:5], v[8:9]
	s_andn2_b64 exec, exec, s[66:67]
	s_cbranch_execnz .LBB189_131
.LBB189_132:                            ;   in Loop: Header=BB189_126 Depth=2
	s_or_b64 exec, exec, s[64:65]
	s_waitcnt lgkmcnt(0)
	s_barrier
.LBB189_133:                            ;   in Loop: Header=BB189_126 Depth=2
	s_and_b64 vcc, exec, s[16:17]
	s_cbranch_vccnz .LBB189_138
; %bb.134:                              ;   in Loop: Header=BB189_126 Depth=2
	s_and_saveexec_b64 s[64:65], s[10:11]
	s_cbranch_execz .LBB189_137
; %bb.135:                              ;   in Loop: Header=BB189_126 Depth=2
	s_mul_hi_i32 s67, s30, s73
	s_mul_i32 s66, s30, s73
	s_lshl_b64 s[66:67], s[66:67], 3
	s_add_u32 s59, s28, s66
	s_addc_u32 s69, s29, s67
	s_mul_hi_i32 s67, s58, s73
	s_mul_i32 s66, s58, s73
	s_lshl_b64 s[66:67], s[66:67], 3
	s_add_u32 s68, s28, s66
	s_addc_u32 s70, s29, s67
	s_mov_b64 s[66:67], 0
	v_mov_b32_e32 v2, s69
	v_mov_b32_e32 v3, s70
	;; [unrolled: 1-line block ×3, first 2 shown]
.LBB189_136:                            ;   Parent Loop BB189_123 Depth=1
                                        ;     Parent Loop BB189_126 Depth=2
                                        ; =>    This Inner Loop Header: Depth=3
	v_lshlrev_b64 v[4:5], 3, v[0:1]
	v_add_co_u32_e32 v6, vcc, s59, v4
	v_addc_co_u32_e32 v7, vcc, v2, v5, vcc
	v_add_co_u32_e32 v4, vcc, s68, v4
	v_addc_co_u32_e32 v5, vcc, v3, v5, vcc
	flat_load_dwordx2 v[8:9], v[4:5]
	flat_load_dwordx2 v[10:11], v[6:7]
	v_add_u32_e32 v0, s60, v0
	v_cmp_le_u32_e32 vcc, s50, v0
	s_or_b64 s[66:67], vcc, s[66:67]
	s_waitcnt vmcnt(0) lgkmcnt(0)
	flat_store_dwordx2 v[6:7], v[8:9]
	flat_store_dwordx2 v[4:5], v[10:11]
	s_andn2_b64 exec, exec, s[66:67]
	s_cbranch_execnz .LBB189_136
.LBB189_137:                            ;   in Loop: Header=BB189_126 Depth=2
	s_or_b64 exec, exec, s[64:65]
	s_waitcnt lgkmcnt(0)
	s_barrier
.LBB189_138:                            ;   in Loop: Header=BB189_126 Depth=2
	s_and_b64 vcc, exec, s[18:19]
	s_cbranch_vccnz .LBB189_125
; %bb.139:                              ;   in Loop: Header=BB189_126 Depth=2
	s_and_saveexec_b64 s[64:65], s[12:13]
	s_cbranch_execz .LBB189_124
; %bb.140:                              ;   in Loop: Header=BB189_126 Depth=2
	s_ashr_i32 s59, s58, 31
	s_mov_b64 s[66:67], 0
	s_lshl_b64 s[58:59], s[58:59], 3
	v_mov_b32_e32 v0, v41
.LBB189_141:                            ;   Parent Loop BB189_123 Depth=1
                                        ;     Parent Loop BB189_126 Depth=2
                                        ; =>    This Inner Loop Header: Depth=3
	v_mad_u64_u32 v[2:3], s[68:69], v0, s75, 0
	v_mov_b32_e32 v4, v3
	v_mad_u64_u32 v[4:5], s[70:71], v0, s74, v[4:5]
	v_mov_b32_e32 v3, v4
	v_lshlrev_b64 v[2:3], 3, v[2:3]
	v_mov_b32_e32 v6, s45
	v_add_co_u32_e32 v4, vcc, s44, v2
	s_lshl_b64 s[68:69], s[30:31], 3
	v_addc_co_u32_e32 v5, vcc, v6, v3, vcc
	v_mov_b32_e32 v8, s69
	v_add_co_u32_e32 v2, vcc, s68, v4
	v_addc_co_u32_e32 v3, vcc, v5, v8, vcc
	v_mov_b32_e32 v7, s59
	v_add_co_u32_e32 v4, vcc, s58, v4
	v_addc_co_u32_e32 v5, vcc, v5, v7, vcc
	flat_load_dwordx2 v[6:7], v[4:5]
	flat_load_dwordx2 v[8:9], v[2:3]
	v_add_u32_e32 v0, s60, v0
	v_cmp_le_u32_e32 vcc, s51, v0
	s_or_b64 s[66:67], vcc, s[66:67]
	s_waitcnt vmcnt(0) lgkmcnt(0)
	flat_store_dwordx2 v[2:3], v[6:7]
	flat_store_dwordx2 v[4:5], v[8:9]
	s_andn2_b64 exec, exec, s[66:67]
	s_cbranch_execnz .LBB189_141
	s_branch .LBB189_124
.LBB189_142:
	s_mov_b64 s[58:59], exec
.LBB189_143:
	s_or_b64 exec, exec, s[20:21]
	s_branch .LBB189_232
.LBB189_144:
	s_mov_b64 s[58:59], -1
	s_and_b64 vcc, exec, s[40:41]
	s_cbranch_vccz .LBB189_232
; %bb.145:
	v_or3_b32 v0, v43, v44, v42
	v_cmp_eq_u32_e32 vcc, 0, v0
	s_barrier
	s_barrier
	s_and_saveexec_b64 s[6:7], vcc
	s_cbranch_execz .LBB189_216
; %bb.146:
	s_cmpk_lt_u32 s48, 0x2be
	s_cbranch_scc1 .LBB189_155
; %bb.147:
	s_mov_b64 s[8:9], 0x2bd
	s_mov_b32 s11, 0
	v_mov_b32_e32 v0, 0
	s_mov_b64 s[12:13], s[36:37]
	s_branch .LBB189_149
.LBB189_148:                            ;   in Loop: Header=BB189_149 Depth=1
	s_lshl_b64 s[14:15], s[14:15], 2
	s_add_u32 s14, s36, s14
	s_addc_u32 s15, s37, s15
	s_add_u32 s8, s8, 1
	s_addc_u32 s9, s9, 0
	;; [unrolled: 2-line block ×3, first 2 shown]
	s_cmp_eq_u32 s8, s48
	global_store_dword v0, v1, s[14:15]
	s_cbranch_scc1 .LBB189_155
.LBB189_149:                            ; =>This Loop Header: Depth=1
                                        ;     Child Loop BB189_151 Depth 2
	s_mov_b32 s10, s8
	s_lshl_b64 s[14:15], s[10:11], 2
	s_add_u32 s14, s36, s14
	s_addc_u32 s15, s37, s15
	global_load_dword v1, v0, s[14:15]
	s_mov_b64 s[16:17], s[12:13]
	s_mov_b64 s[14:15], s[8:9]
	s_branch .LBB189_151
.LBB189_150:                            ;   in Loop: Header=BB189_151 Depth=2
	s_add_u32 s18, s14, 0xfffffd43
	s_addc_u32 s19, s15, -1
	global_store_dword v0, v2, s[16:17] offset:2804
	s_add_u32 s16, s16, 0xfffff50c
	s_addc_u32 s17, s17, -1
	s_cmpk_lt_i32 s14, 0x57a
	s_mov_b64 s[20:21], 0
	s_cselect_b64 s[22:23], -1, 0
	s_mov_b64 s[14:15], s[18:19]
	s_andn2_b64 vcc, exec, s[22:23]
	s_cbranch_vccz .LBB189_153
.LBB189_151:                            ;   Parent Loop BB189_149 Depth=1
                                        ; =>  This Inner Loop Header: Depth=2
	global_load_dword v2, v0, s[16:17]
	s_mov_b64 s[20:21], -1
	s_waitcnt vmcnt(0)
	v_cmp_nlt_f32_e32 vcc, v2, v1
	s_cbranch_vccz .LBB189_150
; %bb.152:                              ;   in Loop: Header=BB189_149 Depth=1
                                        ; implicit-def: $sgpr16_sgpr17
                                        ; implicit-def: $sgpr18_sgpr19
.LBB189_153:                            ;   in Loop: Header=BB189_149 Depth=1
	s_andn2_b64 vcc, exec, s[20:21]
	s_cbranch_vccz .LBB189_148
; %bb.154:                              ;   in Loop: Header=BB189_149 Depth=1
	s_bfe_i64 s[14:15], s[18:19], 0x200000
	s_branch .LBB189_148
.LBB189_155:
	s_cmpk_lt_i32 s48, 0x12e
	s_cbranch_scc1 .LBB189_164
; %bb.156:
	s_mov_b64 s[8:9], 0x12d
	s_mov_b32 s11, 0
	v_mov_b32_e32 v0, 0
	s_mov_b64 s[12:13], s[36:37]
	s_branch .LBB189_158
.LBB189_157:                            ;   in Loop: Header=BB189_158 Depth=1
	s_lshl_b64 s[14:15], s[14:15], 2
	s_add_u32 s14, s36, s14
	s_addc_u32 s15, s37, s15
	s_add_u32 s8, s8, 1
	s_addc_u32 s9, s9, 0
	;; [unrolled: 2-line block ×3, first 2 shown]
	s_cmp_lg_u32 s8, s48
	global_store_dword v0, v1, s[14:15]
	s_cbranch_scc0 .LBB189_164
.LBB189_158:                            ; =>This Loop Header: Depth=1
                                        ;     Child Loop BB189_160 Depth 2
	s_mov_b32 s10, s8
	s_lshl_b64 s[14:15], s[10:11], 2
	s_add_u32 s14, s36, s14
	s_addc_u32 s15, s37, s15
	global_load_dword v1, v0, s[14:15]
	s_mov_b64 s[16:17], s[12:13]
	s_mov_b64 s[14:15], s[8:9]
	s_branch .LBB189_160
.LBB189_159:                            ;   in Loop: Header=BB189_160 Depth=2
	s_add_u32 s18, s14, 0xfffffed3
	s_addc_u32 s19, s15, -1
	global_store_dword v0, v2, s[16:17] offset:1204
	s_add_u32 s16, s16, 0xfffffb4c
	s_addc_u32 s17, s17, -1
	s_cmpk_lt_i32 s14, 0x25a
	s_mov_b64 s[20:21], 0
	s_cselect_b64 s[22:23], -1, 0
	s_mov_b64 s[14:15], s[18:19]
	s_andn2_b64 vcc, exec, s[22:23]
	s_cbranch_vccz .LBB189_162
.LBB189_160:                            ;   Parent Loop BB189_158 Depth=1
                                        ; =>  This Inner Loop Header: Depth=2
	global_load_dword v2, v0, s[16:17]
	s_mov_b64 s[20:21], -1
	s_waitcnt vmcnt(0)
	v_cmp_nlt_f32_e32 vcc, v2, v1
	s_cbranch_vccz .LBB189_159
; %bb.161:                              ;   in Loop: Header=BB189_158 Depth=1
                                        ; implicit-def: $sgpr16_sgpr17
                                        ; implicit-def: $sgpr18_sgpr19
.LBB189_162:                            ;   in Loop: Header=BB189_158 Depth=1
	s_andn2_b64 vcc, exec, s[20:21]
	s_cbranch_vccz .LBB189_157
; %bb.163:                              ;   in Loop: Header=BB189_158 Depth=1
	s_bfe_i64 s[14:15], s[18:19], 0x200000
	s_branch .LBB189_157
.LBB189_164:
	s_cmpk_lt_i32 s48, 0x85
	s_cbranch_scc1 .LBB189_173
; %bb.165:
	s_mov_b64 s[8:9], 0x84
	s_mov_b32 s11, 0
	v_mov_b32_e32 v0, 0
	s_mov_b64 s[12:13], s[36:37]
	s_branch .LBB189_167
.LBB189_166:                            ;   in Loop: Header=BB189_167 Depth=1
	s_lshl_b64 s[14:15], s[14:15], 2
	s_add_u32 s14, s36, s14
	s_addc_u32 s15, s37, s15
	s_add_u32 s8, s8, 1
	s_addc_u32 s9, s9, 0
	;; [unrolled: 2-line block ×3, first 2 shown]
	s_cmp_lg_u32 s8, s48
	global_store_dword v0, v1, s[14:15]
	s_cbranch_scc0 .LBB189_173
.LBB189_167:                            ; =>This Loop Header: Depth=1
                                        ;     Child Loop BB189_169 Depth 2
	s_mov_b32 s10, s8
	s_lshl_b64 s[14:15], s[10:11], 2
	s_add_u32 s14, s36, s14
	s_addc_u32 s15, s37, s15
	global_load_dword v1, v0, s[14:15]
	s_mov_b64 s[16:17], s[12:13]
	s_mov_b64 s[14:15], s[8:9]
	s_branch .LBB189_169
.LBB189_168:                            ;   in Loop: Header=BB189_169 Depth=2
	s_add_u32 s18, s14, 0xffffff7c
	s_addc_u32 s19, s15, -1
	global_store_dword v0, v2, s[16:17] offset:528
	s_add_u32 s16, s16, 0xfffffdf0
	s_addc_u32 s17, s17, -1
	s_cmpk_lt_i32 s14, 0x108
	s_mov_b64 s[20:21], 0
	s_cselect_b64 s[22:23], -1, 0
	s_mov_b64 s[14:15], s[18:19]
	s_andn2_b64 vcc, exec, s[22:23]
	s_cbranch_vccz .LBB189_171
.LBB189_169:                            ;   Parent Loop BB189_167 Depth=1
                                        ; =>  This Inner Loop Header: Depth=2
	global_load_dword v2, v0, s[16:17]
	s_mov_b64 s[20:21], -1
	s_waitcnt vmcnt(0)
	v_cmp_nlt_f32_e32 vcc, v2, v1
	s_cbranch_vccz .LBB189_168
; %bb.170:                              ;   in Loop: Header=BB189_167 Depth=1
                                        ; implicit-def: $sgpr16_sgpr17
                                        ; implicit-def: $sgpr18_sgpr19
.LBB189_171:                            ;   in Loop: Header=BB189_167 Depth=1
	s_andn2_b64 vcc, exec, s[20:21]
	s_cbranch_vccz .LBB189_166
; %bb.172:                              ;   in Loop: Header=BB189_167 Depth=1
	s_bfe_i64 s[14:15], s[18:19], 0x200000
	s_branch .LBB189_166
.LBB189_173:
	s_cmp_lt_i32 s48, 58
	s_cbranch_scc1 .LBB189_182
; %bb.174:
	s_mov_b64 s[8:9], 57
	s_mov_b32 s11, 0
	v_mov_b32_e32 v0, 0
	s_mov_b64 s[12:13], s[36:37]
	s_branch .LBB189_176
.LBB189_175:                            ;   in Loop: Header=BB189_176 Depth=1
	s_lshl_b64 s[14:15], s[14:15], 2
	s_add_u32 s14, s36, s14
	s_addc_u32 s15, s37, s15
	s_add_u32 s8, s8, 1
	s_addc_u32 s9, s9, 0
	;; [unrolled: 2-line block ×3, first 2 shown]
	s_cmp_lg_u32 s8, s48
	global_store_dword v0, v1, s[14:15]
	s_cbranch_scc0 .LBB189_182
.LBB189_176:                            ; =>This Loop Header: Depth=1
                                        ;     Child Loop BB189_178 Depth 2
	s_mov_b32 s10, s8
	s_lshl_b64 s[14:15], s[10:11], 2
	s_add_u32 s14, s36, s14
	s_addc_u32 s15, s37, s15
	global_load_dword v1, v0, s[14:15]
	s_mov_b64 s[16:17], s[12:13]
	s_mov_b64 s[14:15], s[8:9]
	s_branch .LBB189_178
.LBB189_177:                            ;   in Loop: Header=BB189_178 Depth=2
	s_add_u32 s18, s14, 0xffffffc7
	s_addc_u32 s19, s15, -1
	global_store_dword v0, v2, s[16:17] offset:228
	s_add_u32 s16, s16, 0xffffff1c
	s_addc_u32 s17, s17, -1
	s_cmpk_lt_i32 s14, 0x72
	s_mov_b64 s[20:21], 0
	s_cselect_b64 s[22:23], -1, 0
	s_mov_b64 s[14:15], s[18:19]
	s_andn2_b64 vcc, exec, s[22:23]
	s_cbranch_vccz .LBB189_180
.LBB189_178:                            ;   Parent Loop BB189_176 Depth=1
                                        ; =>  This Inner Loop Header: Depth=2
	global_load_dword v2, v0, s[16:17]
	s_mov_b64 s[20:21], -1
	s_waitcnt vmcnt(0)
	v_cmp_nlt_f32_e32 vcc, v2, v1
	s_cbranch_vccz .LBB189_177
; %bb.179:                              ;   in Loop: Header=BB189_176 Depth=1
                                        ; implicit-def: $sgpr16_sgpr17
                                        ; implicit-def: $sgpr18_sgpr19
.LBB189_180:                            ;   in Loop: Header=BB189_176 Depth=1
	s_andn2_b64 vcc, exec, s[20:21]
	s_cbranch_vccz .LBB189_175
; %bb.181:                              ;   in Loop: Header=BB189_176 Depth=1
	s_bfe_i64 s[14:15], s[18:19], 0x200000
	s_branch .LBB189_175
.LBB189_182:
	s_cmp_lt_i32 s48, 24
	s_cbranch_scc1 .LBB189_191
; %bb.183:
	s_mov_b64 s[8:9], 23
	s_mov_b32 s11, 0
	v_mov_b32_e32 v0, 0
	s_mov_b64 s[12:13], s[36:37]
	s_branch .LBB189_185
.LBB189_184:                            ;   in Loop: Header=BB189_185 Depth=1
	s_lshl_b64 s[14:15], s[14:15], 2
	s_add_u32 s14, s36, s14
	s_addc_u32 s15, s37, s15
	s_add_u32 s8, s8, 1
	s_addc_u32 s9, s9, 0
	;; [unrolled: 2-line block ×3, first 2 shown]
	s_cmp_lg_u32 s8, s48
	global_store_dword v0, v1, s[14:15]
	s_cbranch_scc0 .LBB189_191
.LBB189_185:                            ; =>This Loop Header: Depth=1
                                        ;     Child Loop BB189_187 Depth 2
	s_mov_b32 s10, s8
	s_lshl_b64 s[14:15], s[10:11], 2
	s_add_u32 s14, s36, s14
	s_addc_u32 s15, s37, s15
	global_load_dword v1, v0, s[14:15]
	s_mov_b64 s[16:17], s[12:13]
	s_mov_b64 s[14:15], s[8:9]
	s_branch .LBB189_187
.LBB189_186:                            ;   in Loop: Header=BB189_187 Depth=2
	s_add_u32 s18, s14, 0xffffffe9
	s_addc_u32 s19, s15, -1
	global_store_dword v0, v2, s[16:17] offset:92
	s_add_u32 s16, s16, 0xffffffa4
	s_addc_u32 s17, s17, -1
	s_cmp_lt_i32 s14, 46
	s_mov_b64 s[20:21], 0
	s_cselect_b64 s[22:23], -1, 0
	s_mov_b64 s[14:15], s[18:19]
	s_andn2_b64 vcc, exec, s[22:23]
	s_cbranch_vccz .LBB189_189
.LBB189_187:                            ;   Parent Loop BB189_185 Depth=1
                                        ; =>  This Inner Loop Header: Depth=2
	global_load_dword v2, v0, s[16:17]
	s_mov_b64 s[20:21], -1
	s_waitcnt vmcnt(0)
	v_cmp_nlt_f32_e32 vcc, v2, v1
	s_cbranch_vccz .LBB189_186
; %bb.188:                              ;   in Loop: Header=BB189_185 Depth=1
                                        ; implicit-def: $sgpr16_sgpr17
                                        ; implicit-def: $sgpr18_sgpr19
.LBB189_189:                            ;   in Loop: Header=BB189_185 Depth=1
	s_andn2_b64 vcc, exec, s[20:21]
	s_cbranch_vccz .LBB189_184
; %bb.190:                              ;   in Loop: Header=BB189_185 Depth=1
	s_bfe_i64 s[14:15], s[18:19], 0x200000
	s_branch .LBB189_184
.LBB189_191:
	s_cmp_lt_i32 s48, 11
	s_cbranch_scc1 .LBB189_200
; %bb.192:
	s_mov_b64 s[8:9], 10
	s_mov_b32 s11, 0
	v_mov_b32_e32 v0, 0
	s_mov_b64 s[12:13], s[36:37]
	s_branch .LBB189_194
.LBB189_193:                            ;   in Loop: Header=BB189_194 Depth=1
	s_lshl_b64 s[14:15], s[14:15], 2
	s_add_u32 s14, s36, s14
	s_addc_u32 s15, s37, s15
	s_add_u32 s8, s8, 1
	s_addc_u32 s9, s9, 0
	;; [unrolled: 2-line block ×3, first 2 shown]
	s_cmp_lg_u32 s8, s48
	global_store_dword v0, v1, s[14:15]
	s_cbranch_scc0 .LBB189_200
.LBB189_194:                            ; =>This Loop Header: Depth=1
                                        ;     Child Loop BB189_196 Depth 2
	s_mov_b32 s10, s8
	s_lshl_b64 s[14:15], s[10:11], 2
	s_add_u32 s14, s36, s14
	s_addc_u32 s15, s37, s15
	global_load_dword v1, v0, s[14:15]
	s_mov_b64 s[16:17], s[12:13]
	s_mov_b64 s[14:15], s[8:9]
	s_branch .LBB189_196
.LBB189_195:                            ;   in Loop: Header=BB189_196 Depth=2
	s_add_u32 s18, s14, -10
	s_addc_u32 s19, s15, -1
	global_store_dword v0, v2, s[16:17] offset:40
	s_add_u32 s16, s16, 0xffffffd8
	s_addc_u32 s17, s17, -1
	s_cmp_lt_i32 s14, 20
	s_mov_b64 s[20:21], 0
	s_cselect_b64 s[22:23], -1, 0
	s_mov_b64 s[14:15], s[18:19]
	s_andn2_b64 vcc, exec, s[22:23]
	s_cbranch_vccz .LBB189_198
.LBB189_196:                            ;   Parent Loop BB189_194 Depth=1
                                        ; =>  This Inner Loop Header: Depth=2
	global_load_dword v2, v0, s[16:17]
	s_mov_b64 s[20:21], -1
	s_waitcnt vmcnt(0)
	v_cmp_nlt_f32_e32 vcc, v2, v1
	s_cbranch_vccz .LBB189_195
; %bb.197:                              ;   in Loop: Header=BB189_194 Depth=1
                                        ; implicit-def: $sgpr16_sgpr17
                                        ; implicit-def: $sgpr18_sgpr19
.LBB189_198:                            ;   in Loop: Header=BB189_194 Depth=1
	s_andn2_b64 vcc, exec, s[20:21]
	s_cbranch_vccz .LBB189_193
; %bb.199:                              ;   in Loop: Header=BB189_194 Depth=1
	s_bfe_i64 s[14:15], s[18:19], 0x200000
	s_branch .LBB189_193
.LBB189_200:
	s_cmp_lt_i32 s48, 5
	s_cbranch_scc1 .LBB189_209
; %bb.201:
	s_add_u32 s8, s54, s52
	s_addc_u32 s9, s55, s53
	s_add_u32 s8, s8, 16
	s_addc_u32 s9, s9, 0
	s_mov_b64 s[10:11], 4
	s_mov_b32 s13, 0
	v_mov_b32_e32 v0, 0
	s_branch .LBB189_203
.LBB189_202:                            ;   in Loop: Header=BB189_203 Depth=1
	s_lshl_b64 s[14:15], s[14:15], 2
	s_add_u32 s14, s36, s14
	s_addc_u32 s15, s37, s15
	s_add_u32 s10, s10, 1
	s_addc_u32 s11, s11, 0
	;; [unrolled: 2-line block ×3, first 2 shown]
	s_cmp_lg_u32 s10, s48
	global_store_dword v0, v1, s[14:15]
	s_cbranch_scc0 .LBB189_209
.LBB189_203:                            ; =>This Loop Header: Depth=1
                                        ;     Child Loop BB189_205 Depth 2
	s_mov_b32 s12, s10
	s_lshl_b64 s[14:15], s[12:13], 2
	s_add_u32 s14, s36, s14
	s_addc_u32 s15, s37, s15
	global_load_dword v1, v0, s[14:15]
	s_mov_b64 s[16:17], s[8:9]
	s_mov_b64 s[14:15], s[10:11]
	s_branch .LBB189_205
.LBB189_204:                            ;   in Loop: Header=BB189_205 Depth=2
	s_add_u32 s20, s14, -4
	s_addc_u32 s21, s15, -1
	s_cmp_lt_i32 s14, 8
	global_store_dword v0, v2, s[16:17]
	s_mov_b64 s[18:19], 0
	s_cselect_b64 s[24:25], -1, 0
	s_mov_b64 s[14:15], s[20:21]
	s_mov_b64 s[16:17], s[22:23]
	s_andn2_b64 vcc, exec, s[24:25]
	s_cbranch_vccz .LBB189_207
.LBB189_205:                            ;   Parent Loop BB189_203 Depth=1
                                        ; =>  This Inner Loop Header: Depth=2
	global_load_dword v2, v0, s[16:17] offset:-16
	s_add_u32 s22, s16, -16
	s_addc_u32 s23, s17, -1
	s_mov_b64 s[18:19], -1
	s_waitcnt vmcnt(0)
	v_cmp_nlt_f32_e32 vcc, v2, v1
	s_cbranch_vccz .LBB189_204
; %bb.206:                              ;   in Loop: Header=BB189_203 Depth=1
                                        ; implicit-def: $sgpr16_sgpr17
                                        ; implicit-def: $sgpr20_sgpr21
.LBB189_207:                            ;   in Loop: Header=BB189_203 Depth=1
	s_andn2_b64 vcc, exec, s[18:19]
	s_cbranch_vccz .LBB189_202
; %bb.208:                              ;   in Loop: Header=BB189_203 Depth=1
	s_bfe_i64 s[14:15], s[20:21], 0x200000
	s_branch .LBB189_202
.LBB189_209:
	s_cmp_lt_i32 s48, 2
	s_cbranch_scc1 .LBB189_216
; %bb.210:
	s_add_u32 s8, s54, s52
	s_addc_u32 s9, s55, s53
	s_add_u32 s8, s8, 4
	s_addc_u32 s9, s9, 0
	s_mov_b64 s[10:11], 1
	s_mov_b32 s13, 0
	v_mov_b32_e32 v0, 0
	s_branch .LBB189_212
.LBB189_211:                            ;   in Loop: Header=BB189_212 Depth=1
	s_lshl_b64 s[14:15], s[18:19], 2
	s_add_u32 s14, s36, s14
	s_addc_u32 s15, s37, s15
	s_add_u32 s10, s10, 1
	s_addc_u32 s11, s11, 0
	;; [unrolled: 2-line block ×3, first 2 shown]
	s_cmp_eq_u32 s10, s48
	global_store_dword v0, v1, s[14:15]
	s_cbranch_scc1 .LBB189_216
.LBB189_212:                            ; =>This Loop Header: Depth=1
                                        ;     Child Loop BB189_214 Depth 2
	s_mov_b32 s12, s10
	s_lshl_b64 s[14:15], s[12:13], 2
	s_add_u32 s14, s36, s14
	s_addc_u32 s15, s37, s15
	global_load_dword v1, v0, s[14:15]
	s_mov_b64 s[16:17], s[8:9]
	s_mov_b64 s[14:15], s[10:11]
	s_branch .LBB189_214
.LBB189_213:                            ;   in Loop: Header=BB189_214 Depth=2
	global_store_dword v0, v2, s[16:17]
	s_add_u32 s16, s14, -1
	s_addc_u32 s17, s15, -1
	s_cmp_lt_i32 s14, 2
	s_mov_b64 s[18:19], 0
	s_cselect_b64 s[20:21], -1, 0
	s_mov_b64 s[14:15], s[16:17]
	s_mov_b64 s[16:17], s[22:23]
	s_andn2_b64 vcc, exec, s[20:21]
	s_cbranch_vccz .LBB189_211
.LBB189_214:                            ;   Parent Loop BB189_212 Depth=1
                                        ; =>  This Inner Loop Header: Depth=2
	global_load_dword v2, v0, s[16:17] offset:-4
	s_add_u32 s22, s16, -4
	s_addc_u32 s23, s17, -1
	s_mov_b64 s[20:21], -1
	s_waitcnt vmcnt(0)
	v_cmp_nlt_f32_e32 vcc, v2, v1
	s_cbranch_vccz .LBB189_213
; %bb.215:                              ;   in Loop: Header=BB189_214 Depth=2
                                        ; implicit-def: $sgpr16_sgpr17
	s_mov_b64 s[18:19], s[14:15]
	s_andn2_b64 vcc, exec, s[20:21]
	s_cbranch_vccnz .LBB189_214
	s_branch .LBB189_211
.LBB189_216:
	s_or_b64 exec, exec, s[6:7]
	s_cmp_lt_i32 s48, 2
	s_cselect_b64 s[10:11], -1, 0
	s_mov_b64 s[58:59], 0
	s_and_b64 vcc, exec, s[10:11]
	s_barrier
	s_cbranch_vccnz .LBB189_224
; %bb.217:
	s_add_i32 s20, s48, -1
	v_cmp_gt_u32_e32 vcc, s20, v41
	s_mov_b64 s[10:11], -1
	s_mov_b64 s[6:7], 0
	s_and_saveexec_b64 s[8:9], vcc
	s_cbranch_execz .LBB189_226
; %bb.218:
	s_add_u32 s21, s36, 4
	s_addc_u32 s22, s37, 0
	s_mov_b64 s[10:11], 0
	v_mov_b32_e32 v1, 0
	v_mov_b32_e32 v2, s37
	;; [unrolled: 1-line block ×3, first 2 shown]
                                        ; implicit-def: $sgpr12_sgpr13
	s_branch .LBB189_220
.LBB189_219:                            ;   in Loop: Header=BB189_220 Depth=1
	s_or_b64 exec, exec, s[18:19]
	s_xor_b64 s[14:15], s[14:15], -1
	s_and_b64 s[6:7], exec, s[6:7]
	s_or_b64 s[10:11], s[6:7], s[10:11]
	s_andn2_b64 s[6:7], s[12:13], exec
	s_and_b64 s[12:13], s[14:15], exec
	s_or_b64 s[12:13], s[6:7], s[12:13]
	s_andn2_b64 exec, exec, s[10:11]
	s_cbranch_execz .LBB189_225
.LBB189_220:                            ; =>This Inner Loop Header: Depth=1
	v_lshlrev_b64 v[4:5], 2, v[0:1]
	v_add_co_u32_e32 v4, vcc, s36, v4
	v_addc_co_u32_e32 v5, vcc, v2, v5, vcc
	global_load_dword v3, v[4:5], off
                                        ; implicit-def: $sgpr14_sgpr15
	s_waitcnt vmcnt(0)
	v_cmp_u_f32_e64 s[16:17], v3, v3
	v_cmp_o_f32_e32 vcc, v3, v3
	s_and_saveexec_b64 s[18:19], vcc
	s_cbranch_execz .LBB189_222
; %bb.221:                              ;   in Loop: Header=BB189_220 Depth=1
	v_ashrrev_i32_e32 v5, 31, v0
	v_mov_b32_e32 v4, v0
	v_lshlrev_b64 v[4:5], 2, v[4:5]
	v_mov_b32_e32 v6, s22
	v_add_co_u32_e32 v4, vcc, s21, v4
	v_addc_co_u32_e32 v5, vcc, v6, v5, vcc
	global_load_dword v4, v[4:5], off
	s_andn2_b64 s[16:17], s[16:17], exec
	s_mov_b64 s[14:15], -1
	s_waitcnt vmcnt(0)
	v_cmp_u_f32_e32 vcc, v4, v4
	v_cmp_ge_f32_e64 s[6:7], v3, v4
	s_or_b64 s[6:7], vcc, s[6:7]
	s_and_b64 s[6:7], s[6:7], exec
	s_or_b64 s[16:17], s[16:17], s[6:7]
.LBB189_222:                            ;   in Loop: Header=BB189_220 Depth=1
	s_or_b64 exec, exec, s[18:19]
	s_mov_b64 s[6:7], -1
	s_and_saveexec_b64 s[18:19], s[16:17]
	s_cbranch_execz .LBB189_219
; %bb.223:                              ;   in Loop: Header=BB189_220 Depth=1
	v_add_u32_e32 v0, s60, v0
	v_cmp_le_u32_e32 vcc, s20, v0
	s_andn2_b64 s[14:15], s[14:15], exec
	s_orn2_b64 s[6:7], vcc, exec
	s_branch .LBB189_219
.LBB189_224:
	s_mov_b64 s[6:7], 0
	s_branch .LBB189_227
.LBB189_225:
	s_or_b64 exec, exec, s[10:11]
	s_mov_b64 s[6:7], exec
	s_orn2_b64 s[10:11], s[12:13], exec
.LBB189_226:
	s_or_b64 exec, exec, s[8:9]
.LBB189_227:
	s_and_saveexec_b64 s[8:9], s[10:11]
	s_cbranch_execz .LBB189_229
; %bb.228:
	s_mov_b64 s[58:59], exec
	s_barrier
	s_andn2_b64 s[6:7], s[6:7], exec
.LBB189_229:
	s_or_b64 exec, exec, s[8:9]
	s_and_saveexec_b64 s[40:41], s[6:7]
	s_cbranch_execz .LBB189_231
; %bb.230:
	s_add_u32 s8, s4, 0x90
	s_addc_u32 s9, s5, 0
	s_getpc_b64 s[4:5]
	s_add_u32 s4, s4, __PRETTY_FUNCTION__._ZN9rocsolver6v33100L21shell_sort_descendingIfiEEvT0_PT_PS2_@rel32@lo+4
	s_addc_u32 s5, s5, __PRETTY_FUNCTION__._ZN9rocsolver6v33100L21shell_sort_descendingIfiEEvT0_PT_PS2_@rel32@hi+12
	v_mov_b32_e32 v0, s4
	v_mov_b32_e32 v1, s5
	s_getpc_b64 s[6:7]
	s_add_u32 s6, s6, __assert_fail@rel32@lo+4
	s_addc_u32 s7, s7, __assert_fail@rel32@hi+12
	s_swappc_b64 s[30:31], s[6:7]
	s_or_b64 s[62:63], s[62:63], exec
.LBB189_231:
	s_or_b64 exec, exec, s[40:41]
.LBB189_232:
	s_and_saveexec_b64 s[4:5], s[62:63]
; %bb.233:
	; divergent unreachable
; %bb.234:
	s_or_b64 exec, exec, s[4:5]
	s_and_saveexec_b64 s[4:5], s[58:59]
	s_cbranch_execz .LBB189_236
; %bb.235:
	s_barrier
.LBB189_236:
	s_or_b64 exec, exec, s[4:5]
	s_cbranch_execnz .LBB189_260
.LBB189_237:
	s_cmp_lt_i32 s48, 2
	s_cbranch_scc1 .LBB189_260
; %bb.238:
	s_cmp_lg_u32 s49, 0
	s_cselect_b64 s[12:13], -1, 0
	s_cmp_lg_u32 s50, 0
	s_cselect_b64 s[14:15], -1, 0
	;; [unrolled: 2-line block ×3, first 2 shown]
	s_add_i32 s33, s48, -2
	s_add_u32 s18, s54, s52
	v_cndmask_b32_e64 v3, 0, 1, s[12:13]
	s_addc_u32 s21, s55, s53
	v_cmp_ne_u32_e64 s[12:13], 1, v3
	v_cndmask_b32_e64 v3, 0, 1, s[14:15]
	s_add_u32 s20, s18, 4
	v_cmp_ne_u32_e64 s[14:15], 1, v3
	v_cndmask_b32_e64 v3, 0, 1, s[16:17]
	s_mov_b32 s19, 0
	v_cmp_eq_u32_e64 s[4:5], 0, v41
	v_cmp_gt_i32_e64 s[6:7], s49, v41
	v_cmp_gt_i32_e64 s[8:9], s50, v41
	;; [unrolled: 1-line block ×3, first 2 shown]
	s_addc_u32 s21, s21, 0
	v_mul_lo_u32 v0, s47, v41
	s_mul_i32 s40, s47, s42
	v_mul_lo_u32 v1, s61, v41
	s_mul_i32 s41, s61, s42
	v_mov_b32_e32 v2, 0
	v_cmp_ne_u32_e64 s[16:17], 1, v3
	s_mov_b32 s47, 0
	s_mov_b32 s52, 0
	s_branch .LBB189_241
.LBB189_239:                            ;   in Loop: Header=BB189_241 Depth=1
	s_or_b64 exec, exec, s[24:25]
	s_waitcnt lgkmcnt(0)
	s_barrier
.LBB189_240:                            ;   in Loop: Header=BB189_241 Depth=1
	s_add_u32 s20, s20, 4
	s_addc_u32 s21, s21, 0
	s_add_i32 s47, s47, s43
	s_cmp_eq_u32 s18, s33
	s_cbranch_scc1 .LBB189_260
.LBB189_241:                            ; =>This Loop Header: Depth=1
                                        ;     Child Loop BB189_242 Depth 2
                                        ;     Child Loop BB189_249 Depth 2
	;; [unrolled: 1-line block ×4, first 2 shown]
	s_mov_b32 s18, s52
	s_lshl_b64 s[22:23], s[18:19], 2
	s_add_u32 s24, s36, s22
	s_addc_u32 s25, s37, s23
	global_load_dword v3, v2, s[24:25]
	s_add_i32 s52, s52, 1
	s_mov_b64 s[30:31], s[20:21]
	s_mov_b32 s23, s52
	s_mov_b32 s22, s18
.LBB189_242:                            ;   Parent Loop BB189_241 Depth=1
                                        ; =>  This Inner Loop Header: Depth=2
	global_load_dword v4, v2, s[30:31]
	s_waitcnt vmcnt(0)
	v_cmp_gt_f32_e32 vcc, v4, v3
	s_and_b64 s[54:55], vcc, exec
	s_cselect_b32 s22, s23, s22
	s_add_i32 s23, s23, 1
	s_add_u32 s30, s30, 4
	s_addc_u32 s31, s31, 0
	v_cndmask_b32_e32 v3, v3, v4, vcc
	s_cmp_lt_i32 s23, s48
	s_cbranch_scc1 .LBB189_242
; %bb.243:                              ;   in Loop: Header=BB189_241 Depth=1
	s_cmp_eq_u32 s22, s18
	s_barrier
	s_cbranch_scc1 .LBB189_240
; %bb.244:                              ;   in Loop: Header=BB189_241 Depth=1
	s_and_saveexec_b64 s[30:31], s[4:5]
	s_cbranch_execz .LBB189_246
; %bb.245:                              ;   in Loop: Header=BB189_241 Depth=1
	global_load_dword v4, v2, s[24:25]
	s_ashr_i32 s23, s22, 31
	s_lshl_b64 s[54:55], s[22:23], 2
	s_add_u32 s54, s36, s54
	s_addc_u32 s55, s37, s55
	s_waitcnt vmcnt(0)
	global_store_dword v2, v4, s[54:55]
	global_store_dword v2, v3, s[24:25]
.LBB189_246:                            ;   in Loop: Header=BB189_241 Depth=1
	s_or_b64 exec, exec, s[30:31]
	s_and_b64 vcc, exec, s[12:13]
	s_cbranch_vccnz .LBB189_251
; %bb.247:                              ;   in Loop: Header=BB189_241 Depth=1
	s_and_saveexec_b64 s[24:25], s[6:7]
	s_cbranch_execz .LBB189_250
; %bb.248:                              ;   in Loop: Header=BB189_241 Depth=1
	s_mov_b64 s[30:31], 0
	v_mov_b32_e32 v3, v0
	v_mov_b32_e32 v4, v41
.LBB189_249:                            ;   Parent Loop BB189_241 Depth=1
                                        ; =>  This Inner Loop Header: Depth=2
	v_add_u32_e32 v6, s22, v3
	v_ashrrev_i32_e32 v7, 31, v6
	v_add_u32_e32 v8, s18, v3
	v_lshlrev_b64 v[6:7], 3, v[6:7]
	v_mov_b32_e32 v5, s35
	v_ashrrev_i32_e32 v9, 31, v8
	v_add_co_u32_e32 v6, vcc, s34, v6
	v_lshlrev_b64 v[8:9], 3, v[8:9]
	v_addc_co_u32_e32 v7, vcc, v5, v7, vcc
	v_add_co_u32_e32 v8, vcc, s34, v8
	v_addc_co_u32_e32 v9, vcc, v5, v9, vcc
	flat_load_dwordx2 v[10:11], v[8:9]
	flat_load_dwordx2 v[12:13], v[6:7]
	v_add_u32_e32 v4, s42, v4
	v_cmp_le_i32_e32 vcc, s49, v4
	v_add_u32_e32 v3, s40, v3
	s_or_b64 s[30:31], vcc, s[30:31]
	s_waitcnt vmcnt(0) lgkmcnt(0)
	flat_store_dwordx2 v[6:7], v[10:11]
	flat_store_dwordx2 v[8:9], v[12:13]
	s_andn2_b64 exec, exec, s[30:31]
	s_cbranch_execnz .LBB189_249
.LBB189_250:                            ;   in Loop: Header=BB189_241 Depth=1
	s_or_b64 exec, exec, s[24:25]
	s_waitcnt lgkmcnt(0)
	s_barrier
.LBB189_251:                            ;   in Loop: Header=BB189_241 Depth=1
	s_and_b64 vcc, exec, s[14:15]
	s_cbranch_vccnz .LBB189_256
; %bb.252:                              ;   in Loop: Header=BB189_241 Depth=1
	s_and_saveexec_b64 s[24:25], s[8:9]
	s_cbranch_execz .LBB189_255
; %bb.253:                              ;   in Loop: Header=BB189_241 Depth=1
	s_mul_i32 s23, s22, s43
	s_mov_b64 s[30:31], 0
	v_mov_b32_e32 v3, v41
.LBB189_254:                            ;   Parent Loop BB189_241 Depth=1
                                        ; =>  This Inner Loop Header: Depth=2
	v_add_u32_e32 v4, s23, v3
	v_ashrrev_i32_e32 v5, 31, v4
	v_add_u32_e32 v6, s47, v3
	v_lshlrev_b64 v[4:5], 3, v[4:5]
	v_mov_b32_e32 v8, s29
	v_ashrrev_i32_e32 v7, 31, v6
	v_add_co_u32_e32 v4, vcc, s28, v4
	v_lshlrev_b64 v[6:7], 3, v[6:7]
	v_addc_co_u32_e32 v5, vcc, v8, v5, vcc
	v_add_co_u32_e32 v6, vcc, s28, v6
	v_addc_co_u32_e32 v7, vcc, v8, v7, vcc
	flat_load_dwordx2 v[8:9], v[6:7]
	flat_load_dwordx2 v[10:11], v[4:5]
	v_add_u32_e32 v3, s42, v3
	v_cmp_le_i32_e32 vcc, s50, v3
	s_or_b64 s[30:31], vcc, s[30:31]
	s_waitcnt vmcnt(0) lgkmcnt(0)
	flat_store_dwordx2 v[4:5], v[8:9]
	flat_store_dwordx2 v[6:7], v[10:11]
	s_andn2_b64 exec, exec, s[30:31]
	s_cbranch_execnz .LBB189_254
.LBB189_255:                            ;   in Loop: Header=BB189_241 Depth=1
	s_or_b64 exec, exec, s[24:25]
	s_waitcnt lgkmcnt(0)
	s_barrier
.LBB189_256:                            ;   in Loop: Header=BB189_241 Depth=1
	s_and_b64 vcc, exec, s[16:17]
	s_cbranch_vccnz .LBB189_240
; %bb.257:                              ;   in Loop: Header=BB189_241 Depth=1
	s_and_saveexec_b64 s[24:25], s[10:11]
	s_cbranch_execz .LBB189_239
; %bb.258:                              ;   in Loop: Header=BB189_241 Depth=1
	s_mov_b64 s[30:31], 0
	v_mov_b32_e32 v3, v1
	v_mov_b32_e32 v4, v41
.LBB189_259:                            ;   Parent Loop BB189_241 Depth=1
                                        ; =>  This Inner Loop Header: Depth=2
	v_add_u32_e32 v6, s22, v3
	v_ashrrev_i32_e32 v7, 31, v6
	v_add_u32_e32 v8, s18, v3
	v_lshlrev_b64 v[6:7], 3, v[6:7]
	v_mov_b32_e32 v5, s45
	v_ashrrev_i32_e32 v9, 31, v8
	v_add_co_u32_e32 v6, vcc, s44, v6
	v_lshlrev_b64 v[8:9], 3, v[8:9]
	v_addc_co_u32_e32 v7, vcc, v5, v7, vcc
	v_add_co_u32_e32 v8, vcc, s44, v8
	v_addc_co_u32_e32 v9, vcc, v5, v9, vcc
	flat_load_dwordx2 v[10:11], v[8:9]
	flat_load_dwordx2 v[12:13], v[6:7]
	v_add_u32_e32 v4, s42, v4
	v_cmp_le_i32_e32 vcc, s51, v4
	v_add_u32_e32 v3, s41, v3
	s_or_b64 s[30:31], vcc, s[30:31]
	s_waitcnt vmcnt(0) lgkmcnt(0)
	flat_store_dwordx2 v[6:7], v[10:11]
	flat_store_dwordx2 v[8:9], v[12:13]
	s_andn2_b64 exec, exec, s[30:31]
	s_cbranch_execnz .LBB189_259
	s_branch .LBB189_239
.LBB189_260:
	s_mov_b64 s[6:7], 0
.LBB189_261:
	s_andn2_b64 vcc, exec, s[6:7]
	s_cbranch_vccnz .LBB189_264
; %bb.262:
	v_cmp_eq_u32_e32 vcc, 0, v41
	s_and_saveexec_b64 s[4:5], vcc
	s_cbranch_execz .LBB189_264
; %bb.263:
	s_add_u32 s4, s38, s26
	s_addc_u32 s5, s39, s27
	v_mov_b32_e32 v0, 0
	v_mov_b32_e32 v1, s46
	global_store_dword v0, v1, s[4:5]
.LBB189_264:
	s_endpgm
	.section	.rodata,"a",@progbits
	.p2align	6, 0x0
	.amdhsa_kernel _ZN9rocsolver6v33100L14bdsqr_finalizeI19rocblas_complex_numIfEfPS3_S4_S4_EEviiiiPT0_lS6_lT1_iilT2_iilT3_iilPiSA_SA_
		.amdhsa_group_segment_fixed_size 0
		.amdhsa_private_segment_fixed_size 64
		.amdhsa_kernarg_size 400
		.amdhsa_user_sgpr_count 8
		.amdhsa_user_sgpr_private_segment_buffer 1
		.amdhsa_user_sgpr_dispatch_ptr 0
		.amdhsa_user_sgpr_queue_ptr 0
		.amdhsa_user_sgpr_kernarg_segment_ptr 1
		.amdhsa_user_sgpr_dispatch_id 0
		.amdhsa_user_sgpr_flat_scratch_init 1
		.amdhsa_user_sgpr_kernarg_preload_length 0
		.amdhsa_user_sgpr_kernarg_preload_offset 0
		.amdhsa_user_sgpr_private_segment_size 0
		.amdhsa_uses_dynamic_stack 0
		.amdhsa_system_sgpr_private_segment_wavefront_offset 1
		.amdhsa_system_sgpr_workgroup_id_x 1
		.amdhsa_system_sgpr_workgroup_id_y 1
		.amdhsa_system_sgpr_workgroup_id_z 0
		.amdhsa_system_sgpr_workgroup_info 0
		.amdhsa_system_vgpr_workitem_id 2
		.amdhsa_next_free_vgpr 45
		.amdhsa_next_free_sgpr 78
		.amdhsa_accum_offset 48
		.amdhsa_reserve_vcc 1
		.amdhsa_reserve_flat_scratch 1
		.amdhsa_float_round_mode_32 0
		.amdhsa_float_round_mode_16_64 0
		.amdhsa_float_denorm_mode_32 3
		.amdhsa_float_denorm_mode_16_64 3
		.amdhsa_dx10_clamp 1
		.amdhsa_ieee_mode 1
		.amdhsa_fp16_overflow 0
		.amdhsa_tg_split 0
		.amdhsa_exception_fp_ieee_invalid_op 0
		.amdhsa_exception_fp_denorm_src 0
		.amdhsa_exception_fp_ieee_div_zero 0
		.amdhsa_exception_fp_ieee_overflow 0
		.amdhsa_exception_fp_ieee_underflow 0
		.amdhsa_exception_fp_ieee_inexact 0
		.amdhsa_exception_int_div_zero 0
	.end_amdhsa_kernel
	.section	.text._ZN9rocsolver6v33100L14bdsqr_finalizeI19rocblas_complex_numIfEfPS3_S4_S4_EEviiiiPT0_lS6_lT1_iilT2_iilT3_iilPiSA_SA_,"axG",@progbits,_ZN9rocsolver6v33100L14bdsqr_finalizeI19rocblas_complex_numIfEfPS3_S4_S4_EEviiiiPT0_lS6_lT1_iilT2_iilT3_iilPiSA_SA_,comdat
.Lfunc_end189:
	.size	_ZN9rocsolver6v33100L14bdsqr_finalizeI19rocblas_complex_numIfEfPS3_S4_S4_EEviiiiPT0_lS6_lT1_iilT2_iilT3_iilPiSA_SA_, .Lfunc_end189-_ZN9rocsolver6v33100L14bdsqr_finalizeI19rocblas_complex_numIfEfPS3_S4_S4_EEviiiiPT0_lS6_lT1_iilT2_iilT3_iilPiSA_SA_
                                        ; -- End function
	.section	.AMDGPU.csdata,"",@progbits
; Kernel info:
; codeLenInByte = 7716
; NumSgprs: 84
; NumVgprs: 45
; NumAgprs: 0
; TotalNumVgprs: 45
; ScratchSize: 64
; MemoryBound: 0
; FloatMode: 240
; IeeeMode: 1
; LDSByteSize: 0 bytes/workgroup (compile time only)
; SGPRBlocks: 10
; VGPRBlocks: 5
; NumSGPRsForWavesPerEU: 84
; NumVGPRsForWavesPerEU: 45
; AccumOffset: 48
; Occupancy: 8
; WaveLimiterHint : 1
; COMPUTE_PGM_RSRC2:SCRATCH_EN: 1
; COMPUTE_PGM_RSRC2:USER_SGPR: 8
; COMPUTE_PGM_RSRC2:TRAP_HANDLER: 0
; COMPUTE_PGM_RSRC2:TGID_X_EN: 1
; COMPUTE_PGM_RSRC2:TGID_Y_EN: 1
; COMPUTE_PGM_RSRC2:TGID_Z_EN: 0
; COMPUTE_PGM_RSRC2:TIDIG_COMP_CNT: 2
; COMPUTE_PGM_RSRC3_GFX90A:ACCUM_OFFSET: 11
; COMPUTE_PGM_RSRC3_GFX90A:TG_SPLIT: 0
	.section	.text._ZN9rocsolver6v33100L8copy_matI19rocblas_complex_numIfEPS3_PKS4_NS0_7no_maskEEEviiT0_iilT1_iilT2_13rocblas_fill_17rocblas_diagonal_,"axG",@progbits,_ZN9rocsolver6v33100L8copy_matI19rocblas_complex_numIfEPS3_PKS4_NS0_7no_maskEEEviiT0_iilT1_iilT2_13rocblas_fill_17rocblas_diagonal_,comdat
	.globl	_ZN9rocsolver6v33100L8copy_matI19rocblas_complex_numIfEPS3_PKS4_NS0_7no_maskEEEviiT0_iilT1_iilT2_13rocblas_fill_17rocblas_diagonal_ ; -- Begin function _ZN9rocsolver6v33100L8copy_matI19rocblas_complex_numIfEPS3_PKS4_NS0_7no_maskEEEviiT0_iilT1_iilT2_13rocblas_fill_17rocblas_diagonal_
	.p2align	8
	.type	_ZN9rocsolver6v33100L8copy_matI19rocblas_complex_numIfEPS3_PKS4_NS0_7no_maskEEEviiT0_iilT1_iilT2_13rocblas_fill_17rocblas_diagonal_,@function
_ZN9rocsolver6v33100L8copy_matI19rocblas_complex_numIfEPS3_PKS4_NS0_7no_maskEEEviiT0_iilT1_iilT2_13rocblas_fill_17rocblas_diagonal_: ; @_ZN9rocsolver6v33100L8copy_matI19rocblas_complex_numIfEPS3_PKS4_NS0_7no_maskEEEviiT0_iilT1_iilT2_13rocblas_fill_17rocblas_diagonal_
; %bb.0:
	s_load_dword s2, s[4:5], 0x54
	s_load_dwordx2 s[0:1], s[4:5], 0x0
	v_bfe_u32 v1, v0, 10, 10
	v_and_b32_e32 v0, 0x3ff, v0
	s_waitcnt lgkmcnt(0)
	s_lshr_b32 s3, s2, 16
	s_and_b32 s2, s2, 0xffff
	s_mul_i32 s7, s7, s3
	s_mul_i32 s6, s6, s2
	v_add_u32_e32 v1, s7, v1
	v_add_u32_e32 v0, s6, v0
	v_cmp_gt_u32_e32 vcc, s0, v0
	v_cmp_gt_u32_e64 s[0:1], s1, v1
	s_and_b64 s[0:1], s[0:1], vcc
	s_and_saveexec_b64 s[2:3], s[0:1]
	s_cbranch_execz .LBB190_14
; %bb.1:
	s_load_dwordx2 s[2:3], s[4:5], 0x3c
	s_waitcnt lgkmcnt(0)
	s_cmpk_lt_i32 s2, 0x7a
	s_cbranch_scc1 .LBB190_4
; %bb.2:
	s_cmpk_gt_i32 s2, 0x7a
	s_cbranch_scc0 .LBB190_5
; %bb.3:
	s_cmpk_lg_i32 s2, 0x7b
	s_mov_b64 s[6:7], -1
	s_cselect_b64 s[10:11], -1, 0
	s_cbranch_execz .LBB190_6
	s_branch .LBB190_7
.LBB190_4:
	s_mov_b64 s[10:11], 0
	s_mov_b64 s[6:7], 0
	s_cbranch_execnz .LBB190_8
	s_branch .LBB190_10
.LBB190_5:
	s_mov_b64 s[6:7], 0
	s_mov_b64 s[10:11], 0
.LBB190_6:
	v_cmp_gt_u32_e32 vcc, v0, v1
	v_cmp_le_u32_e64 s[0:1], v0, v1
	s_andn2_b64 s[6:7], s[6:7], exec
	s_and_b64 s[12:13], vcc, exec
	s_andn2_b64 s[10:11], s[10:11], exec
	s_and_b64 s[0:1], s[0:1], exec
	s_or_b64 s[6:7], s[6:7], s[12:13]
	s_or_b64 s[10:11], s[10:11], s[0:1]
.LBB190_7:
	s_branch .LBB190_10
.LBB190_8:
	s_cmpk_eq_i32 s2, 0x79
	s_mov_b64 s[10:11], -1
	s_cbranch_scc0 .LBB190_10
; %bb.9:
	v_cmp_gt_u32_e32 vcc, v1, v0
	v_cmp_le_u32_e64 s[0:1], v1, v0
	s_andn2_b64 s[6:7], s[6:7], exec
	s_and_b64 s[10:11], vcc, exec
	s_or_b64 s[6:7], s[6:7], s[10:11]
	s_orn2_b64 s[10:11], s[0:1], exec
.LBB190_10:
	s_and_saveexec_b64 s[0:1], s[10:11]
; %bb.11:
	s_cmpk_eq_i32 s3, 0x83
	s_cselect_b64 s[2:3], -1, 0
	v_cmp_eq_u32_e32 vcc, v0, v1
	s_and_b64 s[2:3], s[2:3], vcc
	s_andn2_b64 s[6:7], s[6:7], exec
	s_and_b64 s[2:3], s[2:3], exec
	s_or_b64 s[6:7], s[6:7], s[2:3]
; %bb.12:
	s_or_b64 exec, exec, s[0:1]
	s_and_b64 exec, exec, s[6:7]
	s_cbranch_execz .LBB190_14
; %bb.13:
	s_load_dwordx8 s[12:19], s[4:5], 0x8
	s_mov_b32 s9, 0
	s_waitcnt lgkmcnt(0)
	s_mul_i32 s3, s8, s17
	s_mul_hi_u32 s6, s8, s16
	s_mul_i32 s2, s8, s16
	s_add_i32 s3, s6, s3
	s_ashr_i32 s1, s14, 31
	s_lshl_b64 s[2:3], s[2:3], 3
	s_mov_b32 s0, s14
	s_add_u32 s2, s12, s2
	s_addc_u32 s3, s13, s3
	s_lshl_b64 s[0:1], s[0:1], 3
	s_add_u32 s2, s2, s0
	s_addc_u32 s3, s3, s1
	v_mad_u64_u32 v[2:3], s[0:1], v1, s15, v[0:1]
	v_mov_b32_e32 v3, 0
	v_lshlrev_b64 v[4:5], 3, v[2:3]
	v_mov_b32_e32 v2, s3
	v_add_co_u32_e32 v4, vcc, s2, v4
	v_addc_co_u32_e32 v5, vcc, v2, v5, vcc
	global_load_dwordx2 v[4:5], v[4:5], off
	s_load_dwordx2 s[0:1], s[4:5], 0x28
	s_lshl_b64 s[4:5], s[8:9], 3
	s_waitcnt lgkmcnt(0)
	s_ashr_i32 s3, s0, 31
	s_add_u32 s4, s18, s4
	s_addc_u32 s5, s19, s5
	s_load_dwordx2 s[4:5], s[4:5], 0x0
	s_mov_b32 s2, s0
	s_lshl_b64 s[2:3], s[2:3], 3
	v_mad_u64_u32 v[0:1], s[0:1], v1, s1, v[0:1]
	s_waitcnt lgkmcnt(0)
	s_add_u32 s2, s4, s2
	v_mov_b32_e32 v1, v3
	s_addc_u32 s3, s5, s3
	v_lshlrev_b64 v[0:1], 3, v[0:1]
	v_mov_b32_e32 v2, s3
	v_add_co_u32_e32 v0, vcc, s2, v0
	v_addc_co_u32_e32 v1, vcc, v2, v1, vcc
	s_waitcnt vmcnt(0)
	global_store_dwordx2 v[0:1], v[4:5], off
.LBB190_14:
	s_endpgm
	.section	.rodata,"a",@progbits
	.p2align	6, 0x0
	.amdhsa_kernel _ZN9rocsolver6v33100L8copy_matI19rocblas_complex_numIfEPS3_PKS4_NS0_7no_maskEEEviiT0_iilT1_iilT2_13rocblas_fill_17rocblas_diagonal_
		.amdhsa_group_segment_fixed_size 0
		.amdhsa_private_segment_fixed_size 0
		.amdhsa_kernarg_size 328
		.amdhsa_user_sgpr_count 6
		.amdhsa_user_sgpr_private_segment_buffer 1
		.amdhsa_user_sgpr_dispatch_ptr 0
		.amdhsa_user_sgpr_queue_ptr 0
		.amdhsa_user_sgpr_kernarg_segment_ptr 1
		.amdhsa_user_sgpr_dispatch_id 0
		.amdhsa_user_sgpr_flat_scratch_init 0
		.amdhsa_user_sgpr_kernarg_preload_length 0
		.amdhsa_user_sgpr_kernarg_preload_offset 0
		.amdhsa_user_sgpr_private_segment_size 0
		.amdhsa_uses_dynamic_stack 0
		.amdhsa_system_sgpr_private_segment_wavefront_offset 0
		.amdhsa_system_sgpr_workgroup_id_x 1
		.amdhsa_system_sgpr_workgroup_id_y 1
		.amdhsa_system_sgpr_workgroup_id_z 1
		.amdhsa_system_sgpr_workgroup_info 0
		.amdhsa_system_vgpr_workitem_id 1
		.amdhsa_next_free_vgpr 6
		.amdhsa_next_free_sgpr 20
		.amdhsa_accum_offset 8
		.amdhsa_reserve_vcc 1
		.amdhsa_reserve_flat_scratch 0
		.amdhsa_float_round_mode_32 0
		.amdhsa_float_round_mode_16_64 0
		.amdhsa_float_denorm_mode_32 3
		.amdhsa_float_denorm_mode_16_64 3
		.amdhsa_dx10_clamp 1
		.amdhsa_ieee_mode 1
		.amdhsa_fp16_overflow 0
		.amdhsa_tg_split 0
		.amdhsa_exception_fp_ieee_invalid_op 0
		.amdhsa_exception_fp_denorm_src 0
		.amdhsa_exception_fp_ieee_div_zero 0
		.amdhsa_exception_fp_ieee_overflow 0
		.amdhsa_exception_fp_ieee_underflow 0
		.amdhsa_exception_fp_ieee_inexact 0
		.amdhsa_exception_int_div_zero 0
	.end_amdhsa_kernel
	.section	.text._ZN9rocsolver6v33100L8copy_matI19rocblas_complex_numIfEPS3_PKS4_NS0_7no_maskEEEviiT0_iilT1_iilT2_13rocblas_fill_17rocblas_diagonal_,"axG",@progbits,_ZN9rocsolver6v33100L8copy_matI19rocblas_complex_numIfEPS3_PKS4_NS0_7no_maskEEEviiT0_iilT1_iilT2_13rocblas_fill_17rocblas_diagonal_,comdat
.Lfunc_end190:
	.size	_ZN9rocsolver6v33100L8copy_matI19rocblas_complex_numIfEPS3_PKS4_NS0_7no_maskEEEviiT0_iilT1_iilT2_13rocblas_fill_17rocblas_diagonal_, .Lfunc_end190-_ZN9rocsolver6v33100L8copy_matI19rocblas_complex_numIfEPS3_PKS4_NS0_7no_maskEEEviiT0_iilT1_iilT2_13rocblas_fill_17rocblas_diagonal_
                                        ; -- End function
	.section	.AMDGPU.csdata,"",@progbits
; Kernel info:
; codeLenInByte = 492
; NumSgprs: 24
; NumVgprs: 6
; NumAgprs: 0
; TotalNumVgprs: 6
; ScratchSize: 0
; MemoryBound: 0
; FloatMode: 240
; IeeeMode: 1
; LDSByteSize: 0 bytes/workgroup (compile time only)
; SGPRBlocks: 2
; VGPRBlocks: 0
; NumSGPRsForWavesPerEU: 24
; NumVGPRsForWavesPerEU: 6
; AccumOffset: 8
; Occupancy: 8
; WaveLimiterHint : 1
; COMPUTE_PGM_RSRC2:SCRATCH_EN: 0
; COMPUTE_PGM_RSRC2:USER_SGPR: 6
; COMPUTE_PGM_RSRC2:TRAP_HANDLER: 0
; COMPUTE_PGM_RSRC2:TGID_X_EN: 1
; COMPUTE_PGM_RSRC2:TGID_Y_EN: 1
; COMPUTE_PGM_RSRC2:TGID_Z_EN: 1
; COMPUTE_PGM_RSRC2:TIDIG_COMP_CNT: 1
; COMPUTE_PGM_RSRC3_GFX90A:ACCUM_OFFSET: 1
; COMPUTE_PGM_RSRC3_GFX90A:TG_SPLIT: 0
	.section	.text._ZN9rocsolver6v33100L8set_diagI19rocblas_complex_numIfEiS3_PS3_TnNSt9enable_ifIXoont18rocblas_is_complexIT_E18rocblas_is_complexIT1_EEiE4typeELi0EEEvPS7_llT2_lT0_lSC_b,"axG",@progbits,_ZN9rocsolver6v33100L8set_diagI19rocblas_complex_numIfEiS3_PS3_TnNSt9enable_ifIXoont18rocblas_is_complexIT_E18rocblas_is_complexIT1_EEiE4typeELi0EEEvPS7_llT2_lT0_lSC_b,comdat
	.globl	_ZN9rocsolver6v33100L8set_diagI19rocblas_complex_numIfEiS3_PS3_TnNSt9enable_ifIXoont18rocblas_is_complexIT_E18rocblas_is_complexIT1_EEiE4typeELi0EEEvPS7_llT2_lT0_lSC_b ; -- Begin function _ZN9rocsolver6v33100L8set_diagI19rocblas_complex_numIfEiS3_PS3_TnNSt9enable_ifIXoont18rocblas_is_complexIT_E18rocblas_is_complexIT1_EEiE4typeELi0EEEvPS7_llT2_lT0_lSC_b
	.p2align	8
	.type	_ZN9rocsolver6v33100L8set_diagI19rocblas_complex_numIfEiS3_PS3_TnNSt9enable_ifIXoont18rocblas_is_complexIT_E18rocblas_is_complexIT1_EEiE4typeELi0EEEvPS7_llT2_lT0_lSC_b,@function
_ZN9rocsolver6v33100L8set_diagI19rocblas_complex_numIfEiS3_PS3_TnNSt9enable_ifIXoont18rocblas_is_complexIT_E18rocblas_is_complexIT1_EEiE4typeELi0EEEvPS7_llT2_lT0_lSC_b: ; @_ZN9rocsolver6v33100L8set_diagI19rocblas_complex_numIfEiS3_PS3_TnNSt9enable_ifIXoont18rocblas_is_complexIT_E18rocblas_is_complexIT1_EEiE4typeELi0EEEvPS7_llT2_lT0_lSC_b
; %bb.0:
	s_load_dword s2, s[4:5], 0x4c
	s_load_dwordx2 s[0:1], s[4:5], 0x38
	v_bfe_u32 v0, v0, 10, 10
	s_waitcnt lgkmcnt(0)
	s_lshr_b32 s2, s2, 16
	s_mul_i32 s7, s7, s2
	v_add_u32_e32 v0, s7, v0
	v_cmp_gt_i32_e32 vcc, s0, v0
	s_and_saveexec_b64 s[2:3], vcc
	s_cbranch_execz .LBB191_5
; %bb.1:
	s_load_dwordx2 s[2:3], s[4:5], 0x20
	s_load_dword s7, s[4:5], 0x28
	s_load_dwordx2 s[16:17], s[4:5], 0x30
	s_load_dwordx8 s[8:15], s[4:5], 0x0
	s_bitcmp1_b32 s1, 0
	s_cselect_b64 s[0:1], -1, 0
	s_ashr_i32 s18, s6, 31
	s_waitcnt lgkmcnt(0)
	s_mul_i32 s4, s6, s17
	s_mul_hi_u32 s5, s6, s16
	s_add_i32 s4, s5, s4
	s_mul_i32 s5, s18, s16
	s_add_i32 s5, s4, s5
	s_mul_i32 s4, s6, s16
	s_lshl_b64 s[4:5], s[4:5], 3
	s_add_u32 s4, s14, s4
	s_addc_u32 s5, s15, s5
	s_lshl_b64 s[2:3], s[2:3], 3
	s_add_u32 s4, s4, s2
	s_addc_u32 s5, s5, s3
	v_mad_u64_u32 v[2:3], s[2:3], v0, s7, v[0:1]
	v_ashrrev_i32_e32 v3, 31, v2
	v_lshlrev_b64 v[2:3], 3, v[2:3]
	v_mov_b32_e32 v1, s5
	v_add_co_u32_e32 v2, vcc, s4, v2
	v_addc_co_u32_e32 v3, vcc, v1, v3, vcc
	global_load_dwordx2 v[4:5], v[2:3], off
	s_mul_i32 s3, s6, s13
	s_mul_hi_u32 s4, s6, s12
	s_mul_i32 s18, s18, s12
	s_add_i32 s3, s4, s3
	s_mul_i32 s2, s6, s12
	s_add_i32 s3, s3, s18
	s_lshl_b64 s[2:3], s[2:3], 3
	s_add_u32 s4, s8, s2
	s_addc_u32 s5, s9, s3
	s_lshl_b64 s[2:3], s[10:11], 3
	v_ashrrev_i32_e32 v1, 31, v0
	s_add_u32 s2, s4, s2
	v_lshlrev_b64 v[0:1], 3, v[0:1]
	s_addc_u32 s3, s5, s3
	s_and_b64 vcc, exec, s[0:1]
	v_mov_b32_e32 v6, s3
	v_add_co_u32_e64 v0, s[0:1], s2, v0
	v_addc_co_u32_e64 v1, s[0:1], v6, v1, s[0:1]
	s_waitcnt vmcnt(0)
	global_store_dwordx2 v[0:1], v[4:5], off
	s_cbranch_vccnz .LBB191_3
; %bb.2:
	global_load_dwordx2 v[0:1], v[2:3], off
	s_branch .LBB191_4
.LBB191_3:
	v_mov_b32_e32 v0, 1.0
	v_mov_b32_e32 v1, 0
.LBB191_4:
	s_waitcnt vmcnt(0)
	global_store_dwordx2 v[2:3], v[0:1], off
.LBB191_5:
	s_endpgm
	.section	.rodata,"a",@progbits
	.p2align	6, 0x0
	.amdhsa_kernel _ZN9rocsolver6v33100L8set_diagI19rocblas_complex_numIfEiS3_PS3_TnNSt9enable_ifIXoont18rocblas_is_complexIT_E18rocblas_is_complexIT1_EEiE4typeELi0EEEvPS7_llT2_lT0_lSC_b
		.amdhsa_group_segment_fixed_size 0
		.amdhsa_private_segment_fixed_size 0
		.amdhsa_kernarg_size 320
		.amdhsa_user_sgpr_count 6
		.amdhsa_user_sgpr_private_segment_buffer 1
		.amdhsa_user_sgpr_dispatch_ptr 0
		.amdhsa_user_sgpr_queue_ptr 0
		.amdhsa_user_sgpr_kernarg_segment_ptr 1
		.amdhsa_user_sgpr_dispatch_id 0
		.amdhsa_user_sgpr_flat_scratch_init 0
		.amdhsa_user_sgpr_kernarg_preload_length 0
		.amdhsa_user_sgpr_kernarg_preload_offset 0
		.amdhsa_user_sgpr_private_segment_size 0
		.amdhsa_uses_dynamic_stack 0
		.amdhsa_system_sgpr_private_segment_wavefront_offset 0
		.amdhsa_system_sgpr_workgroup_id_x 1
		.amdhsa_system_sgpr_workgroup_id_y 1
		.amdhsa_system_sgpr_workgroup_id_z 0
		.amdhsa_system_sgpr_workgroup_info 0
		.amdhsa_system_vgpr_workitem_id 1
		.amdhsa_next_free_vgpr 7
		.amdhsa_next_free_sgpr 19
		.amdhsa_accum_offset 8
		.amdhsa_reserve_vcc 1
		.amdhsa_reserve_flat_scratch 0
		.amdhsa_float_round_mode_32 0
		.amdhsa_float_round_mode_16_64 0
		.amdhsa_float_denorm_mode_32 3
		.amdhsa_float_denorm_mode_16_64 3
		.amdhsa_dx10_clamp 1
		.amdhsa_ieee_mode 1
		.amdhsa_fp16_overflow 0
		.amdhsa_tg_split 0
		.amdhsa_exception_fp_ieee_invalid_op 0
		.amdhsa_exception_fp_denorm_src 0
		.amdhsa_exception_fp_ieee_div_zero 0
		.amdhsa_exception_fp_ieee_overflow 0
		.amdhsa_exception_fp_ieee_underflow 0
		.amdhsa_exception_fp_ieee_inexact 0
		.amdhsa_exception_int_div_zero 0
	.end_amdhsa_kernel
	.section	.text._ZN9rocsolver6v33100L8set_diagI19rocblas_complex_numIfEiS3_PS3_TnNSt9enable_ifIXoont18rocblas_is_complexIT_E18rocblas_is_complexIT1_EEiE4typeELi0EEEvPS7_llT2_lT0_lSC_b,"axG",@progbits,_ZN9rocsolver6v33100L8set_diagI19rocblas_complex_numIfEiS3_PS3_TnNSt9enable_ifIXoont18rocblas_is_complexIT_E18rocblas_is_complexIT1_EEiE4typeELi0EEEvPS7_llT2_lT0_lSC_b,comdat
.Lfunc_end191:
	.size	_ZN9rocsolver6v33100L8set_diagI19rocblas_complex_numIfEiS3_PS3_TnNSt9enable_ifIXoont18rocblas_is_complexIT_E18rocblas_is_complexIT1_EEiE4typeELi0EEEvPS7_llT2_lT0_lSC_b, .Lfunc_end191-_ZN9rocsolver6v33100L8set_diagI19rocblas_complex_numIfEiS3_PS3_TnNSt9enable_ifIXoont18rocblas_is_complexIT_E18rocblas_is_complexIT1_EEiE4typeELi0EEEvPS7_llT2_lT0_lSC_b
                                        ; -- End function
	.section	.AMDGPU.csdata,"",@progbits
; Kernel info:
; codeLenInByte = 324
; NumSgprs: 23
; NumVgprs: 7
; NumAgprs: 0
; TotalNumVgprs: 7
; ScratchSize: 0
; MemoryBound: 0
; FloatMode: 240
; IeeeMode: 1
; LDSByteSize: 0 bytes/workgroup (compile time only)
; SGPRBlocks: 2
; VGPRBlocks: 0
; NumSGPRsForWavesPerEU: 23
; NumVGPRsForWavesPerEU: 7
; AccumOffset: 8
; Occupancy: 8
; WaveLimiterHint : 0
; COMPUTE_PGM_RSRC2:SCRATCH_EN: 0
; COMPUTE_PGM_RSRC2:USER_SGPR: 6
; COMPUTE_PGM_RSRC2:TRAP_HANDLER: 0
; COMPUTE_PGM_RSRC2:TGID_X_EN: 1
; COMPUTE_PGM_RSRC2:TGID_Y_EN: 1
; COMPUTE_PGM_RSRC2:TGID_Z_EN: 0
; COMPUTE_PGM_RSRC2:TIDIG_COMP_CNT: 1
; COMPUTE_PGM_RSRC3_GFX90A:ACCUM_OFFSET: 1
; COMPUTE_PGM_RSRC3_GFX90A:TG_SPLIT: 0
	.section	.text._ZN9rocsolver6v33100L12restore_diagI19rocblas_complex_numIfEiS3_PS3_EEvPT1_llT2_lT0_lS8_,"axG",@progbits,_ZN9rocsolver6v33100L12restore_diagI19rocblas_complex_numIfEiS3_PS3_EEvPT1_llT2_lT0_lS8_,comdat
	.globl	_ZN9rocsolver6v33100L12restore_diagI19rocblas_complex_numIfEiS3_PS3_EEvPT1_llT2_lT0_lS8_ ; -- Begin function _ZN9rocsolver6v33100L12restore_diagI19rocblas_complex_numIfEiS3_PS3_EEvPT1_llT2_lT0_lS8_
	.p2align	8
	.type	_ZN9rocsolver6v33100L12restore_diagI19rocblas_complex_numIfEiS3_PS3_EEvPT1_llT2_lT0_lS8_,@function
_ZN9rocsolver6v33100L12restore_diagI19rocblas_complex_numIfEiS3_PS3_EEvPT1_llT2_lT0_lS8_: ; @_ZN9rocsolver6v33100L12restore_diagI19rocblas_complex_numIfEiS3_PS3_EEvPT1_llT2_lT0_lS8_
; %bb.0:
	s_load_dword s0, s[4:5], 0x4c
	s_load_dword s1, s[4:5], 0x38
	v_bfe_u32 v0, v0, 10, 10
	s_waitcnt lgkmcnt(0)
	s_lshr_b32 s0, s0, 16
	s_mul_i32 s7, s7, s0
	v_add_u32_e32 v0, s7, v0
	v_cmp_gt_i32_e32 vcc, s1, v0
	s_and_saveexec_b64 s[0:1], vcc
	s_cbranch_execz .LBB192_2
; %bb.1:
	s_load_dwordx2 s[0:1], s[4:5], 0x30
	s_load_dwordx2 s[2:3], s[4:5], 0x20
	s_load_dword s7, s[4:5], 0x28
	s_load_dwordx8 s[8:15], s[4:5], 0x0
	s_ashr_i32 s4, s6, 31
	s_waitcnt lgkmcnt(0)
	s_mul_i32 s1, s6, s1
	s_mul_hi_u32 s5, s6, s0
	s_add_i32 s1, s5, s1
	s_mul_i32 s5, s4, s0
	s_add_i32 s1, s1, s5
	s_mul_i32 s0, s6, s0
	s_lshl_b64 s[0:1], s[0:1], 3
	s_add_u32 s5, s14, s0
	s_addc_u32 s14, s15, s1
	s_lshl_b64 s[0:1], s[2:3], 3
	s_add_u32 s2, s5, s0
	s_addc_u32 s3, s14, s1
	s_mul_i32 s0, s6, s13
	s_mul_hi_u32 s1, s6, s12
	s_add_i32 s0, s1, s0
	s_mul_i32 s4, s4, s12
	s_add_i32 s1, s0, s4
	s_mul_i32 s0, s6, s12
	s_lshl_b64 s[0:1], s[0:1], 3
	s_add_u32 s4, s8, s0
	s_addc_u32 s5, s9, s1
	s_lshl_b64 s[0:1], s[10:11], 3
	s_add_u32 s4, s4, s0
	s_addc_u32 s5, s5, s1
	v_mad_u64_u32 v[2:3], s[0:1], v0, s7, v[0:1]
	v_ashrrev_i32_e32 v1, 31, v0
	v_lshlrev_b64 v[0:1], 3, v[0:1]
	v_mov_b32_e32 v3, s5
	v_add_co_u32_e32 v0, vcc, s4, v0
	v_addc_co_u32_e32 v1, vcc, v3, v1, vcc
	global_load_dwordx2 v[0:1], v[0:1], off
	v_ashrrev_i32_e32 v3, 31, v2
	v_lshlrev_b64 v[2:3], 3, v[2:3]
	v_mov_b32_e32 v4, s3
	v_add_co_u32_e32 v2, vcc, s2, v2
	v_addc_co_u32_e32 v3, vcc, v4, v3, vcc
	s_waitcnt vmcnt(0)
	global_store_dwordx2 v[2:3], v[0:1], off
.LBB192_2:
	s_endpgm
	.section	.rodata,"a",@progbits
	.p2align	6, 0x0
	.amdhsa_kernel _ZN9rocsolver6v33100L12restore_diagI19rocblas_complex_numIfEiS3_PS3_EEvPT1_llT2_lT0_lS8_
		.amdhsa_group_segment_fixed_size 0
		.amdhsa_private_segment_fixed_size 0
		.amdhsa_kernarg_size 320
		.amdhsa_user_sgpr_count 6
		.amdhsa_user_sgpr_private_segment_buffer 1
		.amdhsa_user_sgpr_dispatch_ptr 0
		.amdhsa_user_sgpr_queue_ptr 0
		.amdhsa_user_sgpr_kernarg_segment_ptr 1
		.amdhsa_user_sgpr_dispatch_id 0
		.amdhsa_user_sgpr_flat_scratch_init 0
		.amdhsa_user_sgpr_kernarg_preload_length 0
		.amdhsa_user_sgpr_kernarg_preload_offset 0
		.amdhsa_user_sgpr_private_segment_size 0
		.amdhsa_uses_dynamic_stack 0
		.amdhsa_system_sgpr_private_segment_wavefront_offset 0
		.amdhsa_system_sgpr_workgroup_id_x 1
		.amdhsa_system_sgpr_workgroup_id_y 1
		.amdhsa_system_sgpr_workgroup_id_z 0
		.amdhsa_system_sgpr_workgroup_info 0
		.amdhsa_system_vgpr_workitem_id 1
		.amdhsa_next_free_vgpr 5
		.amdhsa_next_free_sgpr 16
		.amdhsa_accum_offset 8
		.amdhsa_reserve_vcc 1
		.amdhsa_reserve_flat_scratch 0
		.amdhsa_float_round_mode_32 0
		.amdhsa_float_round_mode_16_64 0
		.amdhsa_float_denorm_mode_32 3
		.amdhsa_float_denorm_mode_16_64 3
		.amdhsa_dx10_clamp 1
		.amdhsa_ieee_mode 1
		.amdhsa_fp16_overflow 0
		.amdhsa_tg_split 0
		.amdhsa_exception_fp_ieee_invalid_op 0
		.amdhsa_exception_fp_denorm_src 0
		.amdhsa_exception_fp_ieee_div_zero 0
		.amdhsa_exception_fp_ieee_overflow 0
		.amdhsa_exception_fp_ieee_underflow 0
		.amdhsa_exception_fp_ieee_inexact 0
		.amdhsa_exception_int_div_zero 0
	.end_amdhsa_kernel
	.section	.text._ZN9rocsolver6v33100L12restore_diagI19rocblas_complex_numIfEiS3_PS3_EEvPT1_llT2_lT0_lS8_,"axG",@progbits,_ZN9rocsolver6v33100L12restore_diagI19rocblas_complex_numIfEiS3_PS3_EEvPT1_llT2_lT0_lS8_,comdat
.Lfunc_end192:
	.size	_ZN9rocsolver6v33100L12restore_diagI19rocblas_complex_numIfEiS3_PS3_EEvPT1_llT2_lT0_lS8_, .Lfunc_end192-_ZN9rocsolver6v33100L12restore_diagI19rocblas_complex_numIfEiS3_PS3_EEvPT1_llT2_lT0_lS8_
                                        ; -- End function
	.section	.AMDGPU.csdata,"",@progbits
; Kernel info:
; codeLenInByte = 268
; NumSgprs: 20
; NumVgprs: 5
; NumAgprs: 0
; TotalNumVgprs: 5
; ScratchSize: 0
; MemoryBound: 0
; FloatMode: 240
; IeeeMode: 1
; LDSByteSize: 0 bytes/workgroup (compile time only)
; SGPRBlocks: 2
; VGPRBlocks: 0
; NumSGPRsForWavesPerEU: 20
; NumVGPRsForWavesPerEU: 5
; AccumOffset: 8
; Occupancy: 8
; WaveLimiterHint : 0
; COMPUTE_PGM_RSRC2:SCRATCH_EN: 0
; COMPUTE_PGM_RSRC2:USER_SGPR: 6
; COMPUTE_PGM_RSRC2:TRAP_HANDLER: 0
; COMPUTE_PGM_RSRC2:TGID_X_EN: 1
; COMPUTE_PGM_RSRC2:TGID_Y_EN: 1
; COMPUTE_PGM_RSRC2:TGID_Z_EN: 0
; COMPUTE_PGM_RSRC2:TIDIG_COMP_CNT: 1
; COMPUTE_PGM_RSRC3_GFX90A:ACCUM_OFFSET: 1
; COMPUTE_PGM_RSRC3_GFX90A:TG_SPLIT: 0
	.section	.text._ZN9rocsolver6v33100L6iota_nI19rocblas_complex_numIdEEEvPT_jS4_,"axG",@progbits,_ZN9rocsolver6v33100L6iota_nI19rocblas_complex_numIdEEEvPT_jS4_,comdat
	.globl	_ZN9rocsolver6v33100L6iota_nI19rocblas_complex_numIdEEEvPT_jS4_ ; -- Begin function _ZN9rocsolver6v33100L6iota_nI19rocblas_complex_numIdEEEvPT_jS4_
	.p2align	8
	.type	_ZN9rocsolver6v33100L6iota_nI19rocblas_complex_numIdEEEvPT_jS4_,@function
_ZN9rocsolver6v33100L6iota_nI19rocblas_complex_numIdEEEvPT_jS4_: ; @_ZN9rocsolver6v33100L6iota_nI19rocblas_complex_numIdEEEvPT_jS4_
; %bb.0:
	s_load_dword s0, s[4:5], 0x8
	s_waitcnt lgkmcnt(0)
	v_cmp_gt_u32_e32 vcc, s0, v0
	s_and_saveexec_b64 s[0:1], vcc
	s_cbranch_execz .LBB193_2
; %bb.1:
	s_load_dwordx4 s[0:3], s[4:5], 0x10
	s_load_dwordx2 s[6:7], s[4:5], 0x0
	v_lshlrev_b32_e32 v4, 4, v0
	v_cvt_f64_u32_e32 v[0:1], v0
	s_waitcnt lgkmcnt(0)
	v_add_f64 v[2:3], s[2:3], 0
	v_add_f64 v[0:1], s[0:1], v[0:1]
	global_store_dwordx4 v4, v[0:3], s[6:7]
.LBB193_2:
	s_endpgm
	.section	.rodata,"a",@progbits
	.p2align	6, 0x0
	.amdhsa_kernel _ZN9rocsolver6v33100L6iota_nI19rocblas_complex_numIdEEEvPT_jS4_
		.amdhsa_group_segment_fixed_size 0
		.amdhsa_private_segment_fixed_size 0
		.amdhsa_kernarg_size 32
		.amdhsa_user_sgpr_count 6
		.amdhsa_user_sgpr_private_segment_buffer 1
		.amdhsa_user_sgpr_dispatch_ptr 0
		.amdhsa_user_sgpr_queue_ptr 0
		.amdhsa_user_sgpr_kernarg_segment_ptr 1
		.amdhsa_user_sgpr_dispatch_id 0
		.amdhsa_user_sgpr_flat_scratch_init 0
		.amdhsa_user_sgpr_kernarg_preload_length 0
		.amdhsa_user_sgpr_kernarg_preload_offset 0
		.amdhsa_user_sgpr_private_segment_size 0
		.amdhsa_uses_dynamic_stack 0
		.amdhsa_system_sgpr_private_segment_wavefront_offset 0
		.amdhsa_system_sgpr_workgroup_id_x 1
		.amdhsa_system_sgpr_workgroup_id_y 0
		.amdhsa_system_sgpr_workgroup_id_z 0
		.amdhsa_system_sgpr_workgroup_info 0
		.amdhsa_system_vgpr_workitem_id 0
		.amdhsa_next_free_vgpr 5
		.amdhsa_next_free_sgpr 8
		.amdhsa_accum_offset 8
		.amdhsa_reserve_vcc 1
		.amdhsa_reserve_flat_scratch 0
		.amdhsa_float_round_mode_32 0
		.amdhsa_float_round_mode_16_64 0
		.amdhsa_float_denorm_mode_32 3
		.amdhsa_float_denorm_mode_16_64 3
		.amdhsa_dx10_clamp 1
		.amdhsa_ieee_mode 1
		.amdhsa_fp16_overflow 0
		.amdhsa_tg_split 0
		.amdhsa_exception_fp_ieee_invalid_op 0
		.amdhsa_exception_fp_denorm_src 0
		.amdhsa_exception_fp_ieee_div_zero 0
		.amdhsa_exception_fp_ieee_overflow 0
		.amdhsa_exception_fp_ieee_underflow 0
		.amdhsa_exception_fp_ieee_inexact 0
		.amdhsa_exception_int_div_zero 0
	.end_amdhsa_kernel
	.section	.text._ZN9rocsolver6v33100L6iota_nI19rocblas_complex_numIdEEEvPT_jS4_,"axG",@progbits,_ZN9rocsolver6v33100L6iota_nI19rocblas_complex_numIdEEEvPT_jS4_,comdat
.Lfunc_end193:
	.size	_ZN9rocsolver6v33100L6iota_nI19rocblas_complex_numIdEEEvPT_jS4_, .Lfunc_end193-_ZN9rocsolver6v33100L6iota_nI19rocblas_complex_numIdEEEvPT_jS4_
                                        ; -- End function
	.section	.AMDGPU.csdata,"",@progbits
; Kernel info:
; codeLenInByte = 80
; NumSgprs: 12
; NumVgprs: 5
; NumAgprs: 0
; TotalNumVgprs: 5
; ScratchSize: 0
; MemoryBound: 0
; FloatMode: 240
; IeeeMode: 1
; LDSByteSize: 0 bytes/workgroup (compile time only)
; SGPRBlocks: 1
; VGPRBlocks: 0
; NumSGPRsForWavesPerEU: 12
; NumVGPRsForWavesPerEU: 5
; AccumOffset: 8
; Occupancy: 8
; WaveLimiterHint : 0
; COMPUTE_PGM_RSRC2:SCRATCH_EN: 0
; COMPUTE_PGM_RSRC2:USER_SGPR: 6
; COMPUTE_PGM_RSRC2:TRAP_HANDLER: 0
; COMPUTE_PGM_RSRC2:TGID_X_EN: 1
; COMPUTE_PGM_RSRC2:TGID_Y_EN: 0
; COMPUTE_PGM_RSRC2:TGID_Z_EN: 0
; COMPUTE_PGM_RSRC2:TIDIG_COMP_CNT: 0
; COMPUTE_PGM_RSRC3_GFX90A:ACCUM_OFFSET: 1
; COMPUTE_PGM_RSRC3_GFX90A:TG_SPLIT: 0
	.section	.text._ZN9rocsolver6v33100L18geqr2_kernel_smallILi256E19rocblas_complex_numIdEidPKPS3_EEvT1_S7_T3_lS7_lPT2_lPT0_l,"axG",@progbits,_ZN9rocsolver6v33100L18geqr2_kernel_smallILi256E19rocblas_complex_numIdEidPKPS3_EEvT1_S7_T3_lS7_lPT2_lPT0_l,comdat
	.globl	_ZN9rocsolver6v33100L18geqr2_kernel_smallILi256E19rocblas_complex_numIdEidPKPS3_EEvT1_S7_T3_lS7_lPT2_lPT0_l ; -- Begin function _ZN9rocsolver6v33100L18geqr2_kernel_smallILi256E19rocblas_complex_numIdEidPKPS3_EEvT1_S7_T3_lS7_lPT2_lPT0_l
	.p2align	8
	.type	_ZN9rocsolver6v33100L18geqr2_kernel_smallILi256E19rocblas_complex_numIdEidPKPS3_EEvT1_S7_T3_lS7_lPT2_lPT0_l,@function
_ZN9rocsolver6v33100L18geqr2_kernel_smallILi256E19rocblas_complex_numIdEidPKPS3_EEvT1_S7_T3_lS7_lPT2_lPT0_l: ; @_ZN9rocsolver6v33100L18geqr2_kernel_smallILi256E19rocblas_complex_numIdEidPKPS3_EEvT1_S7_T3_lS7_lPT2_lPT0_l
; %bb.0:
	s_load_dwordx4 s[0:3], s[4:5], 0x8
	s_mov_b32 s6, s7
	s_ashr_i32 s7, s7, 31
	s_lshl_b64 s[8:9], s[6:7], 3
	v_and_b32_e32 v6, 0x7f, v0
	s_waitcnt lgkmcnt(0)
	s_add_u32 s0, s0, s8
	s_addc_u32 s1, s1, s9
	s_load_dwordx2 s[8:9], s[0:1], 0x0
	s_load_dwordx2 s[16:17], s[4:5], 0x0
	s_load_dword s37, s[4:5], 0x18
	s_lshl_b64 s[0:1], s[2:3], 4
	v_lshrrev_b32_e32 v7, 7, v0
	s_waitcnt lgkmcnt(0)
	s_add_u32 s33, s8, s0
	s_addc_u32 s36, s9, s1
	v_cmp_gt_i32_e64 s[0:1], s16, v6
	v_lshlrev_b32_e32 v18, 4, v6
	s_and_saveexec_b64 s[8:9], s[0:1]
	s_cbranch_execz .LBB194_6
; %bb.1:
	v_lshrrev_b32_e32 v1, 7, v0
	v_mul_lo_u32 v2, s16, v1
	v_lshlrev_b32_e32 v2, 4, v2
	v_add3_u32 v8, v2, v18, 0
	v_mad_u64_u32 v[2:3], s[2:3], s37, v1, v[6:7]
	v_cmp_gt_i32_e32 vcc, s17, v1
	s_lshl_b32 s18, s16, 5
	s_lshl_b32 s19, s37, 1
	s_mov_b64 s[10:11], 0
	v_mov_b32_e32 v3, v6
	s_branch .LBB194_3
.LBB194_2:                              ;   in Loop: Header=BB194_3 Depth=1
	s_or_b64 exec, exec, s[12:13]
	v_add_u32_e32 v3, 0x80, v3
	v_cmp_le_i32_e64 s[2:3], s16, v3
	v_add_u32_e32 v8, 0x800, v8
	s_or_b64 s[10:11], s[2:3], s[10:11]
	v_add_u32_e32 v2, 0x80, v2
	s_andn2_b64 exec, exec, s[10:11]
	s_cbranch_execz .LBB194_6
.LBB194_3:                              ; =>This Loop Header: Depth=1
                                        ;     Child Loop BB194_5 Depth 2
	s_and_saveexec_b64 s[12:13], vcc
	s_cbranch_execz .LBB194_2
; %bb.4:                                ;   in Loop: Header=BB194_3 Depth=1
	s_mov_b64 s[14:15], 0
	v_mov_b32_e32 v4, v2
	v_mov_b32_e32 v9, v8
	;; [unrolled: 1-line block ×3, first 2 shown]
.LBB194_5:                              ;   Parent Loop BB194_3 Depth=1
                                        ; =>  This Inner Loop Header: Depth=2
	v_ashrrev_i32_e32 v5, 31, v4
	v_lshlrev_b64 v[12:13], 4, v[4:5]
	v_mov_b32_e32 v11, s36
	v_add_co_u32_e64 v12, s[2:3], s33, v12
	v_addc_co_u32_e64 v13, s[2:3], v11, v13, s[2:3]
	global_load_dwordx4 v[12:15], v[12:13], off
	v_add_u32_e32 v10, 2, v10
	v_cmp_le_i32_e64 s[2:3], s17, v10
	v_add_u32_e32 v4, s19, v4
	s_or_b64 s[14:15], s[2:3], s[14:15]
	s_waitcnt vmcnt(0)
	ds_write2_b64 v9, v[12:13], v[14:15] offset1:1
	v_add_u32_e32 v9, s18, v9
	s_andn2_b64 exec, exec, s[14:15]
	s_cbranch_execnz .LBB194_5
	s_branch .LBB194_2
.LBB194_6:
	s_or_b64 exec, exec, s[8:9]
	s_min_i32 s38, s17, s16
	s_cmp_lt_i32 s38, 1
	s_waitcnt lgkmcnt(0)
	s_barrier
	s_cbranch_scc1 .LBB194_42
; %bb.7:
	s_load_dwordx8 s[8:15], s[4:5], 0x28
	v_mbcnt_lo_u32_b32 v1, -1, 0
	v_mbcnt_hi_u32_b32 v2, -1, v1
	v_and_b32_e32 v3, 63, v2
	v_cmp_ne_u32_e32 vcc, 63, v3
	s_waitcnt lgkmcnt(0)
	s_mul_i32 s3, s6, s11
	s_mul_hi_u32 s4, s6, s10
	s_mul_i32 s5, s7, s10
	s_add_i32 s3, s4, s3
	s_mul_i32 s2, s6, s10
	s_add_i32 s3, s3, s5
	s_lshl_b64 s[2:3], s[2:3], 3
	v_addc_co_u32_e32 v1, vcc, 0, v2, vcc
	s_mul_i32 s10, s6, s15
	s_add_u32 s39, s8, s2
	s_mul_hi_u32 s2, s6, s14
	v_cmp_gt_u32_e32 vcc, 62, v3
	s_addc_u32 s40, s9, s3
	s_add_i32 s2, s2, s10
	s_mul_i32 s3, s7, s14
	v_cndmask_b32_e64 v4, 0, 1, vcc
	s_add_i32 s3, s2, s3
	s_mul_i32 s2, s6, s14
	v_lshlrev_b32_e32 v4, 1, v4
	v_cmp_gt_u32_e32 vcc, 60, v3
	s_lshl_b64 s[2:3], s[2:3], 4
	v_add_lshl_u32 v19, v4, v2, 2
	v_cndmask_b32_e64 v4, 0, 1, vcc
	s_add_u32 s41, s12, s2
	s_mul_i32 s2, s17, s16
	v_lshlrev_b32_e32 v4, 2, v4
	v_cmp_gt_u32_e32 vcc, 56, v3
	s_addc_u32 s42, s13, s3
	s_lshl_b32 s2, s2, 4
	v_add_lshl_u32 v20, v4, v2, 2
	v_cndmask_b32_e64 v4, 0, 1, vcc
	s_add_i32 s43, s2, 0
	s_lshl_b32 s2, s17, 4
	v_lshlrev_b32_e32 v4, 3, v4
	v_cmp_gt_u32_e32 vcc, 48, v3
	s_add_i32 s44, s43, s2
	v_add_lshl_u32 v21, v4, v2, 2
	v_cndmask_b32_e64 v4, 0, 1, vcc
	v_cmp_gt_u32_e32 vcc, 32, v3
	v_cndmask_b32_e64 v3, 0, 1, vcc
	s_cmp_eq_u64 s[8:9], 0
	v_lshlrev_b32_e32 v4, 4, v4
	v_lshlrev_b32_e32 v3, 5, v3
	s_cselect_b64 s[12:13], -1, 0
	s_cmp_lg_u64 s[8:9], 0
	v_add_lshl_u32 v22, v4, v2, 2
	v_add_lshl_u32 v23, v3, v2, 2
	v_and_b32_e32 v2, 63, v0
	s_cselect_b64 s[8:9], -1, 0
	s_lshl_b32 s45, s16, 4
	v_mul_lo_u32 v4, s16, v0
	s_mov_b32 s11, 0
	v_cmp_eq_u32_e64 s[2:3], 0, v2
	v_lshrrev_b32_e32 v2, 2, v0
	v_lshlrev_b32_e32 v3, 4, v0
	v_add_u32_e32 v4, s16, v4
	s_add_i32 s6, s45, 0
	s_mov_b32 s14, 0
	v_lshlrev_b32_e32 v1, 2, v1
	v_cmp_eq_u32_e64 s[4:5], 0, v0
	v_add3_u32 v24, v3, 0, 16
	s_add_i32 s46, s45, 16
	v_lshl_add_u32 v25, v4, 4, 0
	s_lshl_b32 s47, s16, 12
	v_add_u32_e32 v26, s6, v3
	v_add_u32_e32 v27, s44, v2
	s_brev_b32 s15, 8
	v_mov_b32_e32 v28, 0x260
	v_mov_b32_e32 v8, 0
	;; [unrolled: 1-line block ×3, first 2 shown]
	s_mov_b32 s48, 0
	s_mov_b32 s10, s11
	s_branch .LBB194_9
.LBB194_8:                              ;   in Loop: Header=BB194_9 Depth=1
	s_or_b64 exec, exec, s[6:7]
	s_add_i32 s10, s10, 1
	s_add_i32 s48, s48, s46
	v_add_u32_e32 v24, s46, v24
	v_add_u32_e32 v25, s46, v25
	s_cmp_eq_u32 s10, s38
	v_add_u32_e32 v26, s46, v26
	s_waitcnt lgkmcnt(0)
	s_barrier
	s_cbranch_scc1 .LBB194_42
.LBB194_9:                              ; =>This Loop Header: Depth=1
                                        ;     Child Loop BB194_11 Depth 2
                                        ;     Child Loop BB194_29 Depth 2
	;; [unrolled: 1-line block ×3, first 2 shown]
                                        ;       Child Loop BB194_35 Depth 3
                                        ;     Child Loop BB194_39 Depth 2
                                        ;       Child Loop BB194_41 Depth 3
	s_sub_i32 s49, s16, s10
	s_add_i32 s51, s49, -1
	v_pk_mov_b32 v[2:3], 0, 0
	v_cmp_gt_i32_e64 s[6:7], s51, v0
	v_pk_mov_b32 v[4:5], v[2:3], v[2:3] op_sel:[0,1]
	s_and_saveexec_b64 s[18:19], s[6:7]
	s_cbranch_execz .LBB194_13
; %bb.10:                               ;   in Loop: Header=BB194_9 Depth=1
	v_pk_mov_b32 v[2:3], 0, 0
	s_mov_b64 s[20:21], 0
	v_mov_b32_e32 v9, v24
	v_mov_b32_e32 v10, v0
	v_pk_mov_b32 v[4:5], v[2:3], v[2:3] op_sel:[0,1]
.LBB194_11:                             ;   Parent Loop BB194_9 Depth=1
                                        ; =>  This Inner Loop Header: Depth=2
	ds_read2_b64 v[12:15], v9 offset1:1
	v_add_u32_e32 v10, 0x100, v10
	v_cmp_le_i32_e32 vcc, s51, v10
	v_add_u32_e32 v9, 0x1000, v9
	s_or_b64 s[20:21], vcc, s[20:21]
	s_waitcnt lgkmcnt(0)
	v_mul_f64 v[16:17], v[14:15], v[14:15]
	v_mul_f64 v[30:31], v[12:13], v[14:15]
	v_fmac_f64_e32 v[16:17], v[12:13], v[12:13]
	v_fma_f64 v[12:13], v[12:13], v[14:15], -v[30:31]
	v_add_f64 v[4:5], v[4:5], v[16:17]
	v_add_f64 v[2:3], v[2:3], v[12:13]
	s_andn2_b64 exec, exec, s[20:21]
	s_cbranch_execnz .LBB194_11
; %bb.12:                               ;   in Loop: Header=BB194_9 Depth=1
	s_or_b64 exec, exec, s[20:21]
.LBB194_13:                             ;   in Loop: Header=BB194_9 Depth=1
	s_or_b64 exec, exec, s[18:19]
	ds_bpermute_b32 v10, v1, v4
	ds_bpermute_b32 v11, v1, v5
	;; [unrolled: 1-line block ×4, first 2 shown]
	s_waitcnt lgkmcnt(2)
	v_add_f64 v[4:5], v[4:5], v[10:11]
	ds_bpermute_b32 v10, v19, v4
	s_waitcnt lgkmcnt(1)
	v_add_f64 v[2:3], v[2:3], v[12:13]
	ds_bpermute_b32 v11, v19, v5
	ds_bpermute_b32 v12, v19, v2
	ds_bpermute_b32 v13, v19, v3
	s_waitcnt lgkmcnt(2)
	v_add_f64 v[4:5], v[4:5], v[10:11]
	ds_bpermute_b32 v10, v20, v4
	s_waitcnt lgkmcnt(1)
	v_add_f64 v[2:3], v[2:3], v[12:13]
	ds_bpermute_b32 v11, v20, v5
	ds_bpermute_b32 v12, v20, v2
	ds_bpermute_b32 v13, v20, v3
	;; [unrolled: 8-line block ×4, first 2 shown]
	s_waitcnt lgkmcnt(2)
	v_add_f64 v[14:15], v[4:5], v[10:11]
	s_waitcnt lgkmcnt(0)
	v_add_f64 v[4:5], v[2:3], v[12:13]
	ds_bpermute_b32 v2, v23, v14
	ds_bpermute_b32 v3, v23, v15
	;; [unrolled: 1-line block ×4, first 2 shown]
	s_waitcnt lgkmcnt(2)
	v_add_f64 v[2:3], v[14:15], v[2:3]
	s_and_saveexec_b64 s[18:19], s[2:3]
	s_cbranch_execz .LBB194_15
; %bb.14:                               ;   in Loop: Header=BB194_9 Depth=1
	s_waitcnt lgkmcnt(0)
	v_add_f64 v[4:5], v[4:5], v[10:11]
	ds_write2_b64 v27, v[2:3], v[4:5] offset0:2 offset1:3
.LBB194_15:                             ;   in Loop: Header=BB194_9 Depth=1
	s_or_b64 exec, exec, s[18:19]
	s_lshl_b32 s18, s10, 4
	s_add_i32 s50, s18, 0
	s_mul_i32 s18, s10, s16
	s_lshl_b32 s18, s18, 4
	s_add_i32 s50, s50, s18
	s_waitcnt lgkmcnt(0)
	s_barrier
	s_and_saveexec_b64 s[18:19], s[4:5]
	s_cbranch_execz .LBB194_27
; %bb.16:                               ;   in Loop: Header=BB194_9 Depth=1
	v_mov_b32_e32 v4, s44
	ds_read2_b64 v[12:15], v4 offset0:4 offset1:6
	v_mov_b32_e32 v5, s50
	ds_read_b64 v[10:11], v5 offset:8
	ds_read_b64 v[4:5], v4 offset:64
	s_mov_b64 s[28:29], 0
	s_mov_b64 s[24:25], 0
	s_waitcnt lgkmcnt(2)
	v_add_f64 v[2:3], v[2:3], v[12:13]
	v_add_f64 v[2:3], v[2:3], v[14:15]
	s_waitcnt lgkmcnt(1)
	v_mul_f64 v[12:13], v[10:11], v[10:11]
	s_waitcnt lgkmcnt(0)
	v_add_f64 v[16:17], v[2:3], v[4:5]
	v_max_f64 v[2:3], v[16:17], v[12:13]
	v_cmp_nlt_f64_e32 vcc, 0, v[2:3]
                                        ; implicit-def: $sgpr22_sgpr23
                                        ; implicit-def: $sgpr20_sgpr21
                                        ; implicit-def: $sgpr34_sgpr35
                                        ; implicit-def: $sgpr30_sgpr31
	s_and_saveexec_b64 s[26:27], vcc
	s_xor_b64 s[26:27], exec, s[26:27]
                                        ; implicit-def: $vgpr2_vgpr3_vgpr4_vgpr5
	s_cbranch_execz .LBB194_20
; %bb.17:                               ;   in Loop: Header=BB194_9 Depth=1
	s_mov_b32 s20, s11
	s_mov_b32 s21, s11
	;; [unrolled: 1-line block ×4, first 2 shown]
	v_mov_b32_e32 v9, s44
	v_pk_mov_b32 v[2:3], s[20:21], s[20:21] op_sel:[0,1]
	v_pk_mov_b32 v[4:5], s[22:23], s[22:23] op_sel:[0,1]
	s_mov_b64 s[20:21], 0
	s_and_b64 vcc, exec, s[8:9]
	ds_write2_b64 v9, v[2:3], v[4:5] offset1:1
                                        ; implicit-def: $sgpr34_sgpr35
                                        ; implicit-def: $sgpr30_sgpr31
                                        ; implicit-def: $vgpr2_vgpr3_vgpr4_vgpr5
	s_cbranch_vccz .LBB194_19
; %bb.18:                               ;   in Loop: Header=BB194_9 Depth=1
	v_mov_b32_e32 v2, s50
	ds_read_b64 v[2:3], v2
	s_mov_b64 s[24:25], -1
	s_mov_b64 s[30:31], 1.0
	s_mov_b64 s[34:35], 0
.LBB194_19:                             ;   in Loop: Header=BB194_9 Depth=1
	s_mov_b64 s[22:23], 1.0
	s_and_b64 s[24:25], s[24:25], exec
                                        ; implicit-def: $vgpr12_vgpr13
                                        ; implicit-def: $vgpr16_vgpr17
                                        ; implicit-def: $vgpr10_vgpr11
.LBB194_20:                             ;   in Loop: Header=BB194_9 Depth=1
	s_or_saveexec_b64 s[26:27], s[26:27]
	v_pk_mov_b32 v[14:15], s[34:35], s[34:35] op_sel:[0,1]
	v_pk_mov_b32 v[4:5], s[30:31], s[30:31] op_sel:[0,1]
	s_xor_b64 exec, exec, s[26:27]
	s_cbranch_execz .LBB194_22
; %bb.21:                               ;   in Loop: Header=BB194_9 Depth=1
	s_waitcnt lgkmcnt(0)
	v_mov_b32_e32 v2, s50
	ds_read_b64 v[14:15], v2
	s_andn2_b64 s[24:25], s[24:25], exec
	s_and_b64 s[30:31], s[8:9], exec
	s_or_b64 s[24:25], s[24:25], s[30:31]
	s_waitcnt lgkmcnt(0)
	v_fma_f64 v[2:3], v[14:15], v[14:15], v[12:13]
	v_add_f64 v[2:3], v[16:17], v[2:3]
	v_cmp_gt_f64_e32 vcc, s[14:15], v[2:3]
	v_cndmask_b32_e64 v4, 0, 1, vcc
	v_lshlrev_b32_e32 v4, 8, v4
	v_ldexp_f64 v[2:3], v[2:3], v4
	v_rsq_f64_e32 v[4:5], v[2:3]
	v_cndmask_b32_e32 v9, 0, v29, vcc
	v_cmp_class_f64_e32 vcc, v[2:3], v28
	v_mul_f64 v[16:17], v[2:3], v[4:5]
	v_mul_f64 v[4:5], v[4:5], 0.5
	v_fma_f64 v[30:31], -v[4:5], v[16:17], 0.5
	v_fmac_f64_e32 v[16:17], v[16:17], v[30:31]
	v_fmac_f64_e32 v[4:5], v[4:5], v[30:31]
	v_fma_f64 v[30:31], -v[16:17], v[16:17], v[2:3]
	v_fmac_f64_e32 v[16:17], v[30:31], v[4:5]
	v_fma_f64 v[30:31], -v[16:17], v[16:17], v[2:3]
	v_fmac_f64_e32 v[16:17], v[30:31], v[4:5]
	v_ldexp_f64 v[4:5], v[16:17], v9
	v_cndmask_b32_e32 v3, v5, v3, vcc
	v_cndmask_b32_e32 v2, v4, v2, vcc
	v_xor_b32_e32 v4, 0x80000000, v3
	v_cmp_le_f64_e32 vcc, 0, v[14:15]
	v_cndmask_b32_e32 v3, v3, v4, vcc
	v_add_f64 v[4:5], v[14:15], -v[2:3]
	v_fmac_f64_e32 v[12:13], v[4:5], v[4:5]
	v_div_scale_f64 v[16:17], s[28:29], v[12:13], v[12:13], v[4:5]
	v_rcp_f64_e32 v[30:31], v[16:17]
	v_div_scale_f64 v[32:33], vcc, v[4:5], v[12:13], v[4:5]
	v_mov_b32_e32 v9, s44
	v_fma_f64 v[34:35], -v[16:17], v[30:31], 1.0
	v_fmac_f64_e32 v[30:31], v[30:31], v[34:35]
	v_fma_f64 v[34:35], -v[16:17], v[30:31], 1.0
	v_fmac_f64_e32 v[30:31], v[30:31], v[34:35]
	v_mul_f64 v[34:35], v[32:33], v[30:31]
	v_fma_f64 v[16:17], -v[16:17], v[34:35], v[32:33]
	v_div_scale_f64 v[32:33], s[28:29], v[12:13], v[12:13], -v[10:11]
	v_rcp_f64_e32 v[36:37], v[32:33]
	v_div_fmas_f64 v[16:17], v[16:17], v[30:31], v[34:35]
	v_div_fixup_f64 v[4:5], v[16:17], v[12:13], v[4:5]
	v_fma_f64 v[16:17], -v[32:33], v[36:37], 1.0
	v_fmac_f64_e32 v[36:37], v[36:37], v[16:17]
	v_fma_f64 v[16:17], -v[32:33], v[36:37], 1.0
	v_fmac_f64_e32 v[36:37], v[36:37], v[16:17]
	v_div_scale_f64 v[16:17], vcc, -v[10:11], v[12:13], -v[10:11]
	v_mul_f64 v[30:31], v[16:17], v[36:37]
	v_fma_f64 v[16:17], -v[32:33], v[30:31], v[16:17]
	v_add_f64 v[32:33], v[2:3], -v[14:15]
	v_div_scale_f64 v[34:35], s[28:29], v[2:3], v[2:3], v[32:33]
	v_rcp_f64_e32 v[38:39], v[34:35]
	v_div_fmas_f64 v[14:15], v[16:17], v[36:37], v[30:31]
	v_div_fixup_f64 v[14:15], v[14:15], v[12:13], -v[10:11]
	v_div_scale_f64 v[30:31], s[28:29], v[2:3], v[2:3], -v[10:11]
	v_fma_f64 v[12:13], -v[34:35], v[38:39], 1.0
	v_fmac_f64_e32 v[38:39], v[38:39], v[12:13]
	v_fma_f64 v[12:13], -v[34:35], v[38:39], 1.0
	v_fmac_f64_e32 v[38:39], v[38:39], v[12:13]
	v_div_scale_f64 v[12:13], vcc, v[32:33], v[2:3], v[32:33]
	v_mul_f64 v[16:17], v[12:13], v[38:39]
	v_fma_f64 v[12:13], -v[34:35], v[16:17], v[12:13]
	v_rcp_f64_e32 v[34:35], v[30:31]
	s_nop 0
	v_div_fmas_f64 v[12:13], v[12:13], v[38:39], v[16:17]
	v_div_fixup_f64 v[12:13], v[12:13], v[2:3], v[32:33]
	s_and_b64 s[28:29], s[12:13], exec
	v_fma_f64 v[16:17], -v[30:31], v[34:35], 1.0
	v_fmac_f64_e32 v[34:35], v[34:35], v[16:17]
	v_fma_f64 v[16:17], -v[30:31], v[34:35], 1.0
	v_fmac_f64_e32 v[34:35], v[34:35], v[16:17]
	v_div_scale_f64 v[16:17], vcc, -v[10:11], v[2:3], -v[10:11]
	v_mul_f64 v[32:33], v[16:17], v[34:35]
	v_fma_f64 v[16:17], -v[30:31], v[32:33], v[16:17]
	s_nop 1
	v_div_fmas_f64 v[16:17], v[16:17], v[34:35], v[32:33]
	v_div_fixup_f64 v[10:11], v[16:17], v[2:3], -v[10:11]
	ds_write2_b64 v9, v[12:13], v[10:11] offset1:1
.LBB194_22:                             ;   in Loop: Header=BB194_9 Depth=1
	s_or_b64 exec, exec, s[26:27]
	s_and_saveexec_b64 s[26:27], s[24:25]
	s_cbranch_execz .LBB194_24
; %bb.23:                               ;   in Loop: Header=BB194_9 Depth=1
	s_lshl_b64 s[24:25], s[10:11], 3
	s_add_u32 s24, s39, s24
	s_addc_u32 s25, s40, s25
	s_waitcnt lgkmcnt(0)
	global_store_dwordx2 v8, v[2:3], s[24:25]
	v_mov_b32_e32 v2, 0
	v_mov_b32_e32 v3, 0x3ff00000
	s_or_b64 s[28:29], s[28:29], exec
.LBB194_24:                             ;   in Loop: Header=BB194_9 Depth=1
	s_or_b64 exec, exec, s[26:27]
	v_pk_mov_b32 v[10:11], s[20:21], s[20:21] op_sel:[0,1]
	v_pk_mov_b32 v[12:13], s[22:23], s[22:23] op_sel:[0,1]
	v_pk_mov_b32 v[16:17], s[20:21], s[20:21] op_sel:[0,1]
	s_and_saveexec_b64 s[20:21], s[28:29]
	s_cbranch_execz .LBB194_26
; %bb.25:                               ;   in Loop: Header=BB194_9 Depth=1
	v_mov_b32_e32 v9, v8
	v_mov_b32_e32 v10, s50
	s_waitcnt lgkmcnt(0)
	ds_write2_b64 v10, v[2:3], v[8:9] offset1:1
	v_mov_b32_e32 v2, s44
	ds_read_b64 v[10:11], v2 offset:8
	v_pk_mov_b32 v[12:13], v[4:5], v[4:5] op_sel:[0,1]
	v_pk_mov_b32 v[16:17], v[14:15], v[14:15] op_sel:[0,1]
.LBB194_26:                             ;   in Loop: Header=BB194_9 Depth=1
	s_or_b64 exec, exec, s[20:21]
	v_mov_b32_e32 v9, s44
	s_waitcnt lgkmcnt(0)
	ds_read2_b64 v[2:5], v9 offset1:1
	s_lshl_b64 s[20:21], s[10:11], 4
	s_add_u32 s20, s41, s20
	s_addc_u32 s21, s42, s21
	v_xor_b32_e32 v11, 0x80000000, v11
	ds_write_b64 v9, v[16:17] offset:24
	s_waitcnt lgkmcnt(1)
	global_store_dwordx4 v8, v[2:5], s[20:21]
	ds_write2_b64 v9, v[10:11], v[12:13] offset0:1 offset1:2
.LBB194_27:                             ;   in Loop: Header=BB194_9 Depth=1
	s_or_b64 exec, exec, s[18:19]
	s_waitcnt lgkmcnt(0)
	s_barrier
	s_and_saveexec_b64 s[18:19], s[6:7]
	s_cbranch_execz .LBB194_30
; %bb.28:                               ;   in Loop: Header=BB194_9 Depth=1
	s_mov_b32 s20, 0
	s_mov_b64 s[6:7], 0
	v_mov_b32_e32 v2, v0
.LBB194_29:                             ;   Parent Loop BB194_9 Depth=1
                                        ; =>  This Inner Loop Header: Depth=2
	v_mov_b32_e32 v4, s44
	v_add_u32_e32 v3, s20, v24
	ds_read2_b64 v[10:13], v4 offset0:2 offset1:3
	ds_read2_b64 v[14:17], v3 offset1:1
	v_add_u32_e32 v2, 0x100, v2
	s_addk_i32 s20, 0x1000
	v_cmp_le_i32_e32 vcc, s51, v2
	s_or_b64 s[6:7], vcc, s[6:7]
	s_waitcnt lgkmcnt(0)
	v_mul_f64 v[4:5], v[12:13], v[16:17]
	v_mul_f64 v[16:17], v[10:11], v[16:17]
	v_fma_f64 v[4:5], v[10:11], v[14:15], -v[4:5]
	v_fmac_f64_e32 v[16:17], v[12:13], v[14:15]
	ds_write2_b64 v3, v[4:5], v[16:17] offset1:1
	s_andn2_b64 exec, exec, s[6:7]
	s_cbranch_execnz .LBB194_29
.LBB194_30:                             ;   in Loop: Header=BB194_9 Depth=1
	s_or_b64 exec, exec, s[18:19]
	s_not_b32 s22, s10
	s_add_i32 s22, s22, s17
	v_cmp_gt_i32_e32 vcc, s22, v0
	s_waitcnt lgkmcnt(0)
	s_barrier
	s_and_saveexec_b64 s[6:7], vcc
	s_cbranch_execz .LBB194_36
; %bb.31:                               ;   in Loop: Header=BB194_9 Depth=1
	s_cmp_gt_i32 s49, 0
	s_mov_b64 s[18:19], 0
	s_cselect_b64 s[20:21], -1, 0
	v_mov_b32_e32 v9, v25
	v_mov_b32_e32 v10, v0
	s_branch .LBB194_33
.LBB194_32:                             ;   in Loop: Header=BB194_33 Depth=2
	v_mov_b32_e32 v11, s44
	ds_read2_b64 v[12:15], v11 offset1:1
	v_lshl_add_u32 v11, v10, 4, s43
	v_add_u32_e32 v10, 0x100, v10
	v_cmp_le_i32_e32 vcc, s22, v10
	s_or_b64 s[18:19], vcc, s[18:19]
	s_waitcnt lgkmcnt(0)
	v_mul_f64 v[16:17], v[2:3], v[14:15]
	v_mul_f64 v[14:15], v[4:5], v[14:15]
	v_fma_f64 v[4:5], v[4:5], v[12:13], -v[16:17]
	v_fmac_f64_e32 v[14:15], v[2:3], v[12:13]
	v_add_u32_e32 v9, s47, v9
	ds_write2_b64 v11, v[4:5], v[14:15] offset1:1
	s_andn2_b64 exec, exec, s[18:19]
	s_cbranch_execz .LBB194_36
.LBB194_33:                             ;   Parent Loop BB194_9 Depth=1
                                        ; =>  This Loop Header: Depth=2
                                        ;       Child Loop BB194_35 Depth 3
	v_pk_mov_b32 v[2:3], 0, 0
	s_andn2_b64 vcc, exec, s[20:21]
	v_pk_mov_b32 v[4:5], v[2:3], v[2:3] op_sel:[0,1]
	s_cbranch_vccnz .LBB194_32
; %bb.34:                               ;   in Loop: Header=BB194_33 Depth=2
	v_pk_mov_b32 v[2:3], 0, 0
	s_mov_b32 s23, 0
	s_mov_b32 s24, s48
	v_mov_b32_e32 v11, v9
	v_pk_mov_b32 v[4:5], v[2:3], v[2:3] op_sel:[0,1]
.LBB194_35:                             ;   Parent Loop BB194_9 Depth=1
                                        ;     Parent Loop BB194_33 Depth=2
                                        ; =>    This Inner Loop Header: Depth=3
	v_mov_b32_e32 v16, s24
	ds_read2_b64 v[12:15], v11 offset1:1
	ds_read2_b64 v[30:33], v16 offset1:1
	s_add_i32 s23, s23, 1
	s_add_i32 s24, s24, 16
	v_add_u32_e32 v11, 16, v11
	s_cmp_ge_i32 s23, s49
	s_waitcnt lgkmcnt(0)
	v_mul_f64 v[16:17], v[32:33], v[14:15]
	v_mul_f64 v[32:33], v[32:33], v[12:13]
	v_fmac_f64_e32 v[16:17], v[30:31], v[12:13]
	v_fma_f64 v[12:13], v[30:31], v[14:15], -v[32:33]
	v_add_f64 v[4:5], v[4:5], v[16:17]
	v_add_f64 v[2:3], v[2:3], v[12:13]
	s_cbranch_scc0 .LBB194_35
	s_branch .LBB194_32
.LBB194_36:                             ;   in Loop: Header=BB194_9 Depth=1
	s_or_b64 exec, exec, s[6:7]
	v_cmp_gt_i32_e32 vcc, s49, v0
	s_waitcnt lgkmcnt(0)
	s_barrier
	s_and_saveexec_b64 s[6:7], vcc
	s_cbranch_execz .LBB194_8
; %bb.37:                               ;   in Loop: Header=BB194_9 Depth=1
	s_cmp_gt_i32 s22, 0
	s_mov_b64 s[18:19], 0
	s_cselect_b64 s[20:21], -1, 0
	v_mov_b32_e32 v2, v26
	v_mov_b32_e32 v3, v0
	s_branch .LBB194_39
.LBB194_38:                             ;   in Loop: Header=BB194_39 Depth=2
	v_add_u32_e32 v3, 0x100, v3
	v_cmp_le_i32_e32 vcc, s49, v3
	s_or_b64 s[18:19], vcc, s[18:19]
	v_add_u32_e32 v2, 0x1000, v2
	s_andn2_b64 exec, exec, s[18:19]
	s_cbranch_execz .LBB194_8
.LBB194_39:                             ;   Parent Loop BB194_9 Depth=1
                                        ; =>  This Loop Header: Depth=2
                                        ;       Child Loop BB194_41 Depth 3
	s_andn2_b64 vcc, exec, s[20:21]
	s_cbranch_vccnz .LBB194_38
; %bb.40:                               ;   in Loop: Header=BB194_39 Depth=2
	v_lshl_add_u32 v4, v3, 4, s50
	s_mov_b32 s23, 0
	s_mov_b32 s24, s43
	v_mov_b32_e32 v5, v2
.LBB194_41:                             ;   Parent Loop BB194_9 Depth=1
                                        ;     Parent Loop BB194_39 Depth=2
                                        ; =>    This Inner Loop Header: Depth=3
	v_mov_b32_e32 v9, s24
	ds_read2_b64 v[10:13], v4 offset1:1
	ds_read2_b64 v[14:17], v5 offset1:1
	;; [unrolled: 1-line block ×3, first 2 shown]
	s_add_i32 s23, s23, 1
	s_add_i32 s24, s24, 16
	s_cmp_ge_i32 s23, s22
	s_waitcnt lgkmcnt(0)
	v_mul_f64 v[34:35], v[32:33], v[12:13]
	v_mul_f64 v[12:13], v[30:31], v[12:13]
	v_fma_f64 v[30:31], v[30:31], v[10:11], -v[34:35]
	v_fmac_f64_e32 v[12:13], v[32:33], v[10:11]
	v_add_f64 v[10:11], v[14:15], -v[30:31]
	v_add_f64 v[12:13], v[16:17], -v[12:13]
	ds_write2_b64 v5, v[10:11], v[12:13] offset1:1
	v_add_u32_e32 v5, s45, v5
	s_cbranch_scc0 .LBB194_41
	s_branch .LBB194_38
.LBB194_42:
	s_and_saveexec_b64 s[2:3], s[0:1]
	s_cbranch_execz .LBB194_48
; %bb.43:
	v_mad_u64_u32 v[0:1], s[0:1], s37, v7, v[6:7]
	v_mul_lo_u32 v1, s16, v7
	v_lshlrev_b32_e32 v1, 4, v1
	v_cmp_gt_i32_e32 vcc, s17, v7
	s_lshl_b32 s10, s37, 1
	v_add3_u32 v1, v1, v18, 0
	s_lshl_b32 s11, s16, 5
	s_mov_b64 s[4:5], 0
	s_branch .LBB194_45
.LBB194_44:                             ;   in Loop: Header=BB194_45 Depth=1
	s_or_b64 exec, exec, s[6:7]
	v_add_u32_e32 v6, 0x80, v6
	v_cmp_le_i32_e64 s[0:1], s16, v6
	v_add_u32_e32 v0, 0x80, v0
	s_or_b64 s[4:5], s[0:1], s[4:5]
	v_add_u32_e32 v1, 0x800, v1
	s_andn2_b64 exec, exec, s[4:5]
	s_cbranch_execz .LBB194_48
.LBB194_45:                             ; =>This Loop Header: Depth=1
                                        ;     Child Loop BB194_47 Depth 2
	s_and_saveexec_b64 s[6:7], vcc
	s_cbranch_execz .LBB194_44
; %bb.46:                               ;   in Loop: Header=BB194_45 Depth=1
	s_mov_b64 s[8:9], 0
	v_mov_b32_e32 v4, v1
	v_mov_b32_e32 v2, v0
	;; [unrolled: 1-line block ×3, first 2 shown]
.LBB194_47:                             ;   Parent Loop BB194_45 Depth=1
                                        ; =>  This Inner Loop Header: Depth=2
	ds_read2_b64 v[8:11], v4 offset1:1
	v_ashrrev_i32_e32 v3, 31, v2
	v_add_u32_e32 v5, 2, v5
	v_lshlrev_b64 v[12:13], 4, v[2:3]
	v_mov_b32_e32 v14, s36
	v_cmp_le_i32_e64 s[0:1], s17, v5
	v_add_co_u32_e64 v12, s[2:3], s33, v12
	v_add_u32_e32 v4, s11, v4
	v_add_u32_e32 v2, s10, v2
	v_addc_co_u32_e64 v13, s[2:3], v14, v13, s[2:3]
	s_or_b64 s[8:9], s[0:1], s[8:9]
	s_waitcnt lgkmcnt(0)
	global_store_dwordx4 v[12:13], v[8:11], off
	s_andn2_b64 exec, exec, s[8:9]
	s_cbranch_execnz .LBB194_47
	s_branch .LBB194_44
.LBB194_48:
	s_endpgm
	.section	.rodata,"a",@progbits
	.p2align	6, 0x0
	.amdhsa_kernel _ZN9rocsolver6v33100L18geqr2_kernel_smallILi256E19rocblas_complex_numIdEidPKPS3_EEvT1_S7_T3_lS7_lPT2_lPT0_l
		.amdhsa_group_segment_fixed_size 0
		.amdhsa_private_segment_fixed_size 0
		.amdhsa_kernarg_size 72
		.amdhsa_user_sgpr_count 6
		.amdhsa_user_sgpr_private_segment_buffer 1
		.amdhsa_user_sgpr_dispatch_ptr 0
		.amdhsa_user_sgpr_queue_ptr 0
		.amdhsa_user_sgpr_kernarg_segment_ptr 1
		.amdhsa_user_sgpr_dispatch_id 0
		.amdhsa_user_sgpr_flat_scratch_init 0
		.amdhsa_user_sgpr_kernarg_preload_length 0
		.amdhsa_user_sgpr_kernarg_preload_offset 0
		.amdhsa_user_sgpr_private_segment_size 0
		.amdhsa_uses_dynamic_stack 0
		.amdhsa_system_sgpr_private_segment_wavefront_offset 0
		.amdhsa_system_sgpr_workgroup_id_x 1
		.amdhsa_system_sgpr_workgroup_id_y 0
		.amdhsa_system_sgpr_workgroup_id_z 1
		.amdhsa_system_sgpr_workgroup_info 0
		.amdhsa_system_vgpr_workitem_id 0
		.amdhsa_next_free_vgpr 40
		.amdhsa_next_free_sgpr 52
		.amdhsa_accum_offset 40
		.amdhsa_reserve_vcc 1
		.amdhsa_reserve_flat_scratch 0
		.amdhsa_float_round_mode_32 0
		.amdhsa_float_round_mode_16_64 0
		.amdhsa_float_denorm_mode_32 3
		.amdhsa_float_denorm_mode_16_64 3
		.amdhsa_dx10_clamp 1
		.amdhsa_ieee_mode 1
		.amdhsa_fp16_overflow 0
		.amdhsa_tg_split 0
		.amdhsa_exception_fp_ieee_invalid_op 0
		.amdhsa_exception_fp_denorm_src 0
		.amdhsa_exception_fp_ieee_div_zero 0
		.amdhsa_exception_fp_ieee_overflow 0
		.amdhsa_exception_fp_ieee_underflow 0
		.amdhsa_exception_fp_ieee_inexact 0
		.amdhsa_exception_int_div_zero 0
	.end_amdhsa_kernel
	.section	.text._ZN9rocsolver6v33100L18geqr2_kernel_smallILi256E19rocblas_complex_numIdEidPKPS3_EEvT1_S7_T3_lS7_lPT2_lPT0_l,"axG",@progbits,_ZN9rocsolver6v33100L18geqr2_kernel_smallILi256E19rocblas_complex_numIdEidPKPS3_EEvT1_S7_T3_lS7_lPT2_lPT0_l,comdat
.Lfunc_end194:
	.size	_ZN9rocsolver6v33100L18geqr2_kernel_smallILi256E19rocblas_complex_numIdEidPKPS3_EEvT1_S7_T3_lS7_lPT2_lPT0_l, .Lfunc_end194-_ZN9rocsolver6v33100L18geqr2_kernel_smallILi256E19rocblas_complex_numIdEidPKPS3_EEvT1_S7_T3_lS7_lPT2_lPT0_l
                                        ; -- End function
	.section	.AMDGPU.csdata,"",@progbits
; Kernel info:
; codeLenInByte = 3132
; NumSgprs: 56
; NumVgprs: 40
; NumAgprs: 0
; TotalNumVgprs: 40
; ScratchSize: 0
; MemoryBound: 0
; FloatMode: 240
; IeeeMode: 1
; LDSByteSize: 0 bytes/workgroup (compile time only)
; SGPRBlocks: 6
; VGPRBlocks: 4
; NumSGPRsForWavesPerEU: 56
; NumVGPRsForWavesPerEU: 40
; AccumOffset: 40
; Occupancy: 8
; WaveLimiterHint : 1
; COMPUTE_PGM_RSRC2:SCRATCH_EN: 0
; COMPUTE_PGM_RSRC2:USER_SGPR: 6
; COMPUTE_PGM_RSRC2:TRAP_HANDLER: 0
; COMPUTE_PGM_RSRC2:TGID_X_EN: 1
; COMPUTE_PGM_RSRC2:TGID_Y_EN: 0
; COMPUTE_PGM_RSRC2:TGID_Z_EN: 1
; COMPUTE_PGM_RSRC2:TIDIG_COMP_CNT: 0
; COMPUTE_PGM_RSRC3_GFX90A:ACCUM_OFFSET: 9
; COMPUTE_PGM_RSRC3_GFX90A:TG_SPLIT: 0
	.section	.text._ZN9rocsolver6v33100L16reset_batch_infoI19rocblas_complex_numIdEiiPS3_EEvT2_lT0_T1_,"axG",@progbits,_ZN9rocsolver6v33100L16reset_batch_infoI19rocblas_complex_numIdEiiPS3_EEvT2_lT0_T1_,comdat
	.globl	_ZN9rocsolver6v33100L16reset_batch_infoI19rocblas_complex_numIdEiiPS3_EEvT2_lT0_T1_ ; -- Begin function _ZN9rocsolver6v33100L16reset_batch_infoI19rocblas_complex_numIdEiiPS3_EEvT2_lT0_T1_
	.p2align	8
	.type	_ZN9rocsolver6v33100L16reset_batch_infoI19rocblas_complex_numIdEiiPS3_EEvT2_lT0_T1_,@function
_ZN9rocsolver6v33100L16reset_batch_infoI19rocblas_complex_numIdEiiPS3_EEvT2_lT0_T1_: ; @_ZN9rocsolver6v33100L16reset_batch_infoI19rocblas_complex_numIdEiiPS3_EEvT2_lT0_T1_
; %bb.0:
	s_load_dword s2, s[4:5], 0x24
	s_load_dwordx2 s[0:1], s[4:5], 0x10
	s_waitcnt lgkmcnt(0)
	s_and_b32 s2, s2, 0xffff
	s_mul_i32 s6, s6, s2
	v_add_u32_e32 v0, s6, v0
	v_cmp_gt_i32_e32 vcc, s0, v0
	s_and_saveexec_b64 s[2:3], vcc
	s_cbranch_execz .LBB195_2
; %bb.1:
	s_load_dwordx4 s[8:11], s[4:5], 0x0
	s_ashr_i32 s0, s7, 31
	v_ashrrev_i32_e32 v1, 31, v0
	v_lshlrev_b64 v[0:1], 4, v[0:1]
	s_waitcnt lgkmcnt(0)
	s_mul_i32 s3, s7, s11
	s_mul_hi_u32 s4, s7, s10
	s_mul_i32 s0, s0, s10
	s_add_i32 s3, s4, s3
	s_mul_i32 s2, s7, s10
	s_add_i32 s3, s3, s0
	s_lshl_b64 s[2:3], s[2:3], 4
	s_add_u32 s0, s8, s2
	s_addc_u32 s2, s9, s3
	v_mov_b32_e32 v2, s2
	v_add_co_u32_e32 v4, vcc, s0, v0
	v_addc_co_u32_e32 v5, vcc, v2, v1, vcc
	v_mov_b32_e32 v2, 0
	v_cvt_f64_i32_e32 v[0:1], s1
	v_mov_b32_e32 v3, v2
	global_store_dwordx4 v[4:5], v[0:3], off
.LBB195_2:
	s_endpgm
	.section	.rodata,"a",@progbits
	.p2align	6, 0x0
	.amdhsa_kernel _ZN9rocsolver6v33100L16reset_batch_infoI19rocblas_complex_numIdEiiPS3_EEvT2_lT0_T1_
		.amdhsa_group_segment_fixed_size 0
		.amdhsa_private_segment_fixed_size 0
		.amdhsa_kernarg_size 280
		.amdhsa_user_sgpr_count 6
		.amdhsa_user_sgpr_private_segment_buffer 1
		.amdhsa_user_sgpr_dispatch_ptr 0
		.amdhsa_user_sgpr_queue_ptr 0
		.amdhsa_user_sgpr_kernarg_segment_ptr 1
		.amdhsa_user_sgpr_dispatch_id 0
		.amdhsa_user_sgpr_flat_scratch_init 0
		.amdhsa_user_sgpr_kernarg_preload_length 0
		.amdhsa_user_sgpr_kernarg_preload_offset 0
		.amdhsa_user_sgpr_private_segment_size 0
		.amdhsa_uses_dynamic_stack 0
		.amdhsa_system_sgpr_private_segment_wavefront_offset 0
		.amdhsa_system_sgpr_workgroup_id_x 1
		.amdhsa_system_sgpr_workgroup_id_y 1
		.amdhsa_system_sgpr_workgroup_id_z 0
		.amdhsa_system_sgpr_workgroup_info 0
		.amdhsa_system_vgpr_workitem_id 0
		.amdhsa_next_free_vgpr 6
		.amdhsa_next_free_sgpr 12
		.amdhsa_accum_offset 8
		.amdhsa_reserve_vcc 1
		.amdhsa_reserve_flat_scratch 0
		.amdhsa_float_round_mode_32 0
		.amdhsa_float_round_mode_16_64 0
		.amdhsa_float_denorm_mode_32 3
		.amdhsa_float_denorm_mode_16_64 3
		.amdhsa_dx10_clamp 1
		.amdhsa_ieee_mode 1
		.amdhsa_fp16_overflow 0
		.amdhsa_tg_split 0
		.amdhsa_exception_fp_ieee_invalid_op 0
		.amdhsa_exception_fp_denorm_src 0
		.amdhsa_exception_fp_ieee_div_zero 0
		.amdhsa_exception_fp_ieee_overflow 0
		.amdhsa_exception_fp_ieee_underflow 0
		.amdhsa_exception_fp_ieee_inexact 0
		.amdhsa_exception_int_div_zero 0
	.end_amdhsa_kernel
	.section	.text._ZN9rocsolver6v33100L16reset_batch_infoI19rocblas_complex_numIdEiiPS3_EEvT2_lT0_T1_,"axG",@progbits,_ZN9rocsolver6v33100L16reset_batch_infoI19rocblas_complex_numIdEiiPS3_EEvT2_lT0_T1_,comdat
.Lfunc_end195:
	.size	_ZN9rocsolver6v33100L16reset_batch_infoI19rocblas_complex_numIdEiiPS3_EEvT2_lT0_T1_, .Lfunc_end195-_ZN9rocsolver6v33100L16reset_batch_infoI19rocblas_complex_numIdEiiPS3_EEvT2_lT0_T1_
                                        ; -- End function
	.section	.AMDGPU.csdata,"",@progbits
; Kernel info:
; codeLenInByte = 148
; NumSgprs: 16
; NumVgprs: 6
; NumAgprs: 0
; TotalNumVgprs: 6
; ScratchSize: 0
; MemoryBound: 0
; FloatMode: 240
; IeeeMode: 1
; LDSByteSize: 0 bytes/workgroup (compile time only)
; SGPRBlocks: 1
; VGPRBlocks: 0
; NumSGPRsForWavesPerEU: 16
; NumVGPRsForWavesPerEU: 6
; AccumOffset: 8
; Occupancy: 8
; WaveLimiterHint : 0
; COMPUTE_PGM_RSRC2:SCRATCH_EN: 0
; COMPUTE_PGM_RSRC2:USER_SGPR: 6
; COMPUTE_PGM_RSRC2:TRAP_HANDLER: 0
; COMPUTE_PGM_RSRC2:TGID_X_EN: 1
; COMPUTE_PGM_RSRC2:TGID_Y_EN: 1
; COMPUTE_PGM_RSRC2:TGID_Z_EN: 0
; COMPUTE_PGM_RSRC2:TIDIG_COMP_CNT: 0
; COMPUTE_PGM_RSRC3_GFX90A:ACCUM_OFFSET: 1
; COMPUTE_PGM_RSRC3_GFX90A:TG_SPLIT: 0
	.section	.text._ZN9rocsolver6v33100L8set_diagI19rocblas_complex_numIdEidPKPS3_TnNSt9enable_ifIXaa18rocblas_is_complexIT_Ent18rocblas_is_complexIT1_EEiE4typeELi0EEEvPS9_llT2_lT0_lSE_b,"axG",@progbits,_ZN9rocsolver6v33100L8set_diagI19rocblas_complex_numIdEidPKPS3_TnNSt9enable_ifIXaa18rocblas_is_complexIT_Ent18rocblas_is_complexIT1_EEiE4typeELi0EEEvPS9_llT2_lT0_lSE_b,comdat
	.globl	_ZN9rocsolver6v33100L8set_diagI19rocblas_complex_numIdEidPKPS3_TnNSt9enable_ifIXaa18rocblas_is_complexIT_Ent18rocblas_is_complexIT1_EEiE4typeELi0EEEvPS9_llT2_lT0_lSE_b ; -- Begin function _ZN9rocsolver6v33100L8set_diagI19rocblas_complex_numIdEidPKPS3_TnNSt9enable_ifIXaa18rocblas_is_complexIT_Ent18rocblas_is_complexIT1_EEiE4typeELi0EEEvPS9_llT2_lT0_lSE_b
	.p2align	8
	.type	_ZN9rocsolver6v33100L8set_diagI19rocblas_complex_numIdEidPKPS3_TnNSt9enable_ifIXaa18rocblas_is_complexIT_Ent18rocblas_is_complexIT1_EEiE4typeELi0EEEvPS9_llT2_lT0_lSE_b,@function
_ZN9rocsolver6v33100L8set_diagI19rocblas_complex_numIdEidPKPS3_TnNSt9enable_ifIXaa18rocblas_is_complexIT_Ent18rocblas_is_complexIT1_EEiE4typeELi0EEEvPS9_llT2_lT0_lSE_b: ; @_ZN9rocsolver6v33100L8set_diagI19rocblas_complex_numIdEidPKPS3_TnNSt9enable_ifIXaa18rocblas_is_complexIT_Ent18rocblas_is_complexIT1_EEiE4typeELi0EEEvPS9_llT2_lT0_lSE_b
; %bb.0:
	s_load_dword s2, s[4:5], 0x4c
	s_load_dwordx2 s[0:1], s[4:5], 0x38
	v_bfe_u32 v0, v0, 10, 10
	s_waitcnt lgkmcnt(0)
	s_lshr_b32 s2, s2, 16
	s_mul_i32 s7, s7, s2
	v_add_u32_e32 v2, s7, v0
	v_cmp_gt_i32_e32 vcc, s0, v2
	s_and_saveexec_b64 s[2:3], vcc
	s_cbranch_execz .LBB196_5
; %bb.1:
	s_load_dwordx8 s[8:15], s[4:5], 0x0
	s_bitcmp1_b32 s1, 0
	s_cselect_b64 s[0:1], -1, 0
	s_ashr_i32 s7, s6, 31
	s_lshl_b64 s[2:3], s[6:7], 3
	s_waitcnt lgkmcnt(0)
	s_add_u32 s2, s14, s2
	s_addc_u32 s3, s15, s3
	s_load_dwordx2 s[14:15], s[4:5], 0x20
	s_load_dwordx2 s[16:17], s[2:3], 0x0
	s_load_dword s18, s[4:5], 0x28
	s_waitcnt lgkmcnt(0)
	s_lshl_b64 s[2:3], s[14:15], 4
	s_add_u32 s4, s16, s2
	s_addc_u32 s5, s17, s3
	v_mad_u64_u32 v[0:1], s[2:3], v2, s18, v[2:3]
	v_ashrrev_i32_e32 v1, 31, v0
	v_lshlrev_b64 v[0:1], 4, v[0:1]
	v_mov_b32_e32 v3, s5
	v_add_co_u32_e32 v4, vcc, s4, v0
	v_addc_co_u32_e32 v5, vcc, v3, v1, vcc
	global_load_dwordx2 v[0:1], v[4:5], off
	s_mul_i32 s3, s6, s13
	s_mul_hi_u32 s4, s6, s12
	s_mul_i32 s5, s7, s12
	s_add_i32 s3, s4, s3
	s_mul_i32 s2, s6, s12
	s_add_i32 s3, s3, s5
	s_lshl_b64 s[2:3], s[2:3], 3
	s_add_u32 s4, s8, s2
	s_addc_u32 s5, s9, s3
	s_lshl_b64 s[2:3], s[10:11], 3
	v_ashrrev_i32_e32 v3, 31, v2
	s_add_u32 s2, s4, s2
	v_lshlrev_b64 v[2:3], 3, v[2:3]
	s_addc_u32 s3, s5, s3
	s_and_b64 vcc, exec, s[0:1]
	v_mov_b32_e32 v6, s3
	v_add_co_u32_e64 v2, s[0:1], s2, v2
	v_addc_co_u32_e64 v3, s[0:1], v6, v3, s[0:1]
	s_waitcnt vmcnt(0)
	global_store_dwordx2 v[2:3], v[0:1], off
	s_cbranch_vccnz .LBB196_3
; %bb.2:
	global_load_dwordx2 v[2:3], v[4:5], off offset:8
	s_branch .LBB196_4
.LBB196_3:
	v_mov_b32_e32 v0, 0
	v_pk_mov_b32 v[2:3], 0, 0
	v_mov_b32_e32 v1, 0x3ff00000
.LBB196_4:
	s_waitcnt vmcnt(0)
	global_store_dwordx4 v[4:5], v[0:3], off
.LBB196_5:
	s_endpgm
	.section	.rodata,"a",@progbits
	.p2align	6, 0x0
	.amdhsa_kernel _ZN9rocsolver6v33100L8set_diagI19rocblas_complex_numIdEidPKPS3_TnNSt9enable_ifIXaa18rocblas_is_complexIT_Ent18rocblas_is_complexIT1_EEiE4typeELi0EEEvPS9_llT2_lT0_lSE_b
		.amdhsa_group_segment_fixed_size 0
		.amdhsa_private_segment_fixed_size 0
		.amdhsa_kernarg_size 320
		.amdhsa_user_sgpr_count 6
		.amdhsa_user_sgpr_private_segment_buffer 1
		.amdhsa_user_sgpr_dispatch_ptr 0
		.amdhsa_user_sgpr_queue_ptr 0
		.amdhsa_user_sgpr_kernarg_segment_ptr 1
		.amdhsa_user_sgpr_dispatch_id 0
		.amdhsa_user_sgpr_flat_scratch_init 0
		.amdhsa_user_sgpr_kernarg_preload_length 0
		.amdhsa_user_sgpr_kernarg_preload_offset 0
		.amdhsa_user_sgpr_private_segment_size 0
		.amdhsa_uses_dynamic_stack 0
		.amdhsa_system_sgpr_private_segment_wavefront_offset 0
		.amdhsa_system_sgpr_workgroup_id_x 1
		.amdhsa_system_sgpr_workgroup_id_y 1
		.amdhsa_system_sgpr_workgroup_id_z 0
		.amdhsa_system_sgpr_workgroup_info 0
		.amdhsa_system_vgpr_workitem_id 1
		.amdhsa_next_free_vgpr 7
		.amdhsa_next_free_sgpr 19
		.amdhsa_accum_offset 8
		.amdhsa_reserve_vcc 1
		.amdhsa_reserve_flat_scratch 0
		.amdhsa_float_round_mode_32 0
		.amdhsa_float_round_mode_16_64 0
		.amdhsa_float_denorm_mode_32 3
		.amdhsa_float_denorm_mode_16_64 3
		.amdhsa_dx10_clamp 1
		.amdhsa_ieee_mode 1
		.amdhsa_fp16_overflow 0
		.amdhsa_tg_split 0
		.amdhsa_exception_fp_ieee_invalid_op 0
		.amdhsa_exception_fp_denorm_src 0
		.amdhsa_exception_fp_ieee_div_zero 0
		.amdhsa_exception_fp_ieee_overflow 0
		.amdhsa_exception_fp_ieee_underflow 0
		.amdhsa_exception_fp_ieee_inexact 0
		.amdhsa_exception_int_div_zero 0
	.end_amdhsa_kernel
	.section	.text._ZN9rocsolver6v33100L8set_diagI19rocblas_complex_numIdEidPKPS3_TnNSt9enable_ifIXaa18rocblas_is_complexIT_Ent18rocblas_is_complexIT1_EEiE4typeELi0EEEvPS9_llT2_lT0_lSE_b,"axG",@progbits,_ZN9rocsolver6v33100L8set_diagI19rocblas_complex_numIdEidPKPS3_TnNSt9enable_ifIXaa18rocblas_is_complexIT_Ent18rocblas_is_complexIT1_EEiE4typeELi0EEEvPS9_llT2_lT0_lSE_b,comdat
.Lfunc_end196:
	.size	_ZN9rocsolver6v33100L8set_diagI19rocblas_complex_numIdEidPKPS3_TnNSt9enable_ifIXaa18rocblas_is_complexIT_Ent18rocblas_is_complexIT1_EEiE4typeELi0EEEvPS9_llT2_lT0_lSE_b, .Lfunc_end196-_ZN9rocsolver6v33100L8set_diagI19rocblas_complex_numIdEidPKPS3_TnNSt9enable_ifIXaa18rocblas_is_complexIT_Ent18rocblas_is_complexIT1_EEiE4typeELi0EEEvPS9_llT2_lT0_lSE_b
                                        ; -- End function
	.section	.AMDGPU.csdata,"",@progbits
; Kernel info:
; codeLenInByte = 316
; NumSgprs: 23
; NumVgprs: 7
; NumAgprs: 0
; TotalNumVgprs: 7
; ScratchSize: 0
; MemoryBound: 0
; FloatMode: 240
; IeeeMode: 1
; LDSByteSize: 0 bytes/workgroup (compile time only)
; SGPRBlocks: 2
; VGPRBlocks: 0
; NumSGPRsForWavesPerEU: 23
; NumVGPRsForWavesPerEU: 7
; AccumOffset: 8
; Occupancy: 8
; WaveLimiterHint : 1
; COMPUTE_PGM_RSRC2:SCRATCH_EN: 0
; COMPUTE_PGM_RSRC2:USER_SGPR: 6
; COMPUTE_PGM_RSRC2:TRAP_HANDLER: 0
; COMPUTE_PGM_RSRC2:TGID_X_EN: 1
; COMPUTE_PGM_RSRC2:TGID_Y_EN: 1
; COMPUTE_PGM_RSRC2:TGID_Z_EN: 0
; COMPUTE_PGM_RSRC2:TIDIG_COMP_CNT: 1
; COMPUTE_PGM_RSRC3_GFX90A:ACCUM_OFFSET: 1
; COMPUTE_PGM_RSRC3_GFX90A:TG_SPLIT: 0
	.section	.text._ZN9rocsolver6v33100L11set_taubetaI19rocblas_complex_numIdEidPKPS3_EEvPT_lS8_T2_llPT1_ll,"axG",@progbits,_ZN9rocsolver6v33100L11set_taubetaI19rocblas_complex_numIdEidPKPS3_EEvPT_lS8_T2_llPT1_ll,comdat
	.globl	_ZN9rocsolver6v33100L11set_taubetaI19rocblas_complex_numIdEidPKPS3_EEvPT_lS8_T2_llPT1_ll ; -- Begin function _ZN9rocsolver6v33100L11set_taubetaI19rocblas_complex_numIdEidPKPS3_EEvPT_lS8_T2_llPT1_ll
	.p2align	8
	.type	_ZN9rocsolver6v33100L11set_taubetaI19rocblas_complex_numIdEidPKPS3_EEvPT_lS8_T2_llPT1_ll,@function
_ZN9rocsolver6v33100L11set_taubetaI19rocblas_complex_numIdEidPKPS3_EEvPT_lS8_T2_llPT1_ll: ; @_ZN9rocsolver6v33100L11set_taubetaI19rocblas_complex_numIdEidPKPS3_EEvPT_lS8_T2_llPT1_ll
; %bb.0:
	s_load_dwordx8 s[8:15], s[4:5], 0x0
	s_load_dwordx2 s[18:19], s[4:5], 0x20
	s_load_dwordx4 s[0:3], s[4:5], 0x30
	s_ashr_i32 s7, s6, 31
	s_lshl_b64 s[16:17], s[6:7], 3
	s_waitcnt lgkmcnt(0)
	s_add_u32 s14, s14, s16
	s_addc_u32 s15, s15, s17
	s_load_dwordx2 s[20:21], s[14:15], 0x0
	s_mov_b64 s[16:17], 0
	s_cmp_eq_u64 s[0:1], 0
	s_mov_b64 s[14:15], 0
	s_cbranch_scc1 .LBB197_2
; %bb.1:
	s_load_dwordx2 s[4:5], s[4:5], 0x40
	s_waitcnt lgkmcnt(0)
	s_mul_i32 s5, s6, s5
	s_mul_hi_u32 s14, s6, s4
	s_mul_i32 s15, s7, s4
	s_add_i32 s5, s14, s5
	s_mul_i32 s4, s6, s4
	s_add_i32 s5, s5, s15
	s_lshl_b64 s[4:5], s[4:5], 3
	s_add_u32 s4, s0, s4
	s_addc_u32 s5, s1, s5
	s_lshl_b64 s[0:1], s[2:3], 3
	s_add_u32 s14, s4, s0
	s_addc_u32 s15, s5, s1
.LBB197_2:
	s_lshl_b64 s[0:1], s[18:19], 4
	s_waitcnt lgkmcnt(0)
	s_add_u32 s0, s20, s0
	s_mul_i32 s2, s6, s11
	s_mul_hi_u32 s3, s6, s10
	s_addc_u32 s1, s21, s1
	s_add_i32 s2, s3, s2
	s_mul_i32 s3, s7, s10
	s_add_i32 s3, s2, s3
	s_mul_i32 s2, s6, s10
	s_lshl_b64 s[2:3], s[2:3], 4
	s_add_u32 s4, s8, s2
	s_addc_u32 s5, s9, s3
	s_lshl_b64 s[2:3], s[6:7], 4
	s_add_u32 s8, s12, s2
	s_addc_u32 s9, s13, s3
	s_load_dwordx2 s[10:11], s[0:1], 0x8
	s_load_dwordx2 s[12:13], s[8:9], 0x0
	s_cmp_eq_u64 s[14:15], 0
	s_cselect_b64 s[2:3], -1, 0
	s_cmp_lg_u64 s[14:15], 0
	s_waitcnt lgkmcnt(0)
	v_mul_f64 v[4:5], s[10:11], s[10:11]
	v_max_f64 v[0:1], s[12:13], s[12:13]
	v_max_f64 v[0:1], v[0:1], v[4:5]
	v_cmp_nlt_f64_e32 vcc, 0, v[0:1]
	s_cselect_b64 s[6:7], -1, 0
	s_cbranch_vccz .LBB197_6
; %bb.3:
	v_mov_b32_e32 v0, 0
	v_mov_b32_e32 v1, 0x3ff00000
	;; [unrolled: 1-line block ×4, first 2 shown]
	global_store_dwordx4 v0, v[0:3], s[8:9]
	s_mov_b64 s[18:19], 0
	v_mov_b32_e32 v1, v0
	s_and_b64 vcc, exec, s[6:7]
	global_store_dwordx4 v0, v[0:3], s[4:5]
	s_cbranch_vccz .LBB197_7
; %bb.4:
	global_load_dwordx2 v[0:1], v0, s[0:1]
	s_mov_b64 s[16:17], -1
	s_and_b64 vcc, exec, s[18:19]
	s_cbranch_vccnz .LBB197_8
.LBB197_5:
	s_mov_b64 s[2:3], 0
	s_andn2_b64 vcc, exec, s[16:17]
	s_cbranch_vccz .LBB197_9
	s_branch .LBB197_10
.LBB197_6:
	s_mov_b64 s[18:19], -1
.LBB197_7:
                                        ; implicit-def: $vgpr0_vgpr1
	s_and_b64 vcc, exec, s[18:19]
	s_cbranch_vccz .LBB197_5
.LBB197_8:
	s_load_dwordx2 s[16:17], s[0:1], 0x0
	s_mov_b32 s18, 0
	s_brev_b32 s19, 8
	s_waitcnt vmcnt(0) lgkmcnt(0)
	v_fma_f64 v[0:1], s[16:17], s[16:17], v[4:5]
	v_add_f64 v[0:1], s[12:13], v[0:1]
	v_cmp_gt_f64_e32 vcc, s[18:19], v[0:1]
	v_cndmask_b32_e64 v2, 0, 1, vcc
	v_lshlrev_b32_e32 v2, 8, v2
	v_ldexp_f64 v[0:1], v[0:1], v2
	v_rsq_f64_e32 v[2:3], v[0:1]
	s_and_b64 s[12:13], vcc, exec
	s_cselect_b32 s12, 0xffffff80, 0
	v_mul_f64 v[6:7], v[0:1], v[2:3]
	v_mul_f64 v[2:3], v[2:3], 0.5
	v_fma_f64 v[8:9], -v[2:3], v[6:7], 0.5
	v_fmac_f64_e32 v[6:7], v[6:7], v[8:9]
	v_fmac_f64_e32 v[2:3], v[2:3], v[8:9]
	v_fma_f64 v[8:9], -v[6:7], v[6:7], v[0:1]
	v_fmac_f64_e32 v[6:7], v[8:9], v[2:3]
	v_fma_f64 v[8:9], -v[6:7], v[6:7], v[0:1]
	v_fmac_f64_e32 v[6:7], v[8:9], v[2:3]
	v_ldexp_f64 v[2:3], v[6:7], s12
	v_mov_b32_e32 v6, 0x260
	v_cmp_class_f64_e32 vcc, v[0:1], v6
	v_cndmask_b32_e32 v1, v3, v1, vcc
	v_cndmask_b32_e32 v0, v2, v0, vcc
	v_xor_b32_e32 v2, 0x80000000, v1
	v_cmp_ge_f64_e64 vcc, s[16:17], 0
	v_cndmask_b32_e32 v1, v1, v2, vcc
	v_add_f64 v[2:3], s[16:17], -v[0:1]
	v_fmac_f64_e32 v[4:5], v[2:3], v[2:3]
	v_div_scale_f64 v[6:7], s[12:13], v[4:5], v[4:5], v[2:3]
	v_rcp_f64_e32 v[8:9], v[6:7]
	v_fma_f64 v[10:11], -v[6:7], v[8:9], 1.0
	v_fmac_f64_e32 v[8:9], v[8:9], v[10:11]
	v_fma_f64 v[10:11], -v[6:7], v[8:9], 1.0
	v_fmac_f64_e32 v[8:9], v[8:9], v[10:11]
	v_div_scale_f64 v[10:11], vcc, v[2:3], v[4:5], v[2:3]
	v_mul_f64 v[12:13], v[10:11], v[8:9]
	v_fma_f64 v[6:7], -v[6:7], v[12:13], v[10:11]
	v_div_scale_f64 v[10:11], s[12:13], v[4:5], v[4:5], -s[10:11]
	v_rcp_f64_e32 v[14:15], v[10:11]
	v_div_fmas_f64 v[6:7], v[6:7], v[8:9], v[12:13]
	v_div_fixup_f64 v[2:3], v[6:7], v[4:5], v[2:3]
	v_fma_f64 v[6:7], -v[10:11], v[14:15], 1.0
	v_fmac_f64_e32 v[14:15], v[14:15], v[6:7]
	v_fma_f64 v[6:7], -v[10:11], v[14:15], 1.0
	v_fmac_f64_e32 v[14:15], v[14:15], v[6:7]
	v_div_scale_f64 v[6:7], vcc, -s[10:11], v[4:5], -s[10:11]
	v_mul_f64 v[8:9], v[6:7], v[14:15]
	v_fma_f64 v[6:7], -v[10:11], v[8:9], v[6:7]
	s_nop 1
	v_div_fmas_f64 v[6:7], v[6:7], v[14:15], v[8:9]
	v_add_f64 v[8:9], v[0:1], -s[16:17]
	v_div_scale_f64 v[10:11], s[12:13], v[0:1], v[0:1], v[8:9]
	v_rcp_f64_e32 v[12:13], v[10:11]
	v_div_fixup_f64 v[4:5], v[6:7], v[4:5], -s[10:11]
	v_mov_b32_e32 v14, 0
	global_store_dwordx4 v14, v[2:5], s[8:9]
	v_div_scale_f64 v[6:7], s[8:9], v[0:1], v[0:1], -s[10:11]
	v_fma_f64 v[2:3], -v[10:11], v[12:13], 1.0
	v_fmac_f64_e32 v[12:13], v[12:13], v[2:3]
	v_fma_f64 v[2:3], -v[10:11], v[12:13], 1.0
	v_fmac_f64_e32 v[12:13], v[12:13], v[2:3]
	v_div_scale_f64 v[2:3], vcc, v[8:9], v[0:1], v[8:9]
	v_mul_f64 v[4:5], v[2:3], v[12:13]
	v_fma_f64 v[2:3], -v[10:11], v[4:5], v[2:3]
	v_rcp_f64_e32 v[10:11], v[6:7]
	s_nop 0
	v_div_fmas_f64 v[2:3], v[2:3], v[12:13], v[4:5]
	v_div_fixup_f64 v[2:3], v[2:3], v[0:1], v[8:9]
	s_mov_b64 s[16:17], s[6:7]
	v_fma_f64 v[4:5], -v[6:7], v[10:11], 1.0
	v_fmac_f64_e32 v[10:11], v[10:11], v[4:5]
	v_fma_f64 v[4:5], -v[6:7], v[10:11], 1.0
	v_fmac_f64_e32 v[10:11], v[10:11], v[4:5]
	v_div_scale_f64 v[4:5], vcc, -s[10:11], v[0:1], -s[10:11]
	v_mul_f64 v[8:9], v[4:5], v[10:11]
	v_fma_f64 v[4:5], -v[6:7], v[8:9], v[4:5]
	s_nop 1
	v_div_fmas_f64 v[4:5], v[4:5], v[10:11], v[8:9]
	v_div_fixup_f64 v[4:5], v[4:5], v[0:1], -s[10:11]
	global_store_dwordx4 v14, v[2:5], s[4:5]
	s_andn2_b64 vcc, exec, s[16:17]
	s_cbranch_vccnz .LBB197_10
.LBB197_9:
	v_pk_mov_b32 v[2:3], s[14:15], s[14:15] op_sel:[0,1]
	s_waitcnt vmcnt(0)
	flat_store_dwordx2 v[2:3], v[0:1]
	v_mov_b32_e32 v0, 0
	s_mov_b64 s[2:3], -1
	v_mov_b32_e32 v1, 0x3ff00000
.LBB197_10:
	s_andn2_b64 vcc, exec, s[2:3]
	s_cbranch_vccz .LBB197_12
; %bb.11:
	s_endpgm
.LBB197_12:
	v_mov_b32_e32 v2, 0
	v_mov_b32_e32 v3, v2
	s_waitcnt vmcnt(0) lgkmcnt(0)
	global_store_dwordx4 v2, v[0:3], s[0:1]
	s_endpgm
	.section	.rodata,"a",@progbits
	.p2align	6, 0x0
	.amdhsa_kernel _ZN9rocsolver6v33100L11set_taubetaI19rocblas_complex_numIdEidPKPS3_EEvPT_lS8_T2_llPT1_ll
		.amdhsa_group_segment_fixed_size 0
		.amdhsa_private_segment_fixed_size 0
		.amdhsa_kernarg_size 72
		.amdhsa_user_sgpr_count 6
		.amdhsa_user_sgpr_private_segment_buffer 1
		.amdhsa_user_sgpr_dispatch_ptr 0
		.amdhsa_user_sgpr_queue_ptr 0
		.amdhsa_user_sgpr_kernarg_segment_ptr 1
		.amdhsa_user_sgpr_dispatch_id 0
		.amdhsa_user_sgpr_flat_scratch_init 0
		.amdhsa_user_sgpr_kernarg_preload_length 0
		.amdhsa_user_sgpr_kernarg_preload_offset 0
		.amdhsa_user_sgpr_private_segment_size 0
		.amdhsa_uses_dynamic_stack 0
		.amdhsa_system_sgpr_private_segment_wavefront_offset 0
		.amdhsa_system_sgpr_workgroup_id_x 1
		.amdhsa_system_sgpr_workgroup_id_y 0
		.amdhsa_system_sgpr_workgroup_id_z 0
		.amdhsa_system_sgpr_workgroup_info 0
		.amdhsa_system_vgpr_workitem_id 0
		.amdhsa_next_free_vgpr 16
		.amdhsa_next_free_sgpr 22
		.amdhsa_accum_offset 16
		.amdhsa_reserve_vcc 1
		.amdhsa_reserve_flat_scratch 0
		.amdhsa_float_round_mode_32 0
		.amdhsa_float_round_mode_16_64 0
		.amdhsa_float_denorm_mode_32 3
		.amdhsa_float_denorm_mode_16_64 3
		.amdhsa_dx10_clamp 1
		.amdhsa_ieee_mode 1
		.amdhsa_fp16_overflow 0
		.amdhsa_tg_split 0
		.amdhsa_exception_fp_ieee_invalid_op 0
		.amdhsa_exception_fp_denorm_src 0
		.amdhsa_exception_fp_ieee_div_zero 0
		.amdhsa_exception_fp_ieee_overflow 0
		.amdhsa_exception_fp_ieee_underflow 0
		.amdhsa_exception_fp_ieee_inexact 0
		.amdhsa_exception_int_div_zero 0
	.end_amdhsa_kernel
	.section	.text._ZN9rocsolver6v33100L11set_taubetaI19rocblas_complex_numIdEidPKPS3_EEvPT_lS8_T2_llPT1_ll,"axG",@progbits,_ZN9rocsolver6v33100L11set_taubetaI19rocblas_complex_numIdEidPKPS3_EEvPT_lS8_T2_llPT1_ll,comdat
.Lfunc_end197:
	.size	_ZN9rocsolver6v33100L11set_taubetaI19rocblas_complex_numIdEidPKPS3_EEvPT_lS8_T2_llPT1_ll, .Lfunc_end197-_ZN9rocsolver6v33100L11set_taubetaI19rocblas_complex_numIdEidPKPS3_EEvPT_lS8_T2_llPT1_ll
                                        ; -- End function
	.section	.AMDGPU.csdata,"",@progbits
; Kernel info:
; codeLenInByte = 980
; NumSgprs: 26
; NumVgprs: 16
; NumAgprs: 0
; TotalNumVgprs: 16
; ScratchSize: 0
; MemoryBound: 0
; FloatMode: 240
; IeeeMode: 1
; LDSByteSize: 0 bytes/workgroup (compile time only)
; SGPRBlocks: 3
; VGPRBlocks: 1
; NumSGPRsForWavesPerEU: 26
; NumVGPRsForWavesPerEU: 16
; AccumOffset: 16
; Occupancy: 8
; WaveLimiterHint : 1
; COMPUTE_PGM_RSRC2:SCRATCH_EN: 0
; COMPUTE_PGM_RSRC2:USER_SGPR: 6
; COMPUTE_PGM_RSRC2:TRAP_HANDLER: 0
; COMPUTE_PGM_RSRC2:TGID_X_EN: 1
; COMPUTE_PGM_RSRC2:TGID_Y_EN: 0
; COMPUTE_PGM_RSRC2:TGID_Z_EN: 0
; COMPUTE_PGM_RSRC2:TIDIG_COMP_CNT: 0
; COMPUTE_PGM_RSRC3_GFX90A:ACCUM_OFFSET: 3
; COMPUTE_PGM_RSRC3_GFX90A:TG_SPLIT: 0
	.section	.text._ZN9rocsolver6v33100L13conj_in_placeI19rocblas_complex_numIdEiPS3_TnNSt9enable_ifIX18rocblas_is_complexIT_EEiE4typeELi0EEEvT0_S9_T1_lS9_l,"axG",@progbits,_ZN9rocsolver6v33100L13conj_in_placeI19rocblas_complex_numIdEiPS3_TnNSt9enable_ifIX18rocblas_is_complexIT_EEiE4typeELi0EEEvT0_S9_T1_lS9_l,comdat
	.globl	_ZN9rocsolver6v33100L13conj_in_placeI19rocblas_complex_numIdEiPS3_TnNSt9enable_ifIX18rocblas_is_complexIT_EEiE4typeELi0EEEvT0_S9_T1_lS9_l ; -- Begin function _ZN9rocsolver6v33100L13conj_in_placeI19rocblas_complex_numIdEiPS3_TnNSt9enable_ifIX18rocblas_is_complexIT_EEiE4typeELi0EEEvT0_S9_T1_lS9_l
	.p2align	8
	.type	_ZN9rocsolver6v33100L13conj_in_placeI19rocblas_complex_numIdEiPS3_TnNSt9enable_ifIX18rocblas_is_complexIT_EEiE4typeELi0EEEvT0_S9_T1_lS9_l,@function
_ZN9rocsolver6v33100L13conj_in_placeI19rocblas_complex_numIdEiPS3_TnNSt9enable_ifIX18rocblas_is_complexIT_EEiE4typeELi0EEEvT0_S9_T1_lS9_l: ; @_ZN9rocsolver6v33100L13conj_in_placeI19rocblas_complex_numIdEiPS3_TnNSt9enable_ifIX18rocblas_is_complexIT_EEiE4typeELi0EEEvT0_S9_T1_lS9_l
; %bb.0:
	s_load_dword s2, s[4:5], 0x34
	s_load_dwordx2 s[0:1], s[4:5], 0x0
	v_and_b32_e32 v1, 0x3ff, v0
	v_bfe_u32 v0, v0, 10, 10
	s_waitcnt lgkmcnt(0)
	s_lshr_b32 s3, s2, 16
	s_and_b32 s2, s2, 0xffff
	s_mul_i32 s6, s6, s2
	s_mul_i32 s7, s7, s3
	v_add_u32_e32 v2, s6, v1
	v_add_u32_e32 v0, s7, v0
	v_cmp_gt_i32_e32 vcc, s0, v2
	v_cmp_gt_i32_e64 s[0:1], s1, v0
	s_and_b64 s[0:1], vcc, s[0:1]
	s_and_saveexec_b64 s[2:3], s[0:1]
	s_cbranch_execz .LBB198_2
; %bb.1:
	s_load_dwordx2 s[6:7], s[4:5], 0x20
	s_load_dwordx4 s[0:3], s[4:5], 0x8
	s_load_dword s9, s[4:5], 0x18
	s_ashr_i32 s4, s8, 31
	v_ashrrev_i32_e32 v3, 31, v2
	s_waitcnt lgkmcnt(0)
	s_mul_i32 s5, s8, s7
	s_mul_hi_u32 s7, s8, s6
	s_add_i32 s5, s7, s5
	s_mul_i32 s4, s4, s6
	s_add_i32 s5, s5, s4
	s_mul_i32 s4, s8, s6
	s_lshl_b64 s[4:5], s[4:5], 4
	s_add_u32 s4, s0, s4
	s_addc_u32 s5, s1, s5
	s_lshl_b64 s[0:1], s[2:3], 4
	s_add_u32 s2, s4, s0
	s_addc_u32 s3, s5, s1
	v_mad_i64_i32 v[0:1], s[0:1], v0, s9, 0
	v_lshlrev_b64 v[4:5], 4, v[0:1]
	v_mov_b32_e32 v1, s3
	v_add_co_u32_e32 v6, vcc, s2, v4
	v_addc_co_u32_e32 v1, vcc, v1, v5, vcc
	v_lshlrev_b64 v[4:5], 4, v[2:3]
	v_add_co_u32_e32 v4, vcc, v6, v4
	v_addc_co_u32_e32 v5, vcc, v1, v5, vcc
	global_load_dwordx4 v[4:7], v[4:5], off
	v_add_u32_e32 v0, v0, v2
	v_ashrrev_i32_e32 v1, 31, v0
	v_lshlrev_b64 v[0:1], 4, v[0:1]
	v_mov_b32_e32 v2, s3
	v_add_co_u32_e32 v0, vcc, s2, v0
	v_addc_co_u32_e32 v1, vcc, v2, v1, vcc
	s_waitcnt vmcnt(0)
	v_xor_b32_e32 v7, 0x80000000, v7
	global_store_dwordx4 v[0:1], v[4:7], off
.LBB198_2:
	s_endpgm
	.section	.rodata,"a",@progbits
	.p2align	6, 0x0
	.amdhsa_kernel _ZN9rocsolver6v33100L13conj_in_placeI19rocblas_complex_numIdEiPS3_TnNSt9enable_ifIX18rocblas_is_complexIT_EEiE4typeELi0EEEvT0_S9_T1_lS9_l
		.amdhsa_group_segment_fixed_size 0
		.amdhsa_private_segment_fixed_size 0
		.amdhsa_kernarg_size 296
		.amdhsa_user_sgpr_count 6
		.amdhsa_user_sgpr_private_segment_buffer 1
		.amdhsa_user_sgpr_dispatch_ptr 0
		.amdhsa_user_sgpr_queue_ptr 0
		.amdhsa_user_sgpr_kernarg_segment_ptr 1
		.amdhsa_user_sgpr_dispatch_id 0
		.amdhsa_user_sgpr_flat_scratch_init 0
		.amdhsa_user_sgpr_kernarg_preload_length 0
		.amdhsa_user_sgpr_kernarg_preload_offset 0
		.amdhsa_user_sgpr_private_segment_size 0
		.amdhsa_uses_dynamic_stack 0
		.amdhsa_system_sgpr_private_segment_wavefront_offset 0
		.amdhsa_system_sgpr_workgroup_id_x 1
		.amdhsa_system_sgpr_workgroup_id_y 1
		.amdhsa_system_sgpr_workgroup_id_z 1
		.amdhsa_system_sgpr_workgroup_info 0
		.amdhsa_system_vgpr_workitem_id 1
		.amdhsa_next_free_vgpr 8
		.amdhsa_next_free_sgpr 10
		.amdhsa_accum_offset 8
		.amdhsa_reserve_vcc 1
		.amdhsa_reserve_flat_scratch 0
		.amdhsa_float_round_mode_32 0
		.amdhsa_float_round_mode_16_64 0
		.amdhsa_float_denorm_mode_32 3
		.amdhsa_float_denorm_mode_16_64 3
		.amdhsa_dx10_clamp 1
		.amdhsa_ieee_mode 1
		.amdhsa_fp16_overflow 0
		.amdhsa_tg_split 0
		.amdhsa_exception_fp_ieee_invalid_op 0
		.amdhsa_exception_fp_denorm_src 0
		.amdhsa_exception_fp_ieee_div_zero 0
		.amdhsa_exception_fp_ieee_overflow 0
		.amdhsa_exception_fp_ieee_underflow 0
		.amdhsa_exception_fp_ieee_inexact 0
		.amdhsa_exception_int_div_zero 0
	.end_amdhsa_kernel
	.section	.text._ZN9rocsolver6v33100L13conj_in_placeI19rocblas_complex_numIdEiPS3_TnNSt9enable_ifIX18rocblas_is_complexIT_EEiE4typeELi0EEEvT0_S9_T1_lS9_l,"axG",@progbits,_ZN9rocsolver6v33100L13conj_in_placeI19rocblas_complex_numIdEiPS3_TnNSt9enable_ifIX18rocblas_is_complexIT_EEiE4typeELi0EEEvT0_S9_T1_lS9_l,comdat
.Lfunc_end198:
	.size	_ZN9rocsolver6v33100L13conj_in_placeI19rocblas_complex_numIdEiPS3_TnNSt9enable_ifIX18rocblas_is_complexIT_EEiE4typeELi0EEEvT0_S9_T1_lS9_l, .Lfunc_end198-_ZN9rocsolver6v33100L13conj_in_placeI19rocblas_complex_numIdEiPS3_TnNSt9enable_ifIX18rocblas_is_complexIT_EEiE4typeELi0EEEvT0_S9_T1_lS9_l
                                        ; -- End function
	.section	.AMDGPU.csdata,"",@progbits
; Kernel info:
; codeLenInByte = 276
; NumSgprs: 14
; NumVgprs: 8
; NumAgprs: 0
; TotalNumVgprs: 8
; ScratchSize: 0
; MemoryBound: 0
; FloatMode: 240
; IeeeMode: 1
; LDSByteSize: 0 bytes/workgroup (compile time only)
; SGPRBlocks: 1
; VGPRBlocks: 0
; NumSGPRsForWavesPerEU: 14
; NumVGPRsForWavesPerEU: 8
; AccumOffset: 8
; Occupancy: 8
; WaveLimiterHint : 0
; COMPUTE_PGM_RSRC2:SCRATCH_EN: 0
; COMPUTE_PGM_RSRC2:USER_SGPR: 6
; COMPUTE_PGM_RSRC2:TRAP_HANDLER: 0
; COMPUTE_PGM_RSRC2:TGID_X_EN: 1
; COMPUTE_PGM_RSRC2:TGID_Y_EN: 1
; COMPUTE_PGM_RSRC2:TGID_Z_EN: 1
; COMPUTE_PGM_RSRC2:TIDIG_COMP_CNT: 1
; COMPUTE_PGM_RSRC3_GFX90A:ACCUM_OFFSET: 1
; COMPUTE_PGM_RSRC3_GFX90A:TG_SPLIT: 0
	.section	.text._ZN9rocsolver6v33100L16larf_left_kernelILi1024E19rocblas_complex_numIdEiPKPS3_EEvT1_S7_T2_lS7_lPKT0_lS8_lS7_l,"axG",@progbits,_ZN9rocsolver6v33100L16larf_left_kernelILi1024E19rocblas_complex_numIdEiPKPS3_EEvT1_S7_T2_lS7_lPKT0_lS8_lS7_l,comdat
	.globl	_ZN9rocsolver6v33100L16larf_left_kernelILi1024E19rocblas_complex_numIdEiPKPS3_EEvT1_S7_T2_lS7_lPKT0_lS8_lS7_l ; -- Begin function _ZN9rocsolver6v33100L16larf_left_kernelILi1024E19rocblas_complex_numIdEiPKPS3_EEvT1_S7_T2_lS7_lPKT0_lS8_lS7_l
	.p2align	8
	.type	_ZN9rocsolver6v33100L16larf_left_kernelILi1024E19rocblas_complex_numIdEiPKPS3_EEvT1_S7_T2_lS7_lPKT0_lS8_lS7_l,@function
_ZN9rocsolver6v33100L16larf_left_kernelILi1024E19rocblas_complex_numIdEiPKPS3_EEvT1_S7_T2_lS7_lPKT0_lS8_lS7_l: ; @_ZN9rocsolver6v33100L16larf_left_kernelILi1024E19rocblas_complex_numIdEiPKPS3_EEvT1_S7_T2_lS7_lPKT0_lS8_lS7_l
; %bb.0:
	s_load_dwordx8 s[12:19], s[4:5], 0x28
	s_load_dword s22, s[4:5], 0x0
	s_load_dword s6, s[4:5], 0x48
	s_ashr_i32 s9, s8, 31
	s_lshl_b64 s[20:21], s[8:9], 3
	s_waitcnt lgkmcnt(0)
	s_add_u32 s0, s16, s20
	s_addc_u32 s1, s17, s21
	s_load_dwordx2 s[2:3], s[0:1], 0x0
	v_pk_mov_b32 v[2:3], 0, 0
	v_cmp_gt_i32_e64 s[0:1], s22, v0
	s_mov_b64 s[16:17], 0
	s_mul_hi_i32 s11, s7, s6
	s_mul_i32 s10, s7, s6
	v_pk_mov_b32 v[4:5], v[2:3], v[2:3] op_sel:[0,1]
	s_and_saveexec_b64 s[6:7], s[0:1]
	s_cbranch_execz .LBB199_6
; %bb.1:
	s_load_dword s28, s[4:5], 0x18
	s_load_dwordx4 s[24:27], s[4:5], 0x8
	s_sub_i32 s4, 1, s22
	v_lshl_add_u32 v1, v0, 4, 0
	v_add_u32_e32 v1, 0x100, v1
	s_waitcnt lgkmcnt(0)
	s_ashr_i32 s29, s28, 31
	s_mul_i32 s23, s4, s28
	v_cmp_lt_i64_e64 s[4:5], s[28:29], 1
	s_and_b64 s[4:5], s[4:5], exec
	s_cselect_b32 s4, s23, 0
	s_ashr_i32 s5, s4, 31
	s_add_u32 s20, s24, s20
	s_addc_u32 s21, s25, s21
	s_load_dwordx2 s[20:21], s[20:21], 0x0
	v_mad_i64_i32 v[2:3], s[24:25], s28, v0, 0
	s_lshl_b64 s[24:25], s[26:27], 4
	s_lshl_b64 s[4:5], s[4:5], 4
	s_waitcnt lgkmcnt(0)
	s_add_u32 s4, s20, s4
	s_addc_u32 s5, s21, s5
	s_add_u32 s4, s4, s24
	v_lshlrev_b64 v[2:3], 4, v[2:3]
	s_addc_u32 s5, s5, s25
	v_mov_b32_e32 v4, s5
	v_add_co_u32_e32 v2, vcc, s4, v2
	s_lshl_b64 s[4:5], s[28:29], 14
	v_addc_co_u32_e32 v3, vcc, v4, v3, vcc
	v_mov_b32_e32 v4, s5
	v_mov_b32_e32 v5, v1
	;; [unrolled: 1-line block ×3, first 2 shown]
.LBB199_2:                              ; =>This Inner Loop Header: Depth=1
	global_load_dwordx4 v[8:11], v[2:3], off
	v_add_co_u32_e32 v2, vcc, s4, v2
	v_add_u32_e32 v6, 0x400, v6
	v_addc_co_u32_e32 v3, vcc, v3, v4, vcc
	v_cmp_le_i32_e32 vcc, s22, v6
	s_or_b64 s[16:17], vcc, s[16:17]
	s_waitcnt vmcnt(0)
	ds_write2_b64 v5, v[8:9], v[10:11] offset1:1
	v_add_u32_e32 v5, 0x4000, v5
	s_andn2_b64 exec, exec, s[16:17]
	s_cbranch_execnz .LBB199_2
; %bb.3:
	s_or_b64 exec, exec, s[16:17]
	s_lshl_b64 s[4:5], s[10:11], 4
	s_lshl_b64 s[16:17], s[18:19], 4
	s_add_u32 s4, s4, s16
	s_addc_u32 s5, s5, s17
	s_add_u32 s4, s2, s4
	v_lshlrev_b32_e32 v2, 4, v0
	s_addc_u32 s5, s3, s5
	v_mov_b32_e32 v3, s5
	v_add_co_u32_e32 v2, vcc, s4, v2
	v_addc_co_u32_e32 v3, vcc, 0, v3, vcc
	v_add_co_u32_e32 v6, vcc, 8, v2
	v_addc_co_u32_e32 v7, vcc, 0, v3, vcc
	v_pk_mov_b32 v[2:3], 0, 0
	s_mov_b64 s[4:5], 0
	v_mov_b32_e32 v8, v0
	v_pk_mov_b32 v[4:5], v[2:3], v[2:3] op_sel:[0,1]
.LBB199_4:                              ; =>This Inner Loop Header: Depth=1
	global_load_dwordx4 v[10:13], v[6:7], off offset:-8
	ds_read2_b64 v[14:17], v1 offset1:1
	v_add_co_u32_e32 v6, vcc, 0x4000, v6
	v_add_u32_e32 v8, 0x400, v8
	v_addc_co_u32_e32 v7, vcc, 0, v7, vcc
	v_cmp_le_i32_e32 vcc, s22, v8
	v_add_u32_e32 v1, 0x4000, v1
	s_or_b64 s[4:5], vcc, s[4:5]
	s_waitcnt vmcnt(0) lgkmcnt(0)
	v_mul_f64 v[18:19], v[12:13], v[16:17]
	v_mul_f64 v[12:13], v[12:13], v[14:15]
	v_fmac_f64_e32 v[18:19], v[10:11], v[14:15]
	v_fma_f64 v[10:11], v[10:11], v[16:17], -v[12:13]
	v_add_f64 v[4:5], v[4:5], v[18:19]
	v_add_f64 v[2:3], v[2:3], v[10:11]
	s_andn2_b64 exec, exec, s[4:5]
	s_cbranch_execnz .LBB199_4
; %bb.5:
	s_or_b64 exec, exec, s[4:5]
.LBB199_6:
	s_or_b64 exec, exec, s[6:7]
	v_mbcnt_lo_u32_b32 v1, -1, 0
	v_mbcnt_hi_u32_b32 v1, -1, v1
	v_and_b32_e32 v10, 63, v1
	v_cmp_ne_u32_e32 vcc, 63, v10
	v_addc_co_u32_e32 v6, vcc, 0, v1, vcc
	v_lshlrev_b32_e32 v9, 2, v6
	ds_bpermute_b32 v6, v9, v4
	ds_bpermute_b32 v7, v9, v5
	;; [unrolled: 1-line block ×4, first 2 shown]
	v_cmp_gt_u32_e32 vcc, 62, v10
	s_waitcnt lgkmcnt(0)
	v_add_f64 v[4:5], v[4:5], v[6:7]
	v_cndmask_b32_e64 v6, 0, 1, vcc
	v_lshlrev_b32_e32 v6, 1, v6
	v_add_f64 v[2:3], v[2:3], v[8:9]
	v_add_lshl_u32 v9, v6, v1, 2
	ds_bpermute_b32 v6, v9, v4
	ds_bpermute_b32 v7, v9, v5
	ds_bpermute_b32 v8, v9, v2
	ds_bpermute_b32 v9, v9, v3
	v_cmp_gt_u32_e32 vcc, 60, v10
	s_waitcnt lgkmcnt(2)
	v_add_f64 v[4:5], v[4:5], v[6:7]
	v_cndmask_b32_e64 v6, 0, 1, vcc
	v_lshlrev_b32_e32 v6, 2, v6
	s_waitcnt lgkmcnt(0)
	v_add_f64 v[2:3], v[2:3], v[8:9]
	v_add_lshl_u32 v9, v6, v1, 2
	ds_bpermute_b32 v6, v9, v4
	ds_bpermute_b32 v7, v9, v5
	ds_bpermute_b32 v8, v9, v2
	ds_bpermute_b32 v9, v9, v3
	v_cmp_gt_u32_e32 vcc, 56, v10
	s_waitcnt lgkmcnt(2)
	v_add_f64 v[4:5], v[4:5], v[6:7]
	v_cndmask_b32_e64 v6, 0, 1, vcc
	v_lshlrev_b32_e32 v6, 3, v6
	s_waitcnt lgkmcnt(0)
	;; [unrolled: 12-line block ×3, first 2 shown]
	v_add_f64 v[2:3], v[2:3], v[8:9]
	v_add_lshl_u32 v9, v6, v1, 2
	ds_bpermute_b32 v6, v9, v4
	ds_bpermute_b32 v7, v9, v5
	;; [unrolled: 1-line block ×4, first 2 shown]
	v_cmp_gt_u32_e32 vcc, 32, v10
	s_waitcnt lgkmcnt(2)
	v_add_f64 v[4:5], v[4:5], v[6:7]
	s_waitcnt lgkmcnt(0)
	v_add_f64 v[6:7], v[2:3], v[8:9]
	v_cndmask_b32_e64 v2, 0, 1, vcc
	v_lshlrev_b32_e32 v2, 5, v2
	v_add_lshl_u32 v1, v2, v1, 2
	ds_bpermute_b32 v2, v1, v4
	ds_bpermute_b32 v3, v1, v5
	;; [unrolled: 1-line block ×4, first 2 shown]
	v_and_b32_e32 v1, 63, v0
	v_cmp_eq_u32_e32 vcc, 0, v1
	s_waitcnt lgkmcnt(2)
	v_add_f64 v[2:3], v[4:5], v[2:3]
	s_waitcnt lgkmcnt(0)
	v_add_f64 v[4:5], v[6:7], v[8:9]
	s_and_saveexec_b64 s[4:5], vcc
	s_cbranch_execz .LBB199_8
; %bb.7:
	v_lshrrev_b32_e32 v1, 2, v0
	v_add_u32_e32 v1, 0, v1
	ds_write2_b64 v1, v[2:3], v[4:5] offset1:1
.LBB199_8:
	s_or_b64 exec, exec, s[4:5]
	v_cmp_eq_u32_e32 vcc, 0, v0
	s_waitcnt lgkmcnt(0)
	s_barrier
	s_and_saveexec_b64 s[4:5], vcc
	s_cbranch_execz .LBB199_10
; %bb.9:
	v_mov_b32_e32 v1, 0
	ds_read2_b64 v[6:9], v1 offset0:2 offset1:3
	ds_read2_b64 v[10:13], v1 offset0:4 offset1:5
	;; [unrolled: 1-line block ×4, first 2 shown]
	s_waitcnt lgkmcnt(3)
	v_add_f64 v[2:3], v[2:3], v[6:7]
	v_add_f64 v[4:5], v[4:5], v[8:9]
	s_waitcnt lgkmcnt(2)
	v_add_f64 v[2:3], v[2:3], v[10:11]
	v_add_f64 v[6:7], v[4:5], v[12:13]
	s_waitcnt lgkmcnt(1)
	v_add_f64 v[8:9], v[2:3], v[14:15]
	ds_read2_b64 v[2:5], v1 offset0:10 offset1:11
	v_add_f64 v[10:11], v[6:7], v[16:17]
	s_waitcnt lgkmcnt(1)
	v_add_f64 v[12:13], v[8:9], v[18:19]
	ds_read2_b64 v[6:9], v1 offset0:12 offset1:13
	;; [unrolled: 4-line block ×8, first 2 shown]
	v_add_f64 v[12:13], v[14:15], v[12:13]
	s_waitcnt lgkmcnt(1)
	v_add_f64 v[10:11], v[10:11], v[2:3]
	v_add_f64 v[14:15], v[12:13], v[4:5]
	ds_read2_b64 v[2:5], v1 offset0:26 offset1:27
	s_waitcnt lgkmcnt(1)
	v_add_f64 v[16:17], v[10:11], v[6:7]
	ds_read2_b64 v[10:13], v1 offset0:28 offset1:29
	v_add_f64 v[14:15], v[14:15], v[8:9]
	ds_read2_b64 v[6:9], v1 offset0:30 offset1:31
	s_waitcnt lgkmcnt(2)
	v_add_f64 v[2:3], v[16:17], v[2:3]
	v_add_f64 v[4:5], v[14:15], v[4:5]
	s_waitcnt lgkmcnt(1)
	v_add_f64 v[2:3], v[2:3], v[10:11]
	v_add_f64 v[4:5], v[4:5], v[12:13]
	;; [unrolled: 3-line block ×3, first 2 shown]
	ds_write2_b64 v1, v[2:3], v[4:5] offset1:1
.LBB199_10:
	s_or_b64 exec, exec, s[4:5]
	s_waitcnt lgkmcnt(0)
	s_barrier
	s_and_saveexec_b64 s[4:5], s[0:1]
	s_cbranch_execz .LBB199_13
; %bb.11:
	s_mul_i32 s0, s8, s15
	s_mul_hi_u32 s1, s8, s14
	s_add_i32 s0, s1, s0
	s_mul_i32 s1, s9, s14
	s_add_i32 s1, s0, s1
	s_mul_i32 s0, s8, s14
	s_lshl_b64 s[0:1], s[0:1], 4
	s_add_u32 s0, s12, s0
	s_addc_u32 s1, s13, s1
	v_mov_b32_e32 v1, 0
	s_load_dwordx4 s[4:7], s[0:1], 0x0
	ds_read2_b64 v[4:7], v1 offset1:1
	s_lshl_b64 s[0:1], s[10:11], 4
	s_waitcnt lgkmcnt(0)
	v_mul_f64 v[2:3], s[6:7], v[6:7]
	v_fma_f64 v[2:3], v[4:5], -s[4:5], -v[2:3]
	v_mul_f64 v[4:5], s[6:7], v[4:5]
	v_fma_f64 v[4:5], s[4:5], v[6:7], -v[4:5]
	s_lshl_b64 s[4:5], s[18:19], 4
	s_add_u32 s0, s0, s4
	s_addc_u32 s1, s1, s5
	s_add_u32 s0, s2, s0
	v_lshlrev_b32_e32 v6, 4, v0
	s_addc_u32 s1, s3, s1
	v_add_u32_e32 v1, 0, v6
	v_mov_b32_e32 v7, s1
	v_add_co_u32_e32 v6, vcc, s0, v6
	v_addc_co_u32_e32 v7, vcc, 0, v7, vcc
	v_add_co_u32_e32 v6, vcc, 8, v6
	v_add_u32_e32 v1, 0x100, v1
	v_addc_co_u32_e32 v7, vcc, 0, v7, vcc
	s_mov_b64 s[0:1], 0
.LBB199_12:                             ; =>This Inner Loop Header: Depth=1
	global_load_dwordx4 v[8:11], v[6:7], off offset:-8
	ds_read2_b64 v[12:15], v1 offset1:1
	v_add_u32_e32 v0, 0x400, v0
	v_cmp_le_i32_e32 vcc, s22, v0
	s_or_b64 s[0:1], vcc, s[0:1]
	v_add_u32_e32 v1, 0x4000, v1
	s_waitcnt lgkmcnt(0)
	v_mul_f64 v[16:17], v[4:5], v[14:15]
	v_mul_f64 v[14:15], v[2:3], v[14:15]
	v_fma_f64 v[16:17], v[2:3], v[12:13], -v[16:17]
	v_fmac_f64_e32 v[14:15], v[4:5], v[12:13]
	s_waitcnt vmcnt(0)
	v_add_f64 v[8:9], v[8:9], v[16:17]
	v_add_f64 v[10:11], v[10:11], v[14:15]
	global_store_dwordx4 v[6:7], v[8:11], off offset:-8
	v_add_co_u32_e32 v6, vcc, 0x4000, v6
	v_addc_co_u32_e32 v7, vcc, 0, v7, vcc
	s_andn2_b64 exec, exec, s[0:1]
	s_cbranch_execnz .LBB199_12
.LBB199_13:
	s_endpgm
	.section	.rodata,"a",@progbits
	.p2align	6, 0x0
	.amdhsa_kernel _ZN9rocsolver6v33100L16larf_left_kernelILi1024E19rocblas_complex_numIdEiPKPS3_EEvT1_S7_T2_lS7_lPKT0_lS8_lS7_l
		.amdhsa_group_segment_fixed_size 0
		.amdhsa_private_segment_fixed_size 0
		.amdhsa_kernarg_size 88
		.amdhsa_user_sgpr_count 6
		.amdhsa_user_sgpr_private_segment_buffer 1
		.amdhsa_user_sgpr_dispatch_ptr 0
		.amdhsa_user_sgpr_queue_ptr 0
		.amdhsa_user_sgpr_kernarg_segment_ptr 1
		.amdhsa_user_sgpr_dispatch_id 0
		.amdhsa_user_sgpr_flat_scratch_init 0
		.amdhsa_user_sgpr_kernarg_preload_length 0
		.amdhsa_user_sgpr_kernarg_preload_offset 0
		.amdhsa_user_sgpr_private_segment_size 0
		.amdhsa_uses_dynamic_stack 0
		.amdhsa_system_sgpr_private_segment_wavefront_offset 0
		.amdhsa_system_sgpr_workgroup_id_x 1
		.amdhsa_system_sgpr_workgroup_id_y 1
		.amdhsa_system_sgpr_workgroup_id_z 1
		.amdhsa_system_sgpr_workgroup_info 0
		.amdhsa_system_vgpr_workitem_id 0
		.amdhsa_next_free_vgpr 22
		.amdhsa_next_free_sgpr 30
		.amdhsa_accum_offset 24
		.amdhsa_reserve_vcc 1
		.amdhsa_reserve_flat_scratch 0
		.amdhsa_float_round_mode_32 0
		.amdhsa_float_round_mode_16_64 0
		.amdhsa_float_denorm_mode_32 3
		.amdhsa_float_denorm_mode_16_64 3
		.amdhsa_dx10_clamp 1
		.amdhsa_ieee_mode 1
		.amdhsa_fp16_overflow 0
		.amdhsa_tg_split 0
		.amdhsa_exception_fp_ieee_invalid_op 0
		.amdhsa_exception_fp_denorm_src 0
		.amdhsa_exception_fp_ieee_div_zero 0
		.amdhsa_exception_fp_ieee_overflow 0
		.amdhsa_exception_fp_ieee_underflow 0
		.amdhsa_exception_fp_ieee_inexact 0
		.amdhsa_exception_int_div_zero 0
	.end_amdhsa_kernel
	.section	.text._ZN9rocsolver6v33100L16larf_left_kernelILi1024E19rocblas_complex_numIdEiPKPS3_EEvT1_S7_T2_lS7_lPKT0_lS8_lS7_l,"axG",@progbits,_ZN9rocsolver6v33100L16larf_left_kernelILi1024E19rocblas_complex_numIdEiPKPS3_EEvT1_S7_T2_lS7_lPKT0_lS8_lS7_l,comdat
.Lfunc_end199:
	.size	_ZN9rocsolver6v33100L16larf_left_kernelILi1024E19rocblas_complex_numIdEiPKPS3_EEvT1_S7_T2_lS7_lPKT0_lS8_lS7_l, .Lfunc_end199-_ZN9rocsolver6v33100L16larf_left_kernelILi1024E19rocblas_complex_numIdEiPKPS3_EEvT1_S7_T2_lS7_lPKT0_lS8_lS7_l
                                        ; -- End function
	.section	.AMDGPU.csdata,"",@progbits
; Kernel info:
; codeLenInByte = 1776
; NumSgprs: 34
; NumVgprs: 22
; NumAgprs: 0
; TotalNumVgprs: 22
; ScratchSize: 0
; MemoryBound: 0
; FloatMode: 240
; IeeeMode: 1
; LDSByteSize: 0 bytes/workgroup (compile time only)
; SGPRBlocks: 4
; VGPRBlocks: 2
; NumSGPRsForWavesPerEU: 34
; NumVGPRsForWavesPerEU: 22
; AccumOffset: 24
; Occupancy: 8
; WaveLimiterHint : 0
; COMPUTE_PGM_RSRC2:SCRATCH_EN: 0
; COMPUTE_PGM_RSRC2:USER_SGPR: 6
; COMPUTE_PGM_RSRC2:TRAP_HANDLER: 0
; COMPUTE_PGM_RSRC2:TGID_X_EN: 1
; COMPUTE_PGM_RSRC2:TGID_Y_EN: 1
; COMPUTE_PGM_RSRC2:TGID_Z_EN: 1
; COMPUTE_PGM_RSRC2:TIDIG_COMP_CNT: 0
; COMPUTE_PGM_RSRC3_GFX90A:ACCUM_OFFSET: 5
; COMPUTE_PGM_RSRC3_GFX90A:TG_SPLIT: 0
	.section	.text._ZN9rocsolver6v33100L17larf_right_kernelILi1024E19rocblas_complex_numIdEiPKPS3_EEvT1_S7_T2_lS7_lPKT0_lS8_lS7_l,"axG",@progbits,_ZN9rocsolver6v33100L17larf_right_kernelILi1024E19rocblas_complex_numIdEiPKPS3_EEvT1_S7_T2_lS7_lPKT0_lS8_lS7_l,comdat
	.globl	_ZN9rocsolver6v33100L17larf_right_kernelILi1024E19rocblas_complex_numIdEiPKPS3_EEvT1_S7_T2_lS7_lPKT0_lS8_lS7_l ; -- Begin function _ZN9rocsolver6v33100L17larf_right_kernelILi1024E19rocblas_complex_numIdEiPKPS3_EEvT1_S7_T2_lS7_lPKT0_lS8_lS7_l
	.p2align	8
	.type	_ZN9rocsolver6v33100L17larf_right_kernelILi1024E19rocblas_complex_numIdEiPKPS3_EEvT1_S7_T2_lS7_lPKT0_lS8_lS7_l,@function
_ZN9rocsolver6v33100L17larf_right_kernelILi1024E19rocblas_complex_numIdEiPKPS3_EEvT1_S7_T2_lS7_lPKT0_lS8_lS7_l: ; @_ZN9rocsolver6v33100L17larf_right_kernelILi1024E19rocblas_complex_numIdEiPKPS3_EEvT1_S7_T2_lS7_lPKT0_lS8_lS7_l
; %bb.0:
	s_load_dwordx8 s[12:19], s[4:5], 0x28
	s_load_dword s22, s[4:5], 0x4
	s_load_dword s2, s[4:5], 0x48
	s_ashr_i32 s9, s8, 31
	s_lshl_b64 s[0:1], s[8:9], 3
	s_waitcnt lgkmcnt(0)
	s_add_u32 s10, s16, s0
	s_addc_u32 s11, s17, s1
	s_load_dwordx2 s[10:11], s[10:11], 0x0
	v_pk_mov_b32 v[2:3], 0, 0
	s_mov_b32 s6, s7
	s_ashr_i32 s7, s7, 31
	v_cmp_gt_i32_e32 vcc, s22, v0
	s_mov_b64 s[20:21], 0
	v_lshl_add_u32 v1, v0, 4, 0
	v_pk_mov_b32 v[4:5], v[2:3], v[2:3] op_sel:[0,1]
	s_and_saveexec_b64 s[16:17], vcc
	s_cbranch_execz .LBB200_6
; %bb.1:
	s_load_dword s28, s[4:5], 0x18
	s_load_dwordx4 s[24:27], s[4:5], 0x8
	s_sub_i32 s3, 1, s22
	v_add_u32_e32 v8, 0x100, v1
	v_mov_b32_e32 v5, v8
	s_waitcnt lgkmcnt(0)
	s_ashr_i32 s29, s28, 31
	v_cmp_lt_i64_e64 s[4:5], s[28:29], 1
	s_mul_i32 s3, s3, s28
	s_and_b64 s[4:5], s[4:5], exec
	s_cselect_b32 s4, s3, 0
	s_ashr_i32 s5, s4, 31
	s_add_u32 s0, s24, s0
	s_addc_u32 s1, s25, s1
	s_load_dwordx2 s[0:1], s[0:1], 0x0
	v_mad_i64_i32 v[2:3], s[24:25], s28, v0, 0
	s_lshl_b64 s[24:25], s[26:27], 4
	s_lshl_b64 s[4:5], s[4:5], 4
	s_waitcnt lgkmcnt(0)
	s_add_u32 s0, s0, s4
	s_addc_u32 s1, s1, s5
	s_add_u32 s0, s0, s24
	v_lshlrev_b64 v[2:3], 4, v[2:3]
	s_addc_u32 s1, s1, s25
	v_mov_b32_e32 v4, s1
	v_add_co_u32_e64 v2, s[0:1], s0, v2
	s_lshl_b64 s[4:5], s[28:29], 14
	v_addc_co_u32_e64 v3, s[0:1], v4, v3, s[0:1]
	v_mov_b32_e32 v4, s5
	v_mov_b32_e32 v6, v0
.LBB200_2:                              ; =>This Inner Loop Header: Depth=1
	global_load_dwordx4 v[10:13], v[2:3], off
	v_add_co_u32_e64 v2, s[0:1], s4, v2
	v_add_u32_e32 v6, 0x400, v6
	v_addc_co_u32_e64 v3, s[0:1], v3, v4, s[0:1]
	v_cmp_le_i32_e64 s[0:1], s22, v6
	s_or_b64 s[20:21], s[0:1], s[20:21]
	s_waitcnt vmcnt(0)
	ds_write2_b64 v5, v[10:11], v[12:13] offset1:1
	v_add_u32_e32 v5, 0x4000, v5
	s_andn2_b64 exec, exec, s[20:21]
	s_cbranch_execnz .LBB200_2
; %bb.3:
	s_or_b64 exec, exec, s[20:21]
	v_mad_i64_i32 v[2:3], s[0:1], s2, v0, 0
	s_ashr_i32 s3, s2, 31
	s_lshl_b64 s[0:1], s[18:19], 4
	s_lshl_b64 s[4:5], s[6:7], 4
	s_add_u32 s4, s10, s4
	s_addc_u32 s5, s11, s5
	s_add_u32 s0, s4, s0
	v_lshlrev_b64 v[2:3], 4, v[2:3]
	s_addc_u32 s1, s5, s1
	v_mov_b32_e32 v4, s1
	v_add_co_u32_e64 v2, s[0:1], s0, v2
	v_addc_co_u32_e64 v3, s[0:1], v4, v3, s[0:1]
	v_add_co_u32_e64 v6, s[0:1], 8, v2
	v_addc_co_u32_e64 v7, s[0:1], 0, v3, s[0:1]
	s_lshl_b64 s[20:21], s[2:3], 14
	v_pk_mov_b32 v[2:3], 0, 0
	s_mov_b64 s[4:5], 0
	v_mov_b32_e32 v9, s21
	v_mov_b32_e32 v10, v0
	v_pk_mov_b32 v[4:5], v[2:3], v[2:3] op_sel:[0,1]
.LBB200_4:                              ; =>This Inner Loop Header: Depth=1
	global_load_dwordx4 v[12:15], v[6:7], off offset:-8
	ds_read2_b64 v[16:19], v8 offset1:1
	v_add_co_u32_e64 v6, s[0:1], s20, v6
	v_add_u32_e32 v10, 0x400, v10
	v_addc_co_u32_e64 v7, s[0:1], v7, v9, s[0:1]
	v_cmp_le_i32_e64 s[0:1], s22, v10
	v_add_u32_e32 v8, 0x4000, v8
	s_or_b64 s[4:5], s[0:1], s[4:5]
	s_waitcnt vmcnt(0) lgkmcnt(0)
	v_mul_f64 v[20:21], v[18:19], v[14:15]
	v_mul_f64 v[14:15], v[16:17], v[14:15]
	v_fma_f64 v[16:17], v[16:17], v[12:13], -v[20:21]
	v_fmac_f64_e32 v[14:15], v[18:19], v[12:13]
	v_add_f64 v[4:5], v[4:5], v[16:17]
	v_add_f64 v[2:3], v[2:3], v[14:15]
	s_andn2_b64 exec, exec, s[4:5]
	s_cbranch_execnz .LBB200_4
; %bb.5:
	s_or_b64 exec, exec, s[4:5]
.LBB200_6:
	s_or_b64 exec, exec, s[16:17]
	v_mbcnt_lo_u32_b32 v6, -1, 0
	v_mbcnt_hi_u32_b32 v10, -1, v6
	v_and_b32_e32 v11, 63, v10
	v_cmp_ne_u32_e64 s[0:1], 63, v11
	v_addc_co_u32_e64 v6, s[0:1], 0, v10, s[0:1]
	v_lshlrev_b32_e32 v9, 2, v6
	ds_bpermute_b32 v6, v9, v4
	ds_bpermute_b32 v7, v9, v5
	;; [unrolled: 1-line block ×4, first 2 shown]
	v_cmp_gt_u32_e64 s[0:1], 62, v11
	s_waitcnt lgkmcnt(0)
	v_add_f64 v[4:5], v[4:5], v[6:7]
	v_cndmask_b32_e64 v6, 0, 1, s[0:1]
	v_lshlrev_b32_e32 v6, 1, v6
	v_add_f64 v[2:3], v[2:3], v[8:9]
	v_add_lshl_u32 v9, v6, v10, 2
	ds_bpermute_b32 v6, v9, v4
	ds_bpermute_b32 v7, v9, v5
	ds_bpermute_b32 v8, v9, v2
	ds_bpermute_b32 v9, v9, v3
	v_cmp_gt_u32_e64 s[0:1], 60, v11
	s_waitcnt lgkmcnt(2)
	v_add_f64 v[4:5], v[4:5], v[6:7]
	v_cndmask_b32_e64 v6, 0, 1, s[0:1]
	v_lshlrev_b32_e32 v6, 2, v6
	s_waitcnt lgkmcnt(0)
	v_add_f64 v[2:3], v[2:3], v[8:9]
	v_add_lshl_u32 v9, v6, v10, 2
	ds_bpermute_b32 v6, v9, v4
	ds_bpermute_b32 v7, v9, v5
	ds_bpermute_b32 v8, v9, v2
	ds_bpermute_b32 v9, v9, v3
	v_cmp_gt_u32_e64 s[0:1], 56, v11
	s_waitcnt lgkmcnt(2)
	v_add_f64 v[4:5], v[4:5], v[6:7]
	v_cndmask_b32_e64 v6, 0, 1, s[0:1]
	v_lshlrev_b32_e32 v6, 3, v6
	s_waitcnt lgkmcnt(0)
	;; [unrolled: 12-line block ×3, first 2 shown]
	v_add_f64 v[2:3], v[2:3], v[8:9]
	v_add_lshl_u32 v9, v6, v10, 2
	ds_bpermute_b32 v6, v9, v4
	ds_bpermute_b32 v7, v9, v5
	;; [unrolled: 1-line block ×4, first 2 shown]
	v_cmp_gt_u32_e64 s[0:1], 32, v11
	s_waitcnt lgkmcnt(2)
	v_add_f64 v[4:5], v[4:5], v[6:7]
	s_waitcnt lgkmcnt(0)
	v_add_f64 v[6:7], v[2:3], v[8:9]
	v_cndmask_b32_e64 v2, 0, 1, s[0:1]
	v_lshlrev_b32_e32 v2, 5, v2
	v_add_lshl_u32 v9, v2, v10, 2
	ds_bpermute_b32 v2, v9, v4
	ds_bpermute_b32 v3, v9, v5
	;; [unrolled: 1-line block ×4, first 2 shown]
	s_waitcnt lgkmcnt(2)
	v_add_f64 v[2:3], v[4:5], v[2:3]
	s_waitcnt lgkmcnt(0)
	v_add_f64 v[4:5], v[6:7], v[8:9]
	v_and_b32_e32 v6, 63, v0
	v_cmp_eq_u32_e64 s[0:1], 0, v6
	s_and_saveexec_b64 s[4:5], s[0:1]
	s_cbranch_execz .LBB200_8
; %bb.7:
	v_lshrrev_b32_e32 v6, 2, v0
	v_add_u32_e32 v6, 0, v6
	ds_write2_b64 v6, v[2:3], v[4:5] offset1:1
.LBB200_8:
	s_or_b64 exec, exec, s[4:5]
	v_cmp_eq_u32_e64 s[0:1], 0, v0
	s_waitcnt lgkmcnt(0)
	s_barrier
	s_and_saveexec_b64 s[4:5], s[0:1]
	s_cbranch_execz .LBB200_10
; %bb.9:
	v_mov_b32_e32 v22, 0
	ds_read2_b64 v[6:9], v22 offset0:2 offset1:3
	ds_read2_b64 v[10:13], v22 offset0:4 offset1:5
	;; [unrolled: 1-line block ×4, first 2 shown]
	s_waitcnt lgkmcnt(3)
	v_add_f64 v[2:3], v[2:3], v[6:7]
	v_add_f64 v[4:5], v[4:5], v[8:9]
	s_waitcnt lgkmcnt(2)
	v_add_f64 v[2:3], v[2:3], v[10:11]
	v_add_f64 v[6:7], v[4:5], v[12:13]
	s_waitcnt lgkmcnt(1)
	v_add_f64 v[8:9], v[2:3], v[14:15]
	ds_read2_b64 v[2:5], v22 offset0:10 offset1:11
	v_add_f64 v[10:11], v[6:7], v[16:17]
	s_waitcnt lgkmcnt(1)
	v_add_f64 v[12:13], v[8:9], v[18:19]
	ds_read2_b64 v[6:9], v22 offset0:12 offset1:13
	;; [unrolled: 4-line block ×8, first 2 shown]
	v_add_f64 v[12:13], v[14:15], v[12:13]
	s_waitcnt lgkmcnt(1)
	v_add_f64 v[10:11], v[10:11], v[2:3]
	v_add_f64 v[14:15], v[12:13], v[4:5]
	ds_read2_b64 v[2:5], v22 offset0:26 offset1:27
	s_waitcnt lgkmcnt(1)
	v_add_f64 v[16:17], v[10:11], v[6:7]
	ds_read2_b64 v[10:13], v22 offset0:28 offset1:29
	v_add_f64 v[14:15], v[14:15], v[8:9]
	ds_read2_b64 v[6:9], v22 offset0:30 offset1:31
	s_waitcnt lgkmcnt(2)
	v_add_f64 v[2:3], v[16:17], v[2:3]
	v_add_f64 v[4:5], v[14:15], v[4:5]
	s_waitcnt lgkmcnt(1)
	v_add_f64 v[2:3], v[2:3], v[10:11]
	v_add_f64 v[4:5], v[4:5], v[12:13]
	;; [unrolled: 3-line block ×3, first 2 shown]
	ds_write2_b64 v22, v[2:3], v[4:5] offset1:1
.LBB200_10:
	s_or_b64 exec, exec, s[4:5]
	s_waitcnt lgkmcnt(0)
	s_barrier
	s_and_saveexec_b64 s[0:1], vcc
	s_cbranch_execz .LBB200_13
; %bb.11:
	s_mul_i32 s0, s8, s15
	s_mul_hi_u32 s1, s8, s14
	s_add_i32 s0, s1, s0
	s_mul_i32 s1, s9, s14
	s_add_i32 s1, s0, s1
	s_mul_i32 s0, s8, s14
	s_lshl_b64 s[0:1], s[0:1], 4
	s_add_u32 s0, s12, s0
	s_addc_u32 s1, s13, s1
	v_mov_b32_e32 v2, 0
	s_load_dwordx4 s[12:15], s[0:1], 0x0
	ds_read2_b64 v[4:7], v2 offset1:1
	s_ashr_i32 s3, s2, 31
	s_lshl_b64 s[4:5], s[6:7], 4
	v_add_u32_e32 v1, 0x100, v1
	s_waitcnt lgkmcnt(0)
	v_mul_f64 v[2:3], s[12:13], v[4:5]
	v_fma_f64 v[2:3], s[14:15], v[6:7], -v[2:3]
	v_mul_f64 v[6:7], s[12:13], v[6:7]
	v_fma_f64 v[4:5], v[4:5], -s[14:15], -v[6:7]
	v_mad_i64_i32 v[6:7], s[0:1], s2, v0, 0
	s_lshl_b64 s[0:1], s[18:19], 4
	s_add_u32 s4, s10, s4
	s_addc_u32 s5, s11, s5
	s_add_u32 s0, s4, s0
	v_lshlrev_b64 v[6:7], 4, v[6:7]
	s_addc_u32 s1, s5, s1
	v_mov_b32_e32 v8, s1
	v_add_co_u32_e32 v6, vcc, s0, v6
	v_addc_co_u32_e32 v7, vcc, v8, v7, vcc
	v_add_co_u32_e32 v6, vcc, 8, v6
	s_lshl_b64 s[0:1], s[2:3], 14
	v_addc_co_u32_e32 v7, vcc, 0, v7, vcc
	s_mov_b64 s[2:3], 0
	v_mov_b32_e32 v8, s1
.LBB200_12:                             ; =>This Inner Loop Header: Depth=1
	global_load_dwordx4 v[10:13], v[6:7], off offset:-8
	ds_read2_b64 v[14:17], v1 offset1:1
	v_add_u32_e32 v0, 0x400, v0
	v_cmp_le_i32_e32 vcc, s22, v0
	s_or_b64 s[2:3], vcc, s[2:3]
	v_add_u32_e32 v1, 0x4000, v1
	s_waitcnt lgkmcnt(0)
	v_mul_f64 v[18:19], v[4:5], v[16:17]
	v_mul_f64 v[16:17], v[2:3], v[16:17]
	v_fmac_f64_e32 v[18:19], v[2:3], v[14:15]
	v_fma_f64 v[14:15], v[4:5], v[14:15], -v[16:17]
	s_waitcnt vmcnt(0)
	v_add_f64 v[10:11], v[10:11], v[18:19]
	v_add_f64 v[12:13], v[12:13], v[14:15]
	global_store_dwordx4 v[6:7], v[10:13], off offset:-8
	v_add_co_u32_e32 v6, vcc, s0, v6
	v_addc_co_u32_e32 v7, vcc, v7, v8, vcc
	s_andn2_b64 exec, exec, s[2:3]
	s_cbranch_execnz .LBB200_12
.LBB200_13:
	s_endpgm
	.section	.rodata,"a",@progbits
	.p2align	6, 0x0
	.amdhsa_kernel _ZN9rocsolver6v33100L17larf_right_kernelILi1024E19rocblas_complex_numIdEiPKPS3_EEvT1_S7_T2_lS7_lPKT0_lS8_lS7_l
		.amdhsa_group_segment_fixed_size 0
		.amdhsa_private_segment_fixed_size 0
		.amdhsa_kernarg_size 88
		.amdhsa_user_sgpr_count 6
		.amdhsa_user_sgpr_private_segment_buffer 1
		.amdhsa_user_sgpr_dispatch_ptr 0
		.amdhsa_user_sgpr_queue_ptr 0
		.amdhsa_user_sgpr_kernarg_segment_ptr 1
		.amdhsa_user_sgpr_dispatch_id 0
		.amdhsa_user_sgpr_flat_scratch_init 0
		.amdhsa_user_sgpr_kernarg_preload_length 0
		.amdhsa_user_sgpr_kernarg_preload_offset 0
		.amdhsa_user_sgpr_private_segment_size 0
		.amdhsa_uses_dynamic_stack 0
		.amdhsa_system_sgpr_private_segment_wavefront_offset 0
		.amdhsa_system_sgpr_workgroup_id_x 1
		.amdhsa_system_sgpr_workgroup_id_y 1
		.amdhsa_system_sgpr_workgroup_id_z 1
		.amdhsa_system_sgpr_workgroup_info 0
		.amdhsa_system_vgpr_workitem_id 0
		.amdhsa_next_free_vgpr 23
		.amdhsa_next_free_sgpr 30
		.amdhsa_accum_offset 24
		.amdhsa_reserve_vcc 1
		.amdhsa_reserve_flat_scratch 0
		.amdhsa_float_round_mode_32 0
		.amdhsa_float_round_mode_16_64 0
		.amdhsa_float_denorm_mode_32 3
		.amdhsa_float_denorm_mode_16_64 3
		.amdhsa_dx10_clamp 1
		.amdhsa_ieee_mode 1
		.amdhsa_fp16_overflow 0
		.amdhsa_tg_split 0
		.amdhsa_exception_fp_ieee_invalid_op 0
		.amdhsa_exception_fp_denorm_src 0
		.amdhsa_exception_fp_ieee_div_zero 0
		.amdhsa_exception_fp_ieee_overflow 0
		.amdhsa_exception_fp_ieee_underflow 0
		.amdhsa_exception_fp_ieee_inexact 0
		.amdhsa_exception_int_div_zero 0
	.end_amdhsa_kernel
	.section	.text._ZN9rocsolver6v33100L17larf_right_kernelILi1024E19rocblas_complex_numIdEiPKPS3_EEvT1_S7_T2_lS7_lPKT0_lS8_lS7_l,"axG",@progbits,_ZN9rocsolver6v33100L17larf_right_kernelILi1024E19rocblas_complex_numIdEiPKPS3_EEvT1_S7_T2_lS7_lPKT0_lS8_lS7_l,comdat
.Lfunc_end200:
	.size	_ZN9rocsolver6v33100L17larf_right_kernelILi1024E19rocblas_complex_numIdEiPKPS3_EEvT1_S7_T2_lS7_lPKT0_lS8_lS7_l, .Lfunc_end200-_ZN9rocsolver6v33100L17larf_right_kernelILi1024E19rocblas_complex_numIdEiPKPS3_EEvT1_S7_T2_lS7_lPKT0_lS8_lS7_l
                                        ; -- End function
	.section	.AMDGPU.csdata,"",@progbits
; Kernel info:
; codeLenInByte = 1892
; NumSgprs: 34
; NumVgprs: 23
; NumAgprs: 0
; TotalNumVgprs: 23
; ScratchSize: 0
; MemoryBound: 0
; FloatMode: 240
; IeeeMode: 1
; LDSByteSize: 0 bytes/workgroup (compile time only)
; SGPRBlocks: 4
; VGPRBlocks: 2
; NumSGPRsForWavesPerEU: 34
; NumVGPRsForWavesPerEU: 23
; AccumOffset: 24
; Occupancy: 8
; WaveLimiterHint : 0
; COMPUTE_PGM_RSRC2:SCRATCH_EN: 0
; COMPUTE_PGM_RSRC2:USER_SGPR: 6
; COMPUTE_PGM_RSRC2:TRAP_HANDLER: 0
; COMPUTE_PGM_RSRC2:TGID_X_EN: 1
; COMPUTE_PGM_RSRC2:TGID_Y_EN: 1
; COMPUTE_PGM_RSRC2:TGID_Z_EN: 1
; COMPUTE_PGM_RSRC2:TIDIG_COMP_CNT: 0
; COMPUTE_PGM_RSRC3_GFX90A:ACCUM_OFFSET: 5
; COMPUTE_PGM_RSRC3_GFX90A:TG_SPLIT: 0
	.section	.text._ZN9rocsolver6v33100L9get_arrayI19rocblas_complex_numIdEiEEvPPT_S5_lT0_,"axG",@progbits,_ZN9rocsolver6v33100L9get_arrayI19rocblas_complex_numIdEiEEvPPT_S5_lT0_,comdat
	.globl	_ZN9rocsolver6v33100L9get_arrayI19rocblas_complex_numIdEiEEvPPT_S5_lT0_ ; -- Begin function _ZN9rocsolver6v33100L9get_arrayI19rocblas_complex_numIdEiEEvPPT_S5_lT0_
	.p2align	8
	.type	_ZN9rocsolver6v33100L9get_arrayI19rocblas_complex_numIdEiEEvPPT_S5_lT0_,@function
_ZN9rocsolver6v33100L9get_arrayI19rocblas_complex_numIdEiEEvPPT_S5_lT0_: ; @_ZN9rocsolver6v33100L9get_arrayI19rocblas_complex_numIdEiEEvPPT_S5_lT0_
; %bb.0:
	s_load_dword s0, s[4:5], 0x2c
	s_load_dword s1, s[4:5], 0x18
	s_waitcnt lgkmcnt(0)
	s_and_b32 s0, s0, 0xffff
	s_mul_i32 s6, s6, s0
	v_add_u32_e32 v0, s6, v0
	v_cmp_gt_i32_e32 vcc, s1, v0
	s_and_saveexec_b64 s[0:1], vcc
	s_cbranch_execz .LBB201_2
; %bb.1:
	s_load_dwordx2 s[6:7], s[4:5], 0x10
	s_load_dwordx4 s[0:3], s[4:5], 0x0
	v_ashrrev_i32_e32 v1, 31, v0
	s_waitcnt lgkmcnt(0)
	v_mul_lo_u32 v4, v0, s7
	v_mul_lo_u32 v5, v1, s6
	v_mad_u64_u32 v[2:3], s[4:5], v0, s6, 0
	v_add3_u32 v3, v3, v4, v5
	v_lshlrev_b64 v[2:3], 4, v[2:3]
	v_mov_b32_e32 v4, s3
	v_add_co_u32_e32 v2, vcc, s2, v2
	v_addc_co_u32_e32 v3, vcc, v4, v3, vcc
	v_lshlrev_b64 v[0:1], 3, v[0:1]
	v_mov_b32_e32 v4, s1
	v_add_co_u32_e32 v0, vcc, s0, v0
	v_addc_co_u32_e32 v1, vcc, v4, v1, vcc
	global_store_dwordx2 v[0:1], v[2:3], off
.LBB201_2:
	s_endpgm
	.section	.rodata,"a",@progbits
	.p2align	6, 0x0
	.amdhsa_kernel _ZN9rocsolver6v33100L9get_arrayI19rocblas_complex_numIdEiEEvPPT_S5_lT0_
		.amdhsa_group_segment_fixed_size 0
		.amdhsa_private_segment_fixed_size 0
		.amdhsa_kernarg_size 288
		.amdhsa_user_sgpr_count 6
		.amdhsa_user_sgpr_private_segment_buffer 1
		.amdhsa_user_sgpr_dispatch_ptr 0
		.amdhsa_user_sgpr_queue_ptr 0
		.amdhsa_user_sgpr_kernarg_segment_ptr 1
		.amdhsa_user_sgpr_dispatch_id 0
		.amdhsa_user_sgpr_flat_scratch_init 0
		.amdhsa_user_sgpr_kernarg_preload_length 0
		.amdhsa_user_sgpr_kernarg_preload_offset 0
		.amdhsa_user_sgpr_private_segment_size 0
		.amdhsa_uses_dynamic_stack 0
		.amdhsa_system_sgpr_private_segment_wavefront_offset 0
		.amdhsa_system_sgpr_workgroup_id_x 1
		.amdhsa_system_sgpr_workgroup_id_y 0
		.amdhsa_system_sgpr_workgroup_id_z 0
		.amdhsa_system_sgpr_workgroup_info 0
		.amdhsa_system_vgpr_workitem_id 0
		.amdhsa_next_free_vgpr 6
		.amdhsa_next_free_sgpr 8
		.amdhsa_accum_offset 8
		.amdhsa_reserve_vcc 1
		.amdhsa_reserve_flat_scratch 0
		.amdhsa_float_round_mode_32 0
		.amdhsa_float_round_mode_16_64 0
		.amdhsa_float_denorm_mode_32 3
		.amdhsa_float_denorm_mode_16_64 3
		.amdhsa_dx10_clamp 1
		.amdhsa_ieee_mode 1
		.amdhsa_fp16_overflow 0
		.amdhsa_tg_split 0
		.amdhsa_exception_fp_ieee_invalid_op 0
		.amdhsa_exception_fp_denorm_src 0
		.amdhsa_exception_fp_ieee_div_zero 0
		.amdhsa_exception_fp_ieee_overflow 0
		.amdhsa_exception_fp_ieee_underflow 0
		.amdhsa_exception_fp_ieee_inexact 0
		.amdhsa_exception_int_div_zero 0
	.end_amdhsa_kernel
	.section	.text._ZN9rocsolver6v33100L9get_arrayI19rocblas_complex_numIdEiEEvPPT_S5_lT0_,"axG",@progbits,_ZN9rocsolver6v33100L9get_arrayI19rocblas_complex_numIdEiEEvPPT_S5_lT0_,comdat
.Lfunc_end201:
	.size	_ZN9rocsolver6v33100L9get_arrayI19rocblas_complex_numIdEiEEvPPT_S5_lT0_, .Lfunc_end201-_ZN9rocsolver6v33100L9get_arrayI19rocblas_complex_numIdEiEEvPPT_S5_lT0_
                                        ; -- End function
	.section	.AMDGPU.csdata,"",@progbits
; Kernel info:
; codeLenInByte = 156
; NumSgprs: 12
; NumVgprs: 6
; NumAgprs: 0
; TotalNumVgprs: 6
; ScratchSize: 0
; MemoryBound: 0
; FloatMode: 240
; IeeeMode: 1
; LDSByteSize: 0 bytes/workgroup (compile time only)
; SGPRBlocks: 1
; VGPRBlocks: 0
; NumSGPRsForWavesPerEU: 12
; NumVGPRsForWavesPerEU: 6
; AccumOffset: 8
; Occupancy: 8
; WaveLimiterHint : 0
; COMPUTE_PGM_RSRC2:SCRATCH_EN: 0
; COMPUTE_PGM_RSRC2:USER_SGPR: 6
; COMPUTE_PGM_RSRC2:TRAP_HANDLER: 0
; COMPUTE_PGM_RSRC2:TGID_X_EN: 1
; COMPUTE_PGM_RSRC2:TGID_Y_EN: 0
; COMPUTE_PGM_RSRC2:TGID_Z_EN: 0
; COMPUTE_PGM_RSRC2:TIDIG_COMP_CNT: 0
; COMPUTE_PGM_RSRC3_GFX90A:ACCUM_OFFSET: 1
; COMPUTE_PGM_RSRC3_GFX90A:TG_SPLIT: 0
	.section	.text._ZN9rocsolver6v33100L12restore_diagI19rocblas_complex_numIdEidPKPS3_EEvPT1_llT2_lT0_lSA_,"axG",@progbits,_ZN9rocsolver6v33100L12restore_diagI19rocblas_complex_numIdEidPKPS3_EEvPT1_llT2_lT0_lSA_,comdat
	.globl	_ZN9rocsolver6v33100L12restore_diagI19rocblas_complex_numIdEidPKPS3_EEvPT1_llT2_lT0_lSA_ ; -- Begin function _ZN9rocsolver6v33100L12restore_diagI19rocblas_complex_numIdEidPKPS3_EEvPT1_llT2_lT0_lSA_
	.p2align	8
	.type	_ZN9rocsolver6v33100L12restore_diagI19rocblas_complex_numIdEidPKPS3_EEvPT1_llT2_lT0_lSA_,@function
_ZN9rocsolver6v33100L12restore_diagI19rocblas_complex_numIdEidPKPS3_EEvPT1_llT2_lT0_lSA_: ; @_ZN9rocsolver6v33100L12restore_diagI19rocblas_complex_numIdEidPKPS3_EEvPT1_llT2_lT0_lSA_
; %bb.0:
	s_load_dword s0, s[4:5], 0x4c
	s_load_dword s1, s[4:5], 0x38
	v_bfe_u32 v0, v0, 10, 10
	s_waitcnt lgkmcnt(0)
	s_lshr_b32 s0, s0, 16
	s_mul_i32 s7, s7, s0
	v_add_u32_e32 v0, s7, v0
	v_cmp_gt_i32_e32 vcc, s1, v0
	s_and_saveexec_b64 s[0:1], vcc
	s_cbranch_execz .LBB202_2
; %bb.1:
	s_load_dwordx8 s[8:15], s[4:5], 0x0
	s_ashr_i32 s7, s6, 31
	s_lshl_b64 s[0:1], s[6:7], 3
	s_waitcnt lgkmcnt(0)
	s_add_u32 s0, s14, s0
	s_addc_u32 s1, s15, s1
	s_load_dwordx2 s[2:3], s[4:5], 0x20
	s_load_dwordx2 s[14:15], s[0:1], 0x0
	s_load_dword s16, s[4:5], 0x28
	s_mul_i32 s4, s6, s13
	s_mul_hi_u32 s5, s6, s12
	s_waitcnt lgkmcnt(0)
	s_lshl_b64 s[0:1], s[2:3], 4
	s_add_u32 s2, s14, s0
	s_addc_u32 s3, s15, s1
	s_add_i32 s0, s5, s4
	s_mul_i32 s1, s7, s12
	s_add_i32 s1, s0, s1
	s_mul_i32 s0, s6, s12
	s_lshl_b64 s[0:1], s[0:1], 3
	s_add_u32 s4, s8, s0
	s_addc_u32 s5, s9, s1
	s_lshl_b64 s[0:1], s[10:11], 3
	s_add_u32 s4, s4, s0
	s_addc_u32 s5, s5, s1
	v_mad_u64_u32 v[2:3], s[0:1], v0, s16, v[0:1]
	v_ashrrev_i32_e32 v1, 31, v0
	v_lshlrev_b64 v[0:1], 3, v[0:1]
	v_mov_b32_e32 v3, s5
	v_add_co_u32_e32 v0, vcc, s4, v0
	v_addc_co_u32_e32 v1, vcc, v3, v1, vcc
	global_load_dwordx2 v[0:1], v[0:1], off
	v_ashrrev_i32_e32 v3, 31, v2
	v_lshlrev_b64 v[2:3], 4, v[2:3]
	v_mov_b32_e32 v5, s3
	v_add_co_u32_e32 v4, vcc, s2, v2
	v_mov_b32_e32 v2, 0
	v_addc_co_u32_e32 v5, vcc, v5, v3, vcc
	v_mov_b32_e32 v3, v2
	s_waitcnt vmcnt(0)
	global_store_dwordx4 v[4:5], v[0:3], off
.LBB202_2:
	s_endpgm
	.section	.rodata,"a",@progbits
	.p2align	6, 0x0
	.amdhsa_kernel _ZN9rocsolver6v33100L12restore_diagI19rocblas_complex_numIdEidPKPS3_EEvPT1_llT2_lT0_lSA_
		.amdhsa_group_segment_fixed_size 0
		.amdhsa_private_segment_fixed_size 0
		.amdhsa_kernarg_size 320
		.amdhsa_user_sgpr_count 6
		.amdhsa_user_sgpr_private_segment_buffer 1
		.amdhsa_user_sgpr_dispatch_ptr 0
		.amdhsa_user_sgpr_queue_ptr 0
		.amdhsa_user_sgpr_kernarg_segment_ptr 1
		.amdhsa_user_sgpr_dispatch_id 0
		.amdhsa_user_sgpr_flat_scratch_init 0
		.amdhsa_user_sgpr_kernarg_preload_length 0
		.amdhsa_user_sgpr_kernarg_preload_offset 0
		.amdhsa_user_sgpr_private_segment_size 0
		.amdhsa_uses_dynamic_stack 0
		.amdhsa_system_sgpr_private_segment_wavefront_offset 0
		.amdhsa_system_sgpr_workgroup_id_x 1
		.amdhsa_system_sgpr_workgroup_id_y 1
		.amdhsa_system_sgpr_workgroup_id_z 0
		.amdhsa_system_sgpr_workgroup_info 0
		.amdhsa_system_vgpr_workitem_id 1
		.amdhsa_next_free_vgpr 6
		.amdhsa_next_free_sgpr 17
		.amdhsa_accum_offset 8
		.amdhsa_reserve_vcc 1
		.amdhsa_reserve_flat_scratch 0
		.amdhsa_float_round_mode_32 0
		.amdhsa_float_round_mode_16_64 0
		.amdhsa_float_denorm_mode_32 3
		.amdhsa_float_denorm_mode_16_64 3
		.amdhsa_dx10_clamp 1
		.amdhsa_ieee_mode 1
		.amdhsa_fp16_overflow 0
		.amdhsa_tg_split 0
		.amdhsa_exception_fp_ieee_invalid_op 0
		.amdhsa_exception_fp_denorm_src 0
		.amdhsa_exception_fp_ieee_div_zero 0
		.amdhsa_exception_fp_ieee_overflow 0
		.amdhsa_exception_fp_ieee_underflow 0
		.amdhsa_exception_fp_ieee_inexact 0
		.amdhsa_exception_int_div_zero 0
	.end_amdhsa_kernel
	.section	.text._ZN9rocsolver6v33100L12restore_diagI19rocblas_complex_numIdEidPKPS3_EEvPT1_llT2_lT0_lSA_,"axG",@progbits,_ZN9rocsolver6v33100L12restore_diagI19rocblas_complex_numIdEidPKPS3_EEvPT1_llT2_lT0_lSA_,comdat
.Lfunc_end202:
	.size	_ZN9rocsolver6v33100L12restore_diagI19rocblas_complex_numIdEidPKPS3_EEvPT1_llT2_lT0_lSA_, .Lfunc_end202-_ZN9rocsolver6v33100L12restore_diagI19rocblas_complex_numIdEidPKPS3_EEvPT1_llT2_lT0_lSA_
                                        ; -- End function
	.section	.AMDGPU.csdata,"",@progbits
; Kernel info:
; codeLenInByte = 256
; NumSgprs: 21
; NumVgprs: 6
; NumAgprs: 0
; TotalNumVgprs: 6
; ScratchSize: 0
; MemoryBound: 0
; FloatMode: 240
; IeeeMode: 1
; LDSByteSize: 0 bytes/workgroup (compile time only)
; SGPRBlocks: 2
; VGPRBlocks: 0
; NumSGPRsForWavesPerEU: 21
; NumVGPRsForWavesPerEU: 6
; AccumOffset: 8
; Occupancy: 8
; WaveLimiterHint : 1
; COMPUTE_PGM_RSRC2:SCRATCH_EN: 0
; COMPUTE_PGM_RSRC2:USER_SGPR: 6
; COMPUTE_PGM_RSRC2:TRAP_HANDLER: 0
; COMPUTE_PGM_RSRC2:TGID_X_EN: 1
; COMPUTE_PGM_RSRC2:TGID_Y_EN: 1
; COMPUTE_PGM_RSRC2:TGID_Z_EN: 0
; COMPUTE_PGM_RSRC2:TIDIG_COMP_CNT: 1
; COMPUTE_PGM_RSRC3_GFX90A:ACCUM_OFFSET: 1
; COMPUTE_PGM_RSRC3_GFX90A:TG_SPLIT: 0
	.section	.text._ZN9rocsolver6v33100L14set_triangularI19rocblas_complex_numIdEPKPS3_TnNSt9enable_ifIX18rocblas_is_complexIT_EEiE4typeELi0EEEviiT0_iilPS8_lSC_il15rocblas_direct_15rocblas_storev_b,"axG",@progbits,_ZN9rocsolver6v33100L14set_triangularI19rocblas_complex_numIdEPKPS3_TnNSt9enable_ifIX18rocblas_is_complexIT_EEiE4typeELi0EEEviiT0_iilPS8_lSC_il15rocblas_direct_15rocblas_storev_b,comdat
	.globl	_ZN9rocsolver6v33100L14set_triangularI19rocblas_complex_numIdEPKPS3_TnNSt9enable_ifIX18rocblas_is_complexIT_EEiE4typeELi0EEEviiT0_iilPS8_lSC_il15rocblas_direct_15rocblas_storev_b ; -- Begin function _ZN9rocsolver6v33100L14set_triangularI19rocblas_complex_numIdEPKPS3_TnNSt9enable_ifIX18rocblas_is_complexIT_EEiE4typeELi0EEEviiT0_iilPS8_lSC_il15rocblas_direct_15rocblas_storev_b
	.p2align	8
	.type	_ZN9rocsolver6v33100L14set_triangularI19rocblas_complex_numIdEPKPS3_TnNSt9enable_ifIX18rocblas_is_complexIT_EEiE4typeELi0EEEviiT0_iilPS8_lSC_il15rocblas_direct_15rocblas_storev_b,@function
_ZN9rocsolver6v33100L14set_triangularI19rocblas_complex_numIdEPKPS3_TnNSt9enable_ifIX18rocblas_is_complexIT_EEiE4typeELi0EEEviiT0_iilPS8_lSC_il15rocblas_direct_15rocblas_storev_b: ; @_ZN9rocsolver6v33100L14set_triangularI19rocblas_complex_numIdEPKPS3_TnNSt9enable_ifIX18rocblas_is_complexIT_EEiE4typeELi0EEEviiT0_iilPS8_lSC_il15rocblas_direct_15rocblas_storev_b
; %bb.0:
	s_load_dword s0, s[4:5], 0x64
	s_load_dwordx2 s[12:13], s[4:5], 0x0
	v_and_b32_e32 v1, 0x3ff, v0
	v_bfe_u32 v0, v0, 10, 10
	s_waitcnt lgkmcnt(0)
	s_lshr_b32 s1, s0, 16
	s_and_b32 s0, s0, 0xffff
	s_mul_i32 s6, s6, s0
	s_mul_i32 s7, s7, s1
	v_add_u32_e32 v6, s6, v1
	v_add_u32_e32 v0, s7, v0
	v_max_u32_e32 v1, v6, v0
	v_cmp_gt_u32_e32 vcc, s13, v1
	s_and_saveexec_b64 s[0:1], vcc
	s_cbranch_execz .LBB203_36
; %bb.1:
	s_load_dwordx4 s[0:3], s[4:5], 0x20
	s_load_dwordx2 s[6:7], s[4:5], 0x30
	s_load_dword s14, s[4:5], 0x38
	s_load_dwordx2 s[10:11], s[4:5], 0x40
	v_cmp_ne_u32_e32 vcc, v0, v6
	s_waitcnt lgkmcnt(0)
	s_mul_i32 s3, s8, s3
	s_mul_hi_u32 s9, s8, s2
	s_add_i32 s3, s9, s3
	s_mul_i32 s2, s8, s2
	s_lshl_b64 s[2:3], s[2:3], 4
	s_add_u32 s17, s0, s2
	s_addc_u32 s18, s1, s3
	s_mul_i32 s0, s8, s11
	s_mul_hi_u32 s1, s8, s10
	s_add_i32 s1, s1, s0
	s_mul_i32 s0, s8, s10
	s_lshl_b64 s[0:1], s[0:1], 4
	s_add_u32 s15, s6, s0
	s_addc_u32 s16, s7, s1
	s_and_saveexec_b64 s[0:1], vcc
	s_xor_b64 s[10:11], exec, s[0:1]
	s_cbranch_execz .LBB203_34
; %bb.2:
	s_load_dwordx4 s[0:3], s[4:5], 0x8
	s_mov_b32 s9, 0
	s_lshl_b64 s[8:9], s[8:9], 3
	s_load_dwordx4 s[4:7], s[4:5], 0x48
	v_mov_b32_e32 v7, 0
	s_waitcnt lgkmcnt(0)
	s_ashr_i32 s21, s2, 31
	s_add_u32 s0, s0, s8
	s_addc_u32 s1, s1, s9
	s_load_dwordx2 s[0:1], s[0:1], 0x0
	s_mov_b32 s20, s2
	s_lshl_b64 s[8:9], s[20:21], 4
	s_waitcnt lgkmcnt(0)
	s_add_u32 s2, s0, s8
	s_addc_u32 s19, s1, s9
	s_bitcmp1_b32 s6, 0
	s_cselect_b64 s[0:1], -1, 0
	s_xor_b64 s[0:1], s[0:1], -1
	s_mov_b64 s[6:7], -1
	s_cmpk_lg_i32 s4, 0xab
	s_cbranch_scc0 .LBB203_18
; %bb.3:
	v_cmp_le_u32_e32 vcc, v0, v6
	s_and_saveexec_b64 s[6:7], vcc
	s_xor_b64 s[6:7], exec, s[6:7]
	s_cbranch_execz .LBB203_5
; %bb.4:
	v_mad_u64_u32 v[2:3], s[8:9], v6, s14, 0
	s_ashr_i32 s4, s14, 31
	v_mov_b32_e32 v4, v3
	v_mad_u64_u32 v[4:5], s[8:9], v6, s4, v[4:5]
	v_mov_b32_e32 v3, v4
	v_lshlrev_b64 v[2:3], 4, v[2:3]
	v_mov_b32_e32 v1, 0
	v_mov_b32_e32 v4, s16
	v_add_co_u32_e32 v5, vcc, s15, v2
	v_addc_co_u32_e32 v4, vcc, v4, v3, vcc
	v_lshlrev_b64 v[2:3], 4, v[0:1]
	v_add_co_u32_e32 v8, vcc, v5, v2
	v_addc_co_u32_e32 v9, vcc, v4, v3, vcc
	v_mov_b32_e32 v2, v1
	v_mov_b32_e32 v3, v1
	v_mov_b32_e32 v4, v1
	v_mov_b32_e32 v5, v1
	global_store_dwordx4 v[8:9], v[2:5], off
.LBB203_5:
	s_andn2_saveexec_b64 s[6:7], s[6:7]
	s_cbranch_execz .LBB203_17
; %bb.6:
	v_lshlrev_b64 v[2:3], 4, v[6:7]
	v_mov_b32_e32 v1, s18
	v_add_co_u32_e32 v2, vcc, s17, v2
	v_addc_co_u32_e32 v3, vcc, v1, v3, vcc
	global_load_dwordx4 v[2:5], v[2:3], off
	s_cmpk_lg_i32 s5, 0xb5
	s_mov_b64 s[8:9], -1
	s_cbranch_scc0 .LBB203_12
; %bb.7:
	v_mov_b32_e32 v1, 0
	s_andn2_b64 vcc, exec, s[0:1]
	v_lshlrev_b64 v[8:9], 4, v[0:1]
	s_cbranch_vccnz .LBB203_9
; %bb.8:
	s_sub_i32 s4, s12, s13
	v_add_u32_e32 v1, s4, v6
	v_mad_u64_u32 v[10:11], s[8:9], v1, s3, 0
	s_ashr_i32 s4, s3, 31
	v_mov_b32_e32 v12, v11
	v_mad_u64_u32 v[12:13], s[8:9], v1, s4, v[12:13]
	v_mov_b32_e32 v11, v12
	v_lshlrev_b64 v[10:11], 4, v[10:11]
	v_mov_b32_e32 v1, s19
	v_add_co_u32_e32 v10, vcc, s2, v10
	v_addc_co_u32_e32 v1, vcc, v1, v11, vcc
	v_add_co_u32_e32 v10, vcc, v10, v8
	v_addc_co_u32_e32 v11, vcc, v1, v9, vcc
	global_load_dwordx4 v[10:13], v[10:11], off
	v_mad_u64_u32 v[14:15], s[8:9], v6, s14, 0
	s_ashr_i32 s4, s14, 31
	v_mov_b32_e32 v16, v15
	v_mad_u64_u32 v[16:17], s[8:9], v6, s4, v[16:17]
	v_mov_b32_e32 v15, v16
	v_lshlrev_b64 v[14:15], 4, v[14:15]
	v_mov_b32_e32 v1, s16
	v_add_co_u32_e32 v14, vcc, s15, v14
	v_addc_co_u32_e32 v1, vcc, v1, v15, vcc
	v_add_co_u32_e32 v16, vcc, v14, v8
	v_addc_co_u32_e32 v17, vcc, v1, v9, vcc
	s_mov_b64 s[8:9], 0
	s_waitcnt vmcnt(0)
	v_mul_f64 v[14:15], v[2:3], v[10:11]
	v_mul_f64 v[18:19], v[2:3], v[12:13]
	v_fma_f64 v[12:13], v[4:5], v[12:13], -v[14:15]
	v_fma_f64 v[14:15], v[10:11], -v[4:5], -v[18:19]
	global_store_dwordx4 v[16:17], v[12:15], off
.LBB203_9:
	s_andn2_b64 vcc, exec, s[8:9]
	s_cbranch_vccnz .LBB203_11
; %bb.10:
	v_mad_u64_u32 v[10:11], s[8:9], v6, s14, 0
	s_ashr_i32 s4, s14, 31
	v_mov_b32_e32 v12, v11
	v_mad_u64_u32 v[12:13], s[8:9], v6, s4, v[12:13]
	v_mov_b32_e32 v11, v12
	v_lshlrev_b64 v[10:11], 4, v[10:11]
	v_mov_b32_e32 v1, s16
	v_add_co_u32_e32 v10, vcc, s15, v10
	v_addc_co_u32_e32 v1, vcc, v1, v11, vcc
	v_add_co_u32_e32 v16, vcc, v10, v8
	s_sub_i32 s4, s12, s13
	v_addc_co_u32_e32 v17, vcc, v1, v9, vcc
	v_add_u32_e32 v1, s4, v6
	v_mad_u64_u32 v[10:11], s[8:9], v1, s3, 0
	s_ashr_i32 s4, s3, 31
	v_mov_b32_e32 v12, v11
	v_mad_u64_u32 v[12:13], s[8:9], v1, s4, v[12:13]
	v_mov_b32_e32 v11, v12
	v_lshlrev_b64 v[10:11], 4, v[10:11]
	v_mov_b32_e32 v1, s19
	v_add_co_u32_e32 v10, vcc, s2, v10
	v_addc_co_u32_e32 v1, vcc, v1, v11, vcc
	v_add_co_u32_e32 v18, vcc, v10, v8
	v_addc_co_u32_e32 v19, vcc, v1, v9, vcc
	global_load_dwordx4 v[8:11], v[16:17], off
	global_load_dwordx4 v[12:15], v[18:19], off
	s_waitcnt vmcnt(0)
	v_add_f64 v[12:13], v[12:13], v[8:9]
	v_add_f64 v[8:9], v[14:15], v[10:11]
	v_mul_f64 v[10:11], v[2:3], v[12:13]
	v_mul_f64 v[14:15], v[2:3], v[8:9]
	v_fma_f64 v[8:9], v[4:5], v[8:9], -v[10:11]
	v_fma_f64 v[10:11], v[12:13], -v[4:5], -v[14:15]
	global_store_dwordx4 v[16:17], v[8:11], off
.LBB203_11:
	s_mov_b64 s[8:9], 0
.LBB203_12:
	s_andn2_b64 vcc, exec, s[8:9]
	s_cbranch_vccnz .LBB203_17
; %bb.13:
	s_andn2_b64 vcc, exec, s[0:1]
	s_mov_b64 s[8:9], -1
	s_cbranch_vccnz .LBB203_15
; %bb.14:
	s_sub_i32 s4, s12, s13
	v_mad_u64_u32 v[8:9], s[8:9], v0, s3, 0
	v_add_u32_e32 v12, s4, v6
	s_ashr_i32 s4, s3, 31
	v_mov_b32_e32 v10, v9
	v_mad_u64_u32 v[10:11], s[8:9], v0, s4, v[10:11]
	v_mov_b32_e32 v9, v10
	v_lshlrev_b64 v[8:9], 4, v[8:9]
	v_mov_b32_e32 v13, 0
	v_mov_b32_e32 v1, s19
	v_add_co_u32_e32 v10, vcc, s2, v8
	v_addc_co_u32_e32 v1, vcc, v1, v9, vcc
	v_lshlrev_b64 v[8:9], 4, v[12:13]
	v_add_co_u32_e32 v8, vcc, v10, v8
	v_addc_co_u32_e32 v9, vcc, v1, v9, vcc
	global_load_dwordx4 v[8:11], v[8:9], off
	v_mad_u64_u32 v[14:15], s[8:9], v6, s14, 0
	s_ashr_i32 s4, s14, 31
	v_mov_b32_e32 v12, v15
	v_mov_b32_e32 v1, v13
	v_mad_u64_u32 v[12:13], s[8:9], v6, s4, v[12:13]
	v_mov_b32_e32 v15, v12
	v_lshlrev_b64 v[12:13], 4, v[14:15]
	v_mov_b32_e32 v18, s16
	v_lshlrev_b64 v[16:17], 4, v[0:1]
	v_add_co_u32_e32 v1, vcc, s15, v12
	v_addc_co_u32_e32 v13, vcc, v18, v13, vcc
	v_add_co_u32_e32 v12, vcc, v1, v16
	v_addc_co_u32_e32 v13, vcc, v13, v17, vcc
	s_mov_b64 s[8:9], 0
	s_waitcnt vmcnt(0)
	v_mul_f64 v[14:15], v[4:5], v[10:11]
	v_mul_f64 v[16:17], v[4:5], v[8:9]
	v_fma_f64 v[8:9], v[8:9], -v[2:3], -v[14:15]
	v_fma_f64 v[10:11], v[2:3], v[10:11], -v[16:17]
	global_store_dwordx4 v[12:13], v[8:11], off
.LBB203_15:
	s_andn2_b64 vcc, exec, s[8:9]
	s_cbranch_vccnz .LBB203_17
; %bb.16:
	v_mad_u64_u32 v[8:9], s[8:9], v6, s14, 0
	s_ashr_i32 s4, s14, 31
	v_mov_b32_e32 v10, v9
	v_mad_u64_u32 v[10:11], s[8:9], v6, s4, v[10:11]
	v_mov_b32_e32 v9, v10
	v_lshlrev_b64 v[8:9], 4, v[8:9]
	v_mov_b32_e32 v1, 0
	v_mov_b32_e32 v10, s16
	v_add_co_u32_e32 v11, vcc, s15, v8
	v_addc_co_u32_e32 v10, vcc, v10, v9, vcc
	v_lshlrev_b64 v[8:9], 4, v[0:1]
	v_add_co_u32_e32 v16, vcc, v11, v8
	v_addc_co_u32_e32 v17, vcc, v10, v9, vcc
	s_sub_i32 s4, s12, s13
	v_mad_u64_u32 v[10:11], s[8:9], v0, s3, 0
	v_add_u32_e32 v8, s4, v6
	s_ashr_i32 s4, s3, 31
	v_mov_b32_e32 v12, v11
	v_mad_u64_u32 v[12:13], s[8:9], v0, s4, v[12:13]
	v_mov_b32_e32 v11, v12
	v_lshlrev_b64 v[10:11], 4, v[10:11]
	v_mov_b32_e32 v9, v1
	v_mov_b32_e32 v1, s19
	v_add_co_u32_e32 v10, vcc, s2, v10
	v_addc_co_u32_e32 v1, vcc, v1, v11, vcc
	v_lshlrev_b64 v[8:9], 4, v[8:9]
	v_add_co_u32_e32 v18, vcc, v10, v8
	v_addc_co_u32_e32 v19, vcc, v1, v9, vcc
	global_load_dwordx4 v[8:11], v[18:19], off
	global_load_dwordx4 v[12:15], v[16:17], off
	s_waitcnt vmcnt(0)
	v_add_f64 v[8:9], v[8:9], v[12:13]
	v_add_f64 v[10:11], v[14:15], -v[10:11]
	v_mul_f64 v[12:13], v[2:3], v[8:9]
	v_mul_f64 v[14:15], v[2:3], v[10:11]
	v_fma_f64 v[2:3], v[4:5], v[10:11], -v[12:13]
	v_fma_f64 v[4:5], v[8:9], -v[4:5], -v[14:15]
	global_store_dwordx4 v[16:17], v[2:5], off
.LBB203_17:
	s_or_b64 exec, exec, s[6:7]
	s_mov_b64 s[6:7], 0
.LBB203_18:
	s_andn2_b64 vcc, exec, s[6:7]
	s_cbranch_vccnz .LBB203_34
; %bb.19:
	v_cmp_ge_u32_e32 vcc, v0, v6
	s_and_saveexec_b64 s[6:7], vcc
	s_xor_b64 s[6:7], exec, s[6:7]
	s_cbranch_execz .LBB203_21
; %bb.20:
	s_waitcnt vmcnt(0)
	v_mad_u64_u32 v[2:3], s[8:9], v6, s14, 0
	s_ashr_i32 s4, s14, 31
	v_mov_b32_e32 v4, v3
	v_mad_u64_u32 v[4:5], s[8:9], v6, s4, v[4:5]
	v_mov_b32_e32 v3, v4
	v_lshlrev_b64 v[2:3], 4, v[2:3]
	v_mov_b32_e32 v1, 0
	v_mov_b32_e32 v4, s16
	v_add_co_u32_e32 v5, vcc, s15, v2
	v_addc_co_u32_e32 v6, vcc, v4, v3, vcc
	v_lshlrev_b64 v[2:3], 4, v[0:1]
	v_add_co_u32_e32 v4, vcc, v5, v2
	v_addc_co_u32_e32 v5, vcc, v6, v3, vcc
	v_mov_b32_e32 v0, v1
	v_mov_b32_e32 v2, v1
	;; [unrolled: 1-line block ×3, first 2 shown]
	global_store_dwordx4 v[4:5], v[0:3], off
                                        ; implicit-def: $vgpr6_vgpr7
                                        ; implicit-def: $vgpr0
.LBB203_21:
	s_andn2_saveexec_b64 s[6:7], s[6:7]
	s_cbranch_execz .LBB203_33
; %bb.22:
	v_lshlrev_b64 v[8:9], 4, v[6:7]
	v_mov_b32_e32 v1, s18
	s_waitcnt vmcnt(0)
	v_add_co_u32_e32 v2, vcc, s17, v8
	v_addc_co_u32_e32 v3, vcc, v1, v9, vcc
	global_load_dwordx4 v[2:5], v[2:3], off
	v_cndmask_b32_e64 v1, 0, 1, s[0:1]
	s_cmpk_lg_i32 s5, 0xb5
	s_mov_b64 s[4:5], -1
	v_cmp_ne_u32_e64 s[0:1], 1, v1
	s_cbranch_scc0 .LBB203_28
; %bb.23:
	v_mov_b32_e32 v1, 0
	s_and_b64 vcc, exec, s[0:1]
	v_lshlrev_b64 v[10:11], 4, v[0:1]
	s_cbranch_vccnz .LBB203_25
; %bb.24:
	v_mad_u64_u32 v[12:13], s[4:5], v6, s3, 0
	s_ashr_i32 s8, s3, 31
	v_mov_b32_e32 v14, v13
	v_mad_u64_u32 v[14:15], s[4:5], v6, s8, v[14:15]
	v_mov_b32_e32 v13, v14
	v_lshlrev_b64 v[12:13], 4, v[12:13]
	v_mov_b32_e32 v1, s19
	v_add_co_u32_e32 v7, vcc, s2, v12
	v_addc_co_u32_e32 v1, vcc, v1, v13, vcc
	v_add_co_u32_e32 v12, vcc, v7, v10
	v_addc_co_u32_e32 v13, vcc, v1, v11, vcc
	global_load_dwordx4 v[12:15], v[12:13], off
	v_mad_u64_u32 v[16:17], s[4:5], v6, s14, 0
	s_ashr_i32 s8, s14, 31
	v_mov_b32_e32 v18, v17
	v_mad_u64_u32 v[18:19], s[4:5], v6, s8, v[18:19]
	v_mov_b32_e32 v17, v18
	v_lshlrev_b64 v[16:17], 4, v[16:17]
	v_mov_b32_e32 v1, s16
	v_add_co_u32_e32 v7, vcc, s15, v16
	v_addc_co_u32_e32 v1, vcc, v1, v17, vcc
	v_add_co_u32_e32 v18, vcc, v7, v10
	v_addc_co_u32_e32 v19, vcc, v1, v11, vcc
	s_mov_b64 s[4:5], 0
	s_waitcnt vmcnt(0)
	v_mul_f64 v[16:17], v[2:3], v[12:13]
	v_mul_f64 v[20:21], v[2:3], v[14:15]
	v_fma_f64 v[14:15], v[4:5], v[14:15], -v[16:17]
	v_fma_f64 v[16:17], v[12:13], -v[4:5], -v[20:21]
	global_store_dwordx4 v[18:19], v[14:17], off
.LBB203_25:
	s_andn2_b64 vcc, exec, s[4:5]
	s_cbranch_vccnz .LBB203_27
; %bb.26:
	v_mad_u64_u32 v[12:13], s[4:5], v6, s14, 0
	s_ashr_i32 s8, s14, 31
	v_mov_b32_e32 v14, v13
	v_mad_u64_u32 v[14:15], s[4:5], v6, s8, v[14:15]
	v_mov_b32_e32 v13, v14
	v_lshlrev_b64 v[12:13], 4, v[12:13]
	v_mov_b32_e32 v1, s16
	v_add_co_u32_e32 v7, vcc, s15, v12
	v_addc_co_u32_e32 v1, vcc, v1, v13, vcc
	v_mad_u64_u32 v[12:13], s[4:5], v6, s3, 0
	s_ashr_i32 s8, s3, 31
	v_mov_b32_e32 v14, v13
	v_mad_u64_u32 v[14:15], s[4:5], v6, s8, v[14:15]
	v_add_co_u32_e32 v18, vcc, v7, v10
	v_mov_b32_e32 v13, v14
	v_addc_co_u32_e32 v19, vcc, v1, v11, vcc
	v_lshlrev_b64 v[12:13], 4, v[12:13]
	v_mov_b32_e32 v1, s19
	v_add_co_u32_e32 v7, vcc, s2, v12
	v_addc_co_u32_e32 v1, vcc, v1, v13, vcc
	v_add_co_u32_e32 v20, vcc, v7, v10
	v_addc_co_u32_e32 v21, vcc, v1, v11, vcc
	global_load_dwordx4 v[10:13], v[20:21], off
	global_load_dwordx4 v[14:17], v[18:19], off
	s_waitcnt vmcnt(0)
	v_add_f64 v[14:15], v[10:11], v[14:15]
	v_add_f64 v[10:11], v[12:13], v[16:17]
	v_mul_f64 v[12:13], v[2:3], v[14:15]
	v_mul_f64 v[16:17], v[2:3], v[10:11]
	v_fma_f64 v[10:11], v[4:5], v[10:11], -v[12:13]
	v_fma_f64 v[12:13], v[14:15], -v[4:5], -v[16:17]
	global_store_dwordx4 v[18:19], v[10:13], off
.LBB203_27:
	s_mov_b64 s[4:5], 0
.LBB203_28:
	s_andn2_b64 vcc, exec, s[4:5]
	s_cbranch_vccnz .LBB203_33
; %bb.29:
	v_mov_b32_e32 v1, 0
	s_mov_b64 s[4:5], -1
	s_and_b64 vcc, exec, s[0:1]
	v_lshlrev_b64 v[10:11], 4, v[0:1]
	s_cbranch_vccnz .LBB203_31
; %bb.30:
	v_mad_u64_u32 v[12:13], s[0:1], v0, s3, 0
	s_ashr_i32 s4, s3, 31
	v_mov_b32_e32 v14, v13
	v_mad_u64_u32 v[14:15], s[0:1], v0, s4, v[14:15]
	v_mov_b32_e32 v13, v14
	v_lshlrev_b64 v[12:13], 4, v[12:13]
	v_mov_b32_e32 v1, s19
	v_add_co_u32_e32 v7, vcc, s2, v12
	v_addc_co_u32_e32 v1, vcc, v1, v13, vcc
	v_add_co_u32_e32 v12, vcc, v7, v8
	v_addc_co_u32_e32 v13, vcc, v1, v9, vcc
	global_load_dwordx4 v[12:15], v[12:13], off
	v_mad_u64_u32 v[16:17], s[0:1], v6, s14, 0
	s_ashr_i32 s4, s14, 31
	v_mov_b32_e32 v18, v17
	v_mad_u64_u32 v[18:19], s[0:1], v6, s4, v[18:19]
	v_mov_b32_e32 v17, v18
	v_lshlrev_b64 v[16:17], 4, v[16:17]
	v_mov_b32_e32 v1, s16
	v_add_co_u32_e32 v7, vcc, s15, v16
	v_addc_co_u32_e32 v1, vcc, v1, v17, vcc
	v_add_co_u32_e32 v16, vcc, v7, v10
	v_addc_co_u32_e32 v17, vcc, v1, v11, vcc
	s_mov_b64 s[4:5], 0
	s_waitcnt vmcnt(0)
	v_mul_f64 v[18:19], v[4:5], v[14:15]
	v_mul_f64 v[20:21], v[4:5], v[12:13]
	v_fma_f64 v[12:13], v[12:13], -v[2:3], -v[18:19]
	v_fma_f64 v[14:15], v[2:3], v[14:15], -v[20:21]
	global_store_dwordx4 v[16:17], v[12:15], off
.LBB203_31:
	s_andn2_b64 vcc, exec, s[4:5]
	s_cbranch_vccnz .LBB203_33
; %bb.32:
	v_mad_u64_u32 v[12:13], s[0:1], v6, s14, 0
	s_ashr_i32 s4, s14, 31
	v_mov_b32_e32 v14, v13
	v_mad_u64_u32 v[6:7], s[0:1], v6, s4, v[14:15]
	v_mov_b32_e32 v13, v6
	v_lshlrev_b64 v[6:7], 4, v[12:13]
	v_mov_b32_e32 v1, s16
	v_add_co_u32_e32 v6, vcc, s15, v6
	v_addc_co_u32_e32 v1, vcc, v1, v7, vcc
	v_add_co_u32_e32 v14, vcc, v6, v10
	v_mad_u64_u32 v[6:7], s[0:1], v0, s3, 0
	s_ashr_i32 s4, s3, 31
	v_mov_b32_e32 v10, v7
	v_addc_co_u32_e32 v15, vcc, v1, v11, vcc
	v_mad_u64_u32 v[0:1], s[0:1], v0, s4, v[10:11]
	v_mov_b32_e32 v7, v0
	v_lshlrev_b64 v[0:1], 4, v[6:7]
	v_mov_b32_e32 v6, s19
	v_add_co_u32_e32 v0, vcc, s2, v0
	v_addc_co_u32_e32 v1, vcc, v6, v1, vcc
	v_add_co_u32_e32 v0, vcc, v0, v8
	v_addc_co_u32_e32 v1, vcc, v1, v9, vcc
	global_load_dwordx4 v[6:9], v[0:1], off
	global_load_dwordx4 v[10:13], v[14:15], off
	s_waitcnt vmcnt(0)
	v_add_f64 v[6:7], v[6:7], v[10:11]
	v_add_f64 v[0:1], v[12:13], -v[8:9]
	v_mul_f64 v[8:9], v[2:3], v[6:7]
	v_mul_f64 v[2:3], v[2:3], v[0:1]
	v_fma_f64 v[0:1], v[4:5], v[0:1], -v[8:9]
	v_fma_f64 v[2:3], v[6:7], -v[4:5], -v[2:3]
	global_store_dwordx4 v[14:15], v[0:3], off
.LBB203_33:
	s_or_b64 exec, exec, s[6:7]
                                        ; implicit-def: $vgpr6
.LBB203_34:
	s_andn2_saveexec_b64 s[0:1], s[10:11]
	s_cbranch_execz .LBB203_36
; %bb.35:
	v_mov_b32_e32 v7, 0
	s_waitcnt vmcnt(0)
	v_lshlrev_b64 v[4:5], 4, v[6:7]
	v_mov_b32_e32 v1, s18
	v_add_co_u32_e32 v0, vcc, s17, v4
	v_addc_co_u32_e32 v1, vcc, v1, v5, vcc
	global_load_dwordx4 v[0:3], v[0:1], off
	v_mad_u64_u32 v[8:9], s[0:1], v6, s14, 0
	s_ashr_i32 s2, s14, 31
	v_mov_b32_e32 v10, v9
	v_mad_u64_u32 v[6:7], s[0:1], v6, s2, v[10:11]
	v_mov_b32_e32 v9, v6
	v_lshlrev_b64 v[6:7], 4, v[8:9]
	v_mov_b32_e32 v8, s16
	v_add_co_u32_e32 v6, vcc, s15, v6
	v_addc_co_u32_e32 v7, vcc, v8, v7, vcc
	v_add_co_u32_e32 v4, vcc, v6, v4
	v_addc_co_u32_e32 v5, vcc, v7, v5, vcc
	s_waitcnt vmcnt(0)
	global_store_dwordx4 v[4:5], v[0:3], off
.LBB203_36:
	s_endpgm
	.section	.rodata,"a",@progbits
	.p2align	6, 0x0
	.amdhsa_kernel _ZN9rocsolver6v33100L14set_triangularI19rocblas_complex_numIdEPKPS3_TnNSt9enable_ifIX18rocblas_is_complexIT_EEiE4typeELi0EEEviiT0_iilPS8_lSC_il15rocblas_direct_15rocblas_storev_b
		.amdhsa_group_segment_fixed_size 0
		.amdhsa_private_segment_fixed_size 0
		.amdhsa_kernarg_size 344
		.amdhsa_user_sgpr_count 6
		.amdhsa_user_sgpr_private_segment_buffer 1
		.amdhsa_user_sgpr_dispatch_ptr 0
		.amdhsa_user_sgpr_queue_ptr 0
		.amdhsa_user_sgpr_kernarg_segment_ptr 1
		.amdhsa_user_sgpr_dispatch_id 0
		.amdhsa_user_sgpr_flat_scratch_init 0
		.amdhsa_user_sgpr_kernarg_preload_length 0
		.amdhsa_user_sgpr_kernarg_preload_offset 0
		.amdhsa_user_sgpr_private_segment_size 0
		.amdhsa_uses_dynamic_stack 0
		.amdhsa_system_sgpr_private_segment_wavefront_offset 0
		.amdhsa_system_sgpr_workgroup_id_x 1
		.amdhsa_system_sgpr_workgroup_id_y 1
		.amdhsa_system_sgpr_workgroup_id_z 1
		.amdhsa_system_sgpr_workgroup_info 0
		.amdhsa_system_vgpr_workitem_id 1
		.amdhsa_next_free_vgpr 22
		.amdhsa_next_free_sgpr 22
		.amdhsa_accum_offset 24
		.amdhsa_reserve_vcc 1
		.amdhsa_reserve_flat_scratch 0
		.amdhsa_float_round_mode_32 0
		.amdhsa_float_round_mode_16_64 0
		.amdhsa_float_denorm_mode_32 3
		.amdhsa_float_denorm_mode_16_64 3
		.amdhsa_dx10_clamp 1
		.amdhsa_ieee_mode 1
		.amdhsa_fp16_overflow 0
		.amdhsa_tg_split 0
		.amdhsa_exception_fp_ieee_invalid_op 0
		.amdhsa_exception_fp_denorm_src 0
		.amdhsa_exception_fp_ieee_div_zero 0
		.amdhsa_exception_fp_ieee_overflow 0
		.amdhsa_exception_fp_ieee_underflow 0
		.amdhsa_exception_fp_ieee_inexact 0
		.amdhsa_exception_int_div_zero 0
	.end_amdhsa_kernel
	.section	.text._ZN9rocsolver6v33100L14set_triangularI19rocblas_complex_numIdEPKPS3_TnNSt9enable_ifIX18rocblas_is_complexIT_EEiE4typeELi0EEEviiT0_iilPS8_lSC_il15rocblas_direct_15rocblas_storev_b,"axG",@progbits,_ZN9rocsolver6v33100L14set_triangularI19rocblas_complex_numIdEPKPS3_TnNSt9enable_ifIX18rocblas_is_complexIT_EEiE4typeELi0EEEviiT0_iilPS8_lSC_il15rocblas_direct_15rocblas_storev_b,comdat
.Lfunc_end203:
	.size	_ZN9rocsolver6v33100L14set_triangularI19rocblas_complex_numIdEPKPS3_TnNSt9enable_ifIX18rocblas_is_complexIT_EEiE4typeELi0EEEviiT0_iilPS8_lSC_il15rocblas_direct_15rocblas_storev_b, .Lfunc_end203-_ZN9rocsolver6v33100L14set_triangularI19rocblas_complex_numIdEPKPS3_TnNSt9enable_ifIX18rocblas_is_complexIT_EEiE4typeELi0EEEviiT0_iilPS8_lSC_il15rocblas_direct_15rocblas_storev_b
                                        ; -- End function
	.section	.AMDGPU.csdata,"",@progbits
; Kernel info:
; codeLenInByte = 2388
; NumSgprs: 26
; NumVgprs: 22
; NumAgprs: 0
; TotalNumVgprs: 22
; ScratchSize: 0
; MemoryBound: 1
; FloatMode: 240
; IeeeMode: 1
; LDSByteSize: 0 bytes/workgroup (compile time only)
; SGPRBlocks: 3
; VGPRBlocks: 2
; NumSGPRsForWavesPerEU: 26
; NumVGPRsForWavesPerEU: 22
; AccumOffset: 24
; Occupancy: 8
; WaveLimiterHint : 1
; COMPUTE_PGM_RSRC2:SCRATCH_EN: 0
; COMPUTE_PGM_RSRC2:USER_SGPR: 6
; COMPUTE_PGM_RSRC2:TRAP_HANDLER: 0
; COMPUTE_PGM_RSRC2:TGID_X_EN: 1
; COMPUTE_PGM_RSRC2:TGID_Y_EN: 1
; COMPUTE_PGM_RSRC2:TGID_Z_EN: 1
; COMPUTE_PGM_RSRC2:TIDIG_COMP_CNT: 1
; COMPUTE_PGM_RSRC3_GFX90A:ACCUM_OFFSET: 5
; COMPUTE_PGM_RSRC3_GFX90A:TG_SPLIT: 0
	.section	.text._ZN9rocsolver6v33100L7set_tauI19rocblas_complex_numIdEEEviPT_l,"axG",@progbits,_ZN9rocsolver6v33100L7set_tauI19rocblas_complex_numIdEEEviPT_l,comdat
	.globl	_ZN9rocsolver6v33100L7set_tauI19rocblas_complex_numIdEEEviPT_l ; -- Begin function _ZN9rocsolver6v33100L7set_tauI19rocblas_complex_numIdEEEviPT_l
	.p2align	8
	.type	_ZN9rocsolver6v33100L7set_tauI19rocblas_complex_numIdEEEviPT_l,@function
_ZN9rocsolver6v33100L7set_tauI19rocblas_complex_numIdEEEviPT_l: ; @_ZN9rocsolver6v33100L7set_tauI19rocblas_complex_numIdEEEviPT_l
; %bb.0:
	s_load_dword s0, s[4:5], 0x24
	s_load_dword s1, s[4:5], 0x0
	s_waitcnt lgkmcnt(0)
	s_and_b32 s0, s0, 0xffff
	s_mul_i32 s6, s6, s0
	v_add_u32_e32 v0, s6, v0
	v_cmp_gt_u32_e32 vcc, s1, v0
	s_and_saveexec_b64 s[0:1], vcc
	s_cbranch_execz .LBB204_2
; %bb.1:
	s_load_dwordx4 s[0:3], s[4:5], 0x8
	v_mov_b32_e32 v1, 0
	v_lshlrev_b64 v[0:1], 4, v[0:1]
	s_waitcnt lgkmcnt(0)
	s_mul_i32 s3, s7, s3
	s_mul_hi_u32 s4, s7, s2
	s_mul_i32 s2, s7, s2
	s_add_i32 s3, s4, s3
	s_lshl_b64 s[2:3], s[2:3], 4
	s_add_u32 s0, s0, s2
	s_addc_u32 s1, s1, s3
	v_mov_b32_e32 v2, s1
	v_add_co_u32_e32 v4, vcc, s0, v0
	v_addc_co_u32_e32 v5, vcc, v2, v1, vcc
	global_load_dwordx4 v[0:3], v[4:5], off
	s_waitcnt vmcnt(0)
	v_xor_b32_e32 v1, 0x80000000, v1
	v_xor_b32_e32 v3, 0x80000000, v3
	global_store_dwordx4 v[4:5], v[0:3], off
.LBB204_2:
	s_endpgm
	.section	.rodata,"a",@progbits
	.p2align	6, 0x0
	.amdhsa_kernel _ZN9rocsolver6v33100L7set_tauI19rocblas_complex_numIdEEEviPT_l
		.amdhsa_group_segment_fixed_size 0
		.amdhsa_private_segment_fixed_size 0
		.amdhsa_kernarg_size 280
		.amdhsa_user_sgpr_count 6
		.amdhsa_user_sgpr_private_segment_buffer 1
		.amdhsa_user_sgpr_dispatch_ptr 0
		.amdhsa_user_sgpr_queue_ptr 0
		.amdhsa_user_sgpr_kernarg_segment_ptr 1
		.amdhsa_user_sgpr_dispatch_id 0
		.amdhsa_user_sgpr_flat_scratch_init 0
		.amdhsa_user_sgpr_kernarg_preload_length 0
		.amdhsa_user_sgpr_kernarg_preload_offset 0
		.amdhsa_user_sgpr_private_segment_size 0
		.amdhsa_uses_dynamic_stack 0
		.amdhsa_system_sgpr_private_segment_wavefront_offset 0
		.amdhsa_system_sgpr_workgroup_id_x 1
		.amdhsa_system_sgpr_workgroup_id_y 1
		.amdhsa_system_sgpr_workgroup_id_z 0
		.amdhsa_system_sgpr_workgroup_info 0
		.amdhsa_system_vgpr_workitem_id 0
		.amdhsa_next_free_vgpr 6
		.amdhsa_next_free_sgpr 8
		.amdhsa_accum_offset 8
		.amdhsa_reserve_vcc 1
		.amdhsa_reserve_flat_scratch 0
		.amdhsa_float_round_mode_32 0
		.amdhsa_float_round_mode_16_64 0
		.amdhsa_float_denorm_mode_32 3
		.amdhsa_float_denorm_mode_16_64 3
		.amdhsa_dx10_clamp 1
		.amdhsa_ieee_mode 1
		.amdhsa_fp16_overflow 0
		.amdhsa_tg_split 0
		.amdhsa_exception_fp_ieee_invalid_op 0
		.amdhsa_exception_fp_denorm_src 0
		.amdhsa_exception_fp_ieee_div_zero 0
		.amdhsa_exception_fp_ieee_overflow 0
		.amdhsa_exception_fp_ieee_underflow 0
		.amdhsa_exception_fp_ieee_inexact 0
		.amdhsa_exception_int_div_zero 0
	.end_amdhsa_kernel
	.section	.text._ZN9rocsolver6v33100L7set_tauI19rocblas_complex_numIdEEEviPT_l,"axG",@progbits,_ZN9rocsolver6v33100L7set_tauI19rocblas_complex_numIdEEEviPT_l,comdat
.Lfunc_end204:
	.size	_ZN9rocsolver6v33100L7set_tauI19rocblas_complex_numIdEEEviPT_l, .Lfunc_end204-_ZN9rocsolver6v33100L7set_tauI19rocblas_complex_numIdEEEviPT_l
                                        ; -- End function
	.section	.AMDGPU.csdata,"",@progbits
; Kernel info:
; codeLenInByte = 152
; NumSgprs: 12
; NumVgprs: 6
; NumAgprs: 0
; TotalNumVgprs: 6
; ScratchSize: 0
; MemoryBound: 0
; FloatMode: 240
; IeeeMode: 1
; LDSByteSize: 0 bytes/workgroup (compile time only)
; SGPRBlocks: 1
; VGPRBlocks: 0
; NumSGPRsForWavesPerEU: 12
; NumVGPRsForWavesPerEU: 6
; AccumOffset: 8
; Occupancy: 8
; WaveLimiterHint : 0
; COMPUTE_PGM_RSRC2:SCRATCH_EN: 0
; COMPUTE_PGM_RSRC2:USER_SGPR: 6
; COMPUTE_PGM_RSRC2:TRAP_HANDLER: 0
; COMPUTE_PGM_RSRC2:TGID_X_EN: 1
; COMPUTE_PGM_RSRC2:TGID_Y_EN: 1
; COMPUTE_PGM_RSRC2:TGID_Z_EN: 0
; COMPUTE_PGM_RSRC2:TIDIG_COMP_CNT: 0
; COMPUTE_PGM_RSRC3_GFX90A:ACCUM_OFFSET: 1
; COMPUTE_PGM_RSRC3_GFX90A:TG_SPLIT: 0
	.section	.text._ZN9rocsolver6v33100L20larft_kernel_forwardI19rocblas_complex_numIdEPKPS3_EEv15rocblas_storev_iiT0_iilPT_lSA_il,"axG",@progbits,_ZN9rocsolver6v33100L20larft_kernel_forwardI19rocblas_complex_numIdEPKPS3_EEv15rocblas_storev_iiT0_iilPT_lSA_il,comdat
	.globl	_ZN9rocsolver6v33100L20larft_kernel_forwardI19rocblas_complex_numIdEPKPS3_EEv15rocblas_storev_iiT0_iilPT_lSA_il ; -- Begin function _ZN9rocsolver6v33100L20larft_kernel_forwardI19rocblas_complex_numIdEPKPS3_EEv15rocblas_storev_iiT0_iilPT_lSA_il
	.p2align	8
	.type	_ZN9rocsolver6v33100L20larft_kernel_forwardI19rocblas_complex_numIdEPKPS3_EEv15rocblas_storev_iiT0_iilPT_lSA_il,@function
_ZN9rocsolver6v33100L20larft_kernel_forwardI19rocblas_complex_numIdEPKPS3_EEv15rocblas_storev_iiT0_iilPT_lSA_il: ; @_ZN9rocsolver6v33100L20larft_kernel_forwardI19rocblas_complex_numIdEPKPS3_EEv15rocblas_storev_iiT0_iilPT_lSA_il
; %bb.0:
	s_mov_b32 s2, s7
	s_load_dword s33, s[4:5], 0x40
	s_load_dwordx2 s[0:1], s[4:5], 0x48
	s_load_dword s3, s[4:5], 0x5c
	s_load_dwordx4 s[8:11], s[4:5], 0x0
	s_load_dwordx2 s[6:7], s[4:5], 0x10
	s_load_dwordx4 s[12:15], s[4:5], 0x28
	s_load_dwordx2 s[16:17], s[4:5], 0x38
	s_waitcnt lgkmcnt(0)
	s_and_b32 s11, s3, 0xffff
	s_ashr_i32 s3, s2, 31
	s_lshl_b64 s[18:19], s[2:3], 3
	s_add_u32 s6, s6, s18
	s_addc_u32 s7, s7, s19
	s_mul_i32 s1, s2, s1
	s_mul_hi_u32 s18, s2, s0
	s_load_dwordx2 s[6:7], s[6:7], 0x0
	s_add_i32 s1, s18, s1
	s_mul_i32 s18, s3, s0
	s_add_i32 s1, s1, s18
	s_mul_i32 s0, s2, s0
	s_lshl_b64 s[0:1], s[0:1], 4
	s_add_u32 s38, s16, s0
	s_addc_u32 s39, s17, s1
	v_cmp_gt_i32_e64 s[0:1], s10, v0
	v_lshlrev_b32_e32 v1, 4, v0
	s_and_saveexec_b64 s[16:17], s[0:1]
	s_cbranch_execz .LBB205_5
; %bb.1:
	v_add_u32_e32 v2, 16, v1
	v_mul_lo_u32 v2, s10, v2
	s_lshl_b32 s22, s10, 4
	v_add3_u32 v6, v2, v1, 0
	s_add_i32 s23, s22, 16
	s_add_i32 s24, s33, 1
	v_mad_u64_u32 v[2:3], s[18:19], v0, s33, v[0:1]
	s_mul_i32 s23, s23, s11
	s_mul_i32 s24, s24, s11
	s_mov_b64 s[18:19], 0
	v_mov_b32_e32 v3, s39
	v_mov_b32_e32 v7, v0
.LBB205_2:                              ; =>This Loop Header: Depth=1
                                        ;     Child Loop BB205_3 Depth 2
	s_mov_b64 s[20:21], 0
	v_mov_b32_e32 v4, v2
	v_mov_b32_e32 v8, v6
	;; [unrolled: 1-line block ×3, first 2 shown]
.LBB205_3:                              ;   Parent Loop BB205_2 Depth=1
                                        ; =>  This Inner Loop Header: Depth=2
	v_ashrrev_i32_e32 v5, 31, v4
	v_lshlrev_b64 v[10:11], 4, v[4:5]
	v_add_co_u32_e32 v10, vcc, s38, v10
	v_addc_co_u32_e32 v11, vcc, v3, v11, vcc
	global_load_dwordx4 v[10:13], v[10:11], off
	v_add_u32_e32 v9, 1, v9
	v_cmp_le_i32_e32 vcc, s10, v9
	v_add_u32_e32 v4, s33, v4
	s_or_b64 s[20:21], vcc, s[20:21]
	s_waitcnt vmcnt(0)
	ds_write2_b64 v8, v[10:11], v[12:13] offset1:1
	v_add_u32_e32 v8, s22, v8
	s_andn2_b64 exec, exec, s[20:21]
	s_cbranch_execnz .LBB205_3
; %bb.4:                                ;   in Loop: Header=BB205_2 Depth=1
	s_or_b64 exec, exec, s[20:21]
	v_add_u32_e32 v7, s11, v7
	v_cmp_le_i32_e32 vcc, s10, v7
	v_add_u32_e32 v6, s23, v6
	s_or_b64 s[18:19], vcc, s[18:19]
	v_add_u32_e32 v2, s24, v2
	s_andn2_b64 exec, exec, s[18:19]
	s_cbranch_execnz .LBB205_2
.LBB205_5:
	s_or_b64 exec, exec, s[16:17]
	s_cmp_lt_i32 s10, 2
	s_waitcnt lgkmcnt(0)
	s_barrier
	s_cbranch_scc1 .LBB205_29
; %bb.6:
	s_load_dwordx2 s[16:17], s[4:5], 0x18
	s_mul_i32 s4, s2, s15
	s_mul_hi_u32 s5, s2, s14
	s_add_i32 s15, s5, s4
	s_mul_i32 s3, s3, s14
	s_add_i32 s3, s15, s3
	s_mul_i32 s2, s2, s14
	s_waitcnt lgkmcnt(0)
	s_ashr_i32 s5, s16, 31
	s_lshl_b64 s[2:3], s[2:3], 4
	s_mov_b32 s4, s16
	s_add_u32 s16, s12, s2
	s_addc_u32 s40, s13, s3
	s_lshl_b32 s41, s10, 4
	s_add_i32 s42, s41, 0
	s_cmpk_lg_i32 s8, 0xb5
	s_cselect_b64 s[14:15], -1, 0
	s_lshl_b64 s[2:3], s[4:5], 4
	s_add_u32 s8, s6, s2
	s_addc_u32 s43, s7, s3
	s_ashr_i32 s3, s17, 31
	s_mov_b32 s2, s17
	s_lshl_b32 s18, s17, 1
	s_lshl_b64 s[20:21], s[2:3], 4
	s_lshl_b32 s44, s11, 4
	s_add_u32 s22, s8, 32
	v_add_u32_e32 v4, 16, v1
	s_mov_b32 s13, 0
	s_addc_u32 s23, s43, 0
	v_mul_lo_u32 v4, s10, v4
	s_add_i32 s47, s41, 16
	s_mov_b32 s12, 1
	v_or_b32_e32 v2, 8, v1
	v_mov_b32_e32 v3, 0
	s_mov_b32 s45, s13
	v_mul_lo_u32 v12, v0, s17
	s_mul_i32 s46, s17, s11
	v_add3_u32 v13, v4, v1, 0
	s_mul_i32 s47, s47, s11
	v_add_u32_e32 v14, 0, v1
	s_mov_b64 s[24:25], 0
	s_mov_b32 s26, s17
	s_branch .LBB205_8
.LBB205_7:                              ;   in Loop: Header=BB205_8 Depth=1
	s_or_b64 exec, exec, s[2:3]
	s_add_i32 s12, s12, 1
	s_add_u32 s24, s24, 16
	s_addc_u32 s25, s25, 0
	s_add_i32 s18, s18, s17
	s_add_u32 s22, s22, 16
	s_addc_u32 s23, s23, 0
	s_add_i32 s26, s26, s17
	s_cmp_eq_u32 s12, s10
	s_waitcnt lgkmcnt(0)
	s_barrier
	s_cbranch_scc1 .LBB205_29
.LBB205_8:                              ; =>This Loop Header: Depth=1
                                        ;     Child Loop BB205_12 Depth 2
                                        ;       Child Loop BB205_14 Depth 3
                                        ;     Child Loop BB205_20 Depth 2
                                        ;       Child Loop BB205_22 Depth 3
	;; [unrolled: 2-line block ×3, first 2 shown]
	s_mul_i32 s2, s12, s10
	s_not_b32 s49, s12
	s_lshl_b32 s2, s2, 4
	s_add_i32 s49, s49, s9
	s_add_i32 s48, s42, s2
	s_mov_b64 s[4:5], -1
	s_and_b64 vcc, exec, s[14:15]
	v_cmp_gt_u32_e64 s[2:3], s12, v0
	s_cbranch_vccz .LBB205_16
; %bb.9:                                ;   in Loop: Header=BB205_8 Depth=1
	s_and_saveexec_b64 s[28:29], s[2:3]
	s_cbranch_execz .LBB205_15
; %bb.10:                               ;   in Loop: Header=BB205_8 Depth=1
	s_ashr_i32 s19, s18, 31
	s_lshl_b64 s[2:3], s[18:19], 4
	s_add_u32 s2, s8, s2
	s_addc_u32 s3, s43, s3
	s_cmp_gt_i32 s49, 0
	s_cselect_b64 s[30:31], -1, 0
	s_lshl_b64 s[4:5], s[12:13], 4
	s_add_u32 s4, s16, s4
	s_addc_u32 s5, s40, s5
	s_load_dwordx4 s[4:7], s[4:5], 0x0
	s_mov_b64 s[34:35], 0
	v_pk_mov_b32 v[4:5], v[2:3], v[2:3] op_sel:[0,1]
	v_mov_b32_e32 v10, v0
	s_branch .LBB205_12
.LBB205_11:                             ;   in Loop: Header=BB205_12 Depth=2
	v_lshlrev_b32_e32 v11, 4, v10
	v_add_u32_e32 v15, s48, v11
	ds_read2_b64 v[16:19], v15 offset1:1
	s_waitcnt lgkmcnt(0)
	v_mul_f64 v[20:21], v[6:7], s[6:7]
	v_mul_f64 v[22:23], v[8:9], s[6:7]
	v_fma_f64 v[8:9], v[8:9], s[4:5], -v[20:21]
	v_fmac_f64_e32 v[22:23], s[4:5], v[6:7]
	v_add_u32_e32 v10, s11, v10
	v_add_f64 v[6:7], v[16:17], v[8:9]
	v_add_f64 v[8:9], v[22:23], v[18:19]
	v_add_u32_e32 v11, 0, v11
	v_cmp_le_u32_e32 vcc, s12, v10
	ds_write2_b64 v11, v[6:7], v[8:9] offset1:1
	v_mov_b32_e32 v6, s45
	s_or_b64 s[34:35], vcc, s[34:35]
	v_add_co_u32_e32 v4, vcc, s44, v4
	v_addc_co_u32_e32 v5, vcc, v5, v6, vcc
	s_andn2_b64 exec, exec, s[34:35]
	s_cbranch_execz .LBB205_15
.LBB205_12:                             ;   Parent Loop BB205_8 Depth=1
                                        ; =>  This Loop Header: Depth=2
                                        ;       Child Loop BB205_14 Depth 3
	v_pk_mov_b32 v[6:7], 0, 0
	s_andn2_b64 vcc, exec, s[30:31]
	v_pk_mov_b32 v[8:9], v[6:7], v[6:7] op_sel:[0,1]
	s_cbranch_vccnz .LBB205_11
; %bb.13:                               ;   in Loop: Header=BB205_12 Depth=2
	v_pk_mov_b32 v[6:7], 0, 0
	s_mov_b32 s19, 0
	s_mov_b64 s[36:37], s[2:3]
	v_pk_mov_b32 v[8:9], v[6:7], v[6:7] op_sel:[0,1]
.LBB205_14:                             ;   Parent Loop BB205_8 Depth=1
                                        ;     Parent Loop BB205_12 Depth=2
                                        ; =>    This Inner Loop Header: Depth=3
	v_mov_b32_e32 v11, s37
	v_add_co_u32_e32 v16, vcc, s36, v4
	v_addc_co_u32_e32 v17, vcc, v11, v5, vcc
	global_load_dwordx4 v[16:19], v[16:17], off offset:-8
	s_add_u32 s50, s36, s24
	s_addc_u32 s51, s37, s25
	s_load_dwordx4 s[52:55], s[50:51], 0x10
	s_add_i32 s19, s19, 1
	s_add_u32 s36, s36, s20
	s_addc_u32 s37, s37, s21
	s_cmp_ge_i32 s19, s49
	s_waitcnt vmcnt(0) lgkmcnt(0)
	v_mul_f64 v[20:21], s[54:55], v[18:19]
	v_mul_f64 v[22:23], s[54:55], v[16:17]
	v_fmac_f64_e32 v[20:21], s[52:53], v[16:17]
	v_fma_f64 v[16:17], s[52:53], v[18:19], -v[22:23]
	v_add_f64 v[8:9], v[8:9], v[20:21]
	v_add_f64 v[6:7], v[6:7], v[16:17]
	s_cbranch_scc0 .LBB205_14
	s_branch .LBB205_11
.LBB205_15:                             ;   in Loop: Header=BB205_8 Depth=1
	s_or_b64 exec, exec, s[28:29]
	s_mov_b64 s[4:5], 0
.LBB205_16:                             ;   in Loop: Header=BB205_8 Depth=1
	s_andn2_b64 vcc, exec, s[4:5]
	s_cbranch_vccnz .LBB205_24
; %bb.17:                               ;   in Loop: Header=BB205_8 Depth=1
	v_cmp_gt_u32_e32 vcc, s12, v0
	s_and_saveexec_b64 s[2:3], vcc
	s_cbranch_execz .LBB205_23
; %bb.18:                               ;   in Loop: Header=BB205_8 Depth=1
	s_ashr_i32 s27, s26, 31
	s_lshl_b64 s[28:29], s[26:27], 4
	s_cmp_gt_i32 s49, 0
	s_cselect_b64 s[30:31], -1, 0
	s_lshl_b64 s[4:5], s[12:13], 4
	s_add_u32 s4, s16, s4
	s_addc_u32 s5, s40, s5
	s_load_dwordx4 s[4:7], s[4:5], 0x0
	s_mov_b64 s[34:35], 0
	v_mov_b32_e32 v4, v12
	v_mov_b32_e32 v15, v0
	s_branch .LBB205_20
.LBB205_19:                             ;   in Loop: Header=BB205_20 Depth=2
	v_lshlrev_b32_e32 v5, 4, v15
	v_add_u32_e32 v10, s48, v5
	ds_read2_b64 v[16:19], v10 offset1:1
	s_waitcnt lgkmcnt(0)
	v_mul_f64 v[10:11], v[6:7], s[6:7]
	v_mul_f64 v[20:21], v[8:9], s[6:7]
	v_add_u32_e32 v15, s11, v15
	v_fma_f64 v[8:9], v[8:9], s[4:5], -v[10:11]
	v_fmac_f64_e32 v[20:21], s[4:5], v[6:7]
	v_cmp_le_u32_e32 vcc, s12, v15
	v_add_f64 v[6:7], v[16:17], v[8:9]
	v_add_f64 v[8:9], v[20:21], v[18:19]
	v_add_u32_e32 v5, 0, v5
	s_or_b64 s[34:35], vcc, s[34:35]
	v_add_u32_e32 v4, s46, v4
	ds_write2_b64 v5, v[6:7], v[8:9] offset1:1
	s_andn2_b64 exec, exec, s[34:35]
	s_cbranch_execz .LBB205_23
.LBB205_20:                             ;   Parent Loop BB205_8 Depth=1
                                        ; =>  This Loop Header: Depth=2
                                        ;       Child Loop BB205_22 Depth 3
	v_pk_mov_b32 v[6:7], 0, 0
	s_andn2_b64 vcc, exec, s[30:31]
	v_pk_mov_b32 v[8:9], v[6:7], v[6:7] op_sel:[0,1]
	s_cbranch_vccnz .LBB205_19
; %bb.21:                               ;   in Loop: Header=BB205_20 Depth=2
	v_ashrrev_i32_e32 v5, 31, v4
	v_pk_mov_b32 v[6:7], 0, 0
	v_lshlrev_b64 v[10:11], 4, v[4:5]
	s_mov_b32 s19, 0
	s_mov_b64 s[36:37], s[22:23]
	v_pk_mov_b32 v[8:9], v[6:7], v[6:7] op_sel:[0,1]
.LBB205_22:                             ;   Parent Loop BB205_8 Depth=1
                                        ;     Parent Loop BB205_20 Depth=2
                                        ; =>    This Inner Loop Header: Depth=3
	v_mov_b32_e32 v5, s37
	v_add_co_u32_e32 v16, vcc, s36, v10
	v_addc_co_u32_e32 v17, vcc, v5, v11, vcc
	global_load_dwordx4 v[16:19], v[16:17], off
	s_add_u32 s50, s36, s28
	s_addc_u32 s51, s37, s29
	s_load_dwordx4 s[52:55], s[50:51], 0x0
	s_add_i32 s19, s19, 1
	s_add_u32 s36, s36, 16
	s_addc_u32 s37, s37, 0
	s_cmp_ge_i32 s19, s49
	s_waitcnt vmcnt(0) lgkmcnt(0)
	v_mul_f64 v[20:21], v[18:19], s[54:55]
	v_mul_f64 v[18:19], v[18:19], s[52:53]
	v_fmac_f64_e32 v[20:21], s[52:53], v[16:17]
	v_fma_f64 v[16:17], v[16:17], s[54:55], -v[18:19]
	v_add_f64 v[8:9], v[8:9], v[20:21]
	v_add_f64 v[6:7], v[6:7], v[16:17]
	s_cbranch_scc0 .LBB205_22
	s_branch .LBB205_19
.LBB205_23:                             ;   in Loop: Header=BB205_8 Depth=1
	s_or_b64 exec, exec, s[2:3]
.LBB205_24:                             ;   in Loop: Header=BB205_8 Depth=1
	v_cmp_gt_u32_e32 vcc, s12, v0
	s_waitcnt lgkmcnt(0)
	s_barrier
	s_and_saveexec_b64 s[2:3], vcc
	s_cbranch_execz .LBB205_7
; %bb.25:                               ;   in Loop: Header=BB205_8 Depth=1
	s_mov_b64 s[4:5], 0
	v_mov_b32_e32 v8, v14
	v_mov_b32_e32 v9, v13
	;; [unrolled: 1-line block ×3, first 2 shown]
.LBB205_26:                             ;   Parent Loop BB205_8 Depth=1
                                        ; =>  This Loop Header: Depth=2
                                        ;       Child Loop BB205_27 Depth 3
	v_pk_mov_b32 v[4:5], 0, 0
	s_mov_b64 s[6:7], 0
	v_mov_b32_e32 v11, v8
	v_mov_b32_e32 v15, v9
	;; [unrolled: 1-line block ×3, first 2 shown]
	v_pk_mov_b32 v[6:7], v[4:5], v[4:5] op_sel:[0,1]
.LBB205_27:                             ;   Parent Loop BB205_8 Depth=1
                                        ;     Parent Loop BB205_26 Depth=2
                                        ; =>    This Inner Loop Header: Depth=3
	ds_read2_b64 v[18:21], v11 offset1:1
	ds_read2_b64 v[22:25], v15 offset1:1
	v_add_u32_e32 v16, 1, v16
	v_cmp_le_u32_e32 vcc, s12, v16
	v_add_u32_e32 v15, s41, v15
	v_add_u32_e32 v11, 16, v11
	s_waitcnt lgkmcnt(0)
	v_mul_f64 v[26:27], v[20:21], v[24:25]
	v_mul_f64 v[24:25], v[18:19], v[24:25]
	v_fma_f64 v[18:19], v[18:19], v[22:23], -v[26:27]
	v_fmac_f64_e32 v[24:25], v[20:21], v[22:23]
	s_or_b64 s[6:7], vcc, s[6:7]
	v_add_f64 v[4:5], v[4:5], v[18:19]
	v_add_f64 v[6:7], v[6:7], v[24:25]
	s_andn2_b64 exec, exec, s[6:7]
	s_cbranch_execnz .LBB205_27
; %bb.28:                               ;   in Loop: Header=BB205_26 Depth=2
	s_or_b64 exec, exec, s[6:7]
	v_lshl_add_u32 v11, v10, 4, s48
	v_add_u32_e32 v10, s11, v10
	v_cmp_le_u32_e32 vcc, s12, v10
	v_add_u32_e32 v9, s47, v9
	s_or_b64 s[4:5], vcc, s[4:5]
	v_add_u32_e32 v8, s44, v8
	ds_write2_b64 v11, v[4:5], v[6:7] offset1:1
	s_andn2_b64 exec, exec, s[4:5]
	s_cbranch_execnz .LBB205_26
	s_branch .LBB205_7
.LBB205_29:
	s_and_saveexec_b64 s[2:3], s[0:1]
	s_cbranch_execz .LBB205_34
; %bb.30:
	v_mad_u64_u32 v[2:3], s[0:1], v0, s33, v[0:1]
	v_add_u32_e32 v3, 16, v1
	s_lshl_b32 s7, s10, 4
	s_add_i32 s6, s33, 1
	v_mul_lo_u32 v3, s10, v3
	s_add_i32 s8, s7, 16
	s_mul_i32 s6, s6, s11
	v_add3_u32 v1, v3, v1, 0
	s_mul_i32 s8, s8, s11
	s_mov_b64 s[2:3], 0
	v_mov_b32_e32 v3, s39
.LBB205_31:                             ; =>This Loop Header: Depth=1
                                        ;     Child Loop BB205_32 Depth 2
	s_mov_b64 s[4:5], 0
	v_mov_b32_e32 v6, v1
	v_mov_b32_e32 v4, v2
	;; [unrolled: 1-line block ×3, first 2 shown]
.LBB205_32:                             ;   Parent Loop BB205_31 Depth=1
                                        ; =>  This Inner Loop Header: Depth=2
	ds_read2_b64 v[8:11], v6 offset1:1
	v_ashrrev_i32_e32 v5, 31, v4
	v_add_u32_e32 v7, 1, v7
	v_lshlrev_b64 v[12:13], 4, v[4:5]
	v_cmp_le_i32_e32 vcc, s10, v7
	v_add_co_u32_e64 v12, s[0:1], s38, v12
	v_add_u32_e32 v6, s7, v6
	v_add_u32_e32 v4, s33, v4
	v_addc_co_u32_e64 v13, s[0:1], v3, v13, s[0:1]
	s_or_b64 s[4:5], vcc, s[4:5]
	s_waitcnt lgkmcnt(0)
	global_store_dwordx4 v[12:13], v[8:11], off
	s_andn2_b64 exec, exec, s[4:5]
	s_cbranch_execnz .LBB205_32
; %bb.33:                               ;   in Loop: Header=BB205_31 Depth=1
	s_or_b64 exec, exec, s[4:5]
	v_add_u32_e32 v0, s11, v0
	v_cmp_le_i32_e32 vcc, s10, v0
	v_add_u32_e32 v2, s6, v2
	s_or_b64 s[2:3], vcc, s[2:3]
	v_add_u32_e32 v1, s8, v1
	s_andn2_b64 exec, exec, s[2:3]
	s_cbranch_execnz .LBB205_31
.LBB205_34:
	s_endpgm
	.section	.rodata,"a",@progbits
	.p2align	6, 0x0
	.amdhsa_kernel _ZN9rocsolver6v33100L20larft_kernel_forwardI19rocblas_complex_numIdEPKPS3_EEv15rocblas_storev_iiT0_iilPT_lSA_il
		.amdhsa_group_segment_fixed_size 0
		.amdhsa_private_segment_fixed_size 0
		.amdhsa_kernarg_size 336
		.amdhsa_user_sgpr_count 6
		.amdhsa_user_sgpr_private_segment_buffer 1
		.amdhsa_user_sgpr_dispatch_ptr 0
		.amdhsa_user_sgpr_queue_ptr 0
		.amdhsa_user_sgpr_kernarg_segment_ptr 1
		.amdhsa_user_sgpr_dispatch_id 0
		.amdhsa_user_sgpr_flat_scratch_init 0
		.amdhsa_user_sgpr_kernarg_preload_length 0
		.amdhsa_user_sgpr_kernarg_preload_offset 0
		.amdhsa_user_sgpr_private_segment_size 0
		.amdhsa_uses_dynamic_stack 0
		.amdhsa_system_sgpr_private_segment_wavefront_offset 0
		.amdhsa_system_sgpr_workgroup_id_x 1
		.amdhsa_system_sgpr_workgroup_id_y 1
		.amdhsa_system_sgpr_workgroup_id_z 0
		.amdhsa_system_sgpr_workgroup_info 0
		.amdhsa_system_vgpr_workitem_id 0
		.amdhsa_next_free_vgpr 28
		.amdhsa_next_free_sgpr 56
		.amdhsa_accum_offset 28
		.amdhsa_reserve_vcc 1
		.amdhsa_reserve_flat_scratch 0
		.amdhsa_float_round_mode_32 0
		.amdhsa_float_round_mode_16_64 0
		.amdhsa_float_denorm_mode_32 3
		.amdhsa_float_denorm_mode_16_64 3
		.amdhsa_dx10_clamp 1
		.amdhsa_ieee_mode 1
		.amdhsa_fp16_overflow 0
		.amdhsa_tg_split 0
		.amdhsa_exception_fp_ieee_invalid_op 0
		.amdhsa_exception_fp_denorm_src 0
		.amdhsa_exception_fp_ieee_div_zero 0
		.amdhsa_exception_fp_ieee_overflow 0
		.amdhsa_exception_fp_ieee_underflow 0
		.amdhsa_exception_fp_ieee_inexact 0
		.amdhsa_exception_int_div_zero 0
	.end_amdhsa_kernel
	.section	.text._ZN9rocsolver6v33100L20larft_kernel_forwardI19rocblas_complex_numIdEPKPS3_EEv15rocblas_storev_iiT0_iilPT_lSA_il,"axG",@progbits,_ZN9rocsolver6v33100L20larft_kernel_forwardI19rocblas_complex_numIdEPKPS3_EEv15rocblas_storev_iiT0_iilPT_lSA_il,comdat
.Lfunc_end205:
	.size	_ZN9rocsolver6v33100L20larft_kernel_forwardI19rocblas_complex_numIdEPKPS3_EEv15rocblas_storev_iiT0_iilPT_lSA_il, .Lfunc_end205-_ZN9rocsolver6v33100L20larft_kernel_forwardI19rocblas_complex_numIdEPKPS3_EEv15rocblas_storev_iiT0_iilPT_lSA_il
                                        ; -- End function
	.section	.AMDGPU.csdata,"",@progbits
; Kernel info:
; codeLenInByte = 1716
; NumSgprs: 60
; NumVgprs: 28
; NumAgprs: 0
; TotalNumVgprs: 28
; ScratchSize: 0
; MemoryBound: 0
; FloatMode: 240
; IeeeMode: 1
; LDSByteSize: 0 bytes/workgroup (compile time only)
; SGPRBlocks: 7
; VGPRBlocks: 3
; NumSGPRsForWavesPerEU: 60
; NumVGPRsForWavesPerEU: 28
; AccumOffset: 28
; Occupancy: 8
; WaveLimiterHint : 0
; COMPUTE_PGM_RSRC2:SCRATCH_EN: 0
; COMPUTE_PGM_RSRC2:USER_SGPR: 6
; COMPUTE_PGM_RSRC2:TRAP_HANDLER: 0
; COMPUTE_PGM_RSRC2:TGID_X_EN: 1
; COMPUTE_PGM_RSRC2:TGID_Y_EN: 1
; COMPUTE_PGM_RSRC2:TGID_Z_EN: 0
; COMPUTE_PGM_RSRC2:TIDIG_COMP_CNT: 0
; COMPUTE_PGM_RSRC3_GFX90A:ACCUM_OFFSET: 6
; COMPUTE_PGM_RSRC3_GFX90A:TG_SPLIT: 0
	.section	.text._ZN9rocsolver6v33100L13conj_in_placeI19rocblas_complex_numIdEiPKPS3_TnNSt9enable_ifIX18rocblas_is_complexIT_EEiE4typeELi0EEEvT0_SB_T1_lSB_l,"axG",@progbits,_ZN9rocsolver6v33100L13conj_in_placeI19rocblas_complex_numIdEiPKPS3_TnNSt9enable_ifIX18rocblas_is_complexIT_EEiE4typeELi0EEEvT0_SB_T1_lSB_l,comdat
	.globl	_ZN9rocsolver6v33100L13conj_in_placeI19rocblas_complex_numIdEiPKPS3_TnNSt9enable_ifIX18rocblas_is_complexIT_EEiE4typeELi0EEEvT0_SB_T1_lSB_l ; -- Begin function _ZN9rocsolver6v33100L13conj_in_placeI19rocblas_complex_numIdEiPKPS3_TnNSt9enable_ifIX18rocblas_is_complexIT_EEiE4typeELi0EEEvT0_SB_T1_lSB_l
	.p2align	8
	.type	_ZN9rocsolver6v33100L13conj_in_placeI19rocblas_complex_numIdEiPKPS3_TnNSt9enable_ifIX18rocblas_is_complexIT_EEiE4typeELi0EEEvT0_SB_T1_lSB_l,@function
_ZN9rocsolver6v33100L13conj_in_placeI19rocblas_complex_numIdEiPKPS3_TnNSt9enable_ifIX18rocblas_is_complexIT_EEiE4typeELi0EEEvT0_SB_T1_lSB_l: ; @_ZN9rocsolver6v33100L13conj_in_placeI19rocblas_complex_numIdEiPKPS3_TnNSt9enable_ifIX18rocblas_is_complexIT_EEiE4typeELi0EEEvT0_SB_T1_lSB_l
; %bb.0:
	s_load_dword s2, s[4:5], 0x34
	s_load_dwordx2 s[0:1], s[4:5], 0x0
	v_and_b32_e32 v1, 0x3ff, v0
	v_bfe_u32 v0, v0, 10, 10
	s_waitcnt lgkmcnt(0)
	s_lshr_b32 s3, s2, 16
	s_and_b32 s2, s2, 0xffff
	s_mul_i32 s6, s6, s2
	s_mul_i32 s7, s7, s3
	v_add_u32_e32 v2, s6, v1
	v_add_u32_e32 v0, s7, v0
	v_cmp_gt_i32_e32 vcc, s0, v2
	v_cmp_gt_i32_e64 s[0:1], s1, v0
	s_and_b64 s[0:1], vcc, s[0:1]
	s_and_saveexec_b64 s[2:3], s[0:1]
	s_cbranch_execz .LBB206_2
; %bb.1:
	s_load_dwordx4 s[0:3], s[4:5], 0x8
	s_load_dword s6, s[4:5], 0x18
	s_ashr_i32 s9, s8, 31
	s_lshl_b64 s[4:5], s[8:9], 3
	v_ashrrev_i32_e32 v3, 31, v2
	s_waitcnt lgkmcnt(0)
	s_add_u32 s0, s0, s4
	s_addc_u32 s1, s1, s5
	s_load_dwordx2 s[0:1], s[0:1], 0x0
	s_lshl_b64 s[2:3], s[2:3], 4
	v_mad_i64_i32 v[0:1], s[4:5], v0, s6, 0
	v_lshlrev_b64 v[4:5], 4, v[0:1]
	s_waitcnt lgkmcnt(0)
	s_add_u32 s0, s0, s2
	s_addc_u32 s1, s1, s3
	v_mov_b32_e32 v1, s1
	v_add_co_u32_e32 v6, vcc, s0, v4
	v_addc_co_u32_e32 v1, vcc, v1, v5, vcc
	v_lshlrev_b64 v[4:5], 4, v[2:3]
	v_add_co_u32_e32 v4, vcc, v6, v4
	v_addc_co_u32_e32 v5, vcc, v1, v5, vcc
	global_load_dwordx4 v[4:7], v[4:5], off
	v_add_u32_e32 v0, v0, v2
	v_ashrrev_i32_e32 v1, 31, v0
	v_lshlrev_b64 v[0:1], 4, v[0:1]
	v_mov_b32_e32 v2, s1
	v_add_co_u32_e32 v0, vcc, s0, v0
	v_addc_co_u32_e32 v1, vcc, v2, v1, vcc
	s_waitcnt vmcnt(0)
	v_xor_b32_e32 v7, 0x80000000, v7
	global_store_dwordx4 v[0:1], v[4:7], off
.LBB206_2:
	s_endpgm
	.section	.rodata,"a",@progbits
	.p2align	6, 0x0
	.amdhsa_kernel _ZN9rocsolver6v33100L13conj_in_placeI19rocblas_complex_numIdEiPKPS3_TnNSt9enable_ifIX18rocblas_is_complexIT_EEiE4typeELi0EEEvT0_SB_T1_lSB_l
		.amdhsa_group_segment_fixed_size 0
		.amdhsa_private_segment_fixed_size 0
		.amdhsa_kernarg_size 296
		.amdhsa_user_sgpr_count 6
		.amdhsa_user_sgpr_private_segment_buffer 1
		.amdhsa_user_sgpr_dispatch_ptr 0
		.amdhsa_user_sgpr_queue_ptr 0
		.amdhsa_user_sgpr_kernarg_segment_ptr 1
		.amdhsa_user_sgpr_dispatch_id 0
		.amdhsa_user_sgpr_flat_scratch_init 0
		.amdhsa_user_sgpr_kernarg_preload_length 0
		.amdhsa_user_sgpr_kernarg_preload_offset 0
		.amdhsa_user_sgpr_private_segment_size 0
		.amdhsa_uses_dynamic_stack 0
		.amdhsa_system_sgpr_private_segment_wavefront_offset 0
		.amdhsa_system_sgpr_workgroup_id_x 1
		.amdhsa_system_sgpr_workgroup_id_y 1
		.amdhsa_system_sgpr_workgroup_id_z 1
		.amdhsa_system_sgpr_workgroup_info 0
		.amdhsa_system_vgpr_workitem_id 1
		.amdhsa_next_free_vgpr 8
		.amdhsa_next_free_sgpr 10
		.amdhsa_accum_offset 8
		.amdhsa_reserve_vcc 1
		.amdhsa_reserve_flat_scratch 0
		.amdhsa_float_round_mode_32 0
		.amdhsa_float_round_mode_16_64 0
		.amdhsa_float_denorm_mode_32 3
		.amdhsa_float_denorm_mode_16_64 3
		.amdhsa_dx10_clamp 1
		.amdhsa_ieee_mode 1
		.amdhsa_fp16_overflow 0
		.amdhsa_tg_split 0
		.amdhsa_exception_fp_ieee_invalid_op 0
		.amdhsa_exception_fp_denorm_src 0
		.amdhsa_exception_fp_ieee_div_zero 0
		.amdhsa_exception_fp_ieee_overflow 0
		.amdhsa_exception_fp_ieee_underflow 0
		.amdhsa_exception_fp_ieee_inexact 0
		.amdhsa_exception_int_div_zero 0
	.end_amdhsa_kernel
	.section	.text._ZN9rocsolver6v33100L13conj_in_placeI19rocblas_complex_numIdEiPKPS3_TnNSt9enable_ifIX18rocblas_is_complexIT_EEiE4typeELi0EEEvT0_SB_T1_lSB_l,"axG",@progbits,_ZN9rocsolver6v33100L13conj_in_placeI19rocblas_complex_numIdEiPKPS3_TnNSt9enable_ifIX18rocblas_is_complexIT_EEiE4typeELi0EEEvT0_SB_T1_lSB_l,comdat
.Lfunc_end206:
	.size	_ZN9rocsolver6v33100L13conj_in_placeI19rocblas_complex_numIdEiPKPS3_TnNSt9enable_ifIX18rocblas_is_complexIT_EEiE4typeELi0EEEvT0_SB_T1_lSB_l, .Lfunc_end206-_ZN9rocsolver6v33100L13conj_in_placeI19rocblas_complex_numIdEiPKPS3_TnNSt9enable_ifIX18rocblas_is_complexIT_EEiE4typeELi0EEEvT0_SB_T1_lSB_l
                                        ; -- End function
	.section	.AMDGPU.csdata,"",@progbits
; Kernel info:
; codeLenInByte = 256
; NumSgprs: 14
; NumVgprs: 8
; NumAgprs: 0
; TotalNumVgprs: 8
; ScratchSize: 0
; MemoryBound: 0
; FloatMode: 240
; IeeeMode: 1
; LDSByteSize: 0 bytes/workgroup (compile time only)
; SGPRBlocks: 1
; VGPRBlocks: 0
; NumSGPRsForWavesPerEU: 14
; NumVGPRsForWavesPerEU: 8
; AccumOffset: 8
; Occupancy: 8
; WaveLimiterHint : 1
; COMPUTE_PGM_RSRC2:SCRATCH_EN: 0
; COMPUTE_PGM_RSRC2:USER_SGPR: 6
; COMPUTE_PGM_RSRC2:TRAP_HANDLER: 0
; COMPUTE_PGM_RSRC2:TGID_X_EN: 1
; COMPUTE_PGM_RSRC2:TGID_Y_EN: 1
; COMPUTE_PGM_RSRC2:TGID_Z_EN: 1
; COMPUTE_PGM_RSRC2:TIDIG_COMP_CNT: 1
; COMPUTE_PGM_RSRC3_GFX90A:ACCUM_OFFSET: 1
; COMPUTE_PGM_RSRC3_GFX90A:TG_SPLIT: 0
	.section	.text._ZN9rocsolver6v33100L21larft_kernel_backwardI19rocblas_complex_numIdEPKPS3_EEv15rocblas_storev_iiT0_iilPT_lSA_il,"axG",@progbits,_ZN9rocsolver6v33100L21larft_kernel_backwardI19rocblas_complex_numIdEPKPS3_EEv15rocblas_storev_iiT0_iilPT_lSA_il,comdat
	.globl	_ZN9rocsolver6v33100L21larft_kernel_backwardI19rocblas_complex_numIdEPKPS3_EEv15rocblas_storev_iiT0_iilPT_lSA_il ; -- Begin function _ZN9rocsolver6v33100L21larft_kernel_backwardI19rocblas_complex_numIdEPKPS3_EEv15rocblas_storev_iiT0_iilPT_lSA_il
	.p2align	8
	.type	_ZN9rocsolver6v33100L21larft_kernel_backwardI19rocblas_complex_numIdEPKPS3_EEv15rocblas_storev_iiT0_iilPT_lSA_il,@function
_ZN9rocsolver6v33100L21larft_kernel_backwardI19rocblas_complex_numIdEPKPS3_EEv15rocblas_storev_iiT0_iilPT_lSA_il: ; @_ZN9rocsolver6v33100L21larft_kernel_backwardI19rocblas_complex_numIdEPKPS3_EEv15rocblas_storev_iiT0_iilPT_lSA_il
; %bb.0:
	s_mov_b32 s6, s7
	s_load_dword s30, s[4:5], 0x40
	s_load_dwordx2 s[0:1], s[4:5], 0x48
	s_load_dword s7, s[4:5], 0x5c
	s_load_dwordx4 s[8:11], s[4:5], 0x0
	s_load_dwordx2 s[2:3], s[4:5], 0x10
	s_load_dwordx4 s[12:15], s[4:5], 0x28
	s_load_dwordx2 s[16:17], s[4:5], 0x38
	s_waitcnt lgkmcnt(0)
	s_and_b32 s11, s7, 0xffff
	s_ashr_i32 s7, s6, 31
	s_lshl_b64 s[18:19], s[6:7], 3
	s_add_u32 s2, s2, s18
	s_addc_u32 s3, s3, s19
	s_mul_i32 s1, s6, s1
	s_mul_hi_u32 s18, s6, s0
	s_load_dwordx2 s[2:3], s[2:3], 0x0
	s_add_i32 s1, s18, s1
	s_mul_i32 s18, s7, s0
	s_add_i32 s1, s1, s18
	s_mul_i32 s0, s6, s0
	s_lshl_b64 s[0:1], s[0:1], 4
	s_add_u32 s31, s16, s0
	s_addc_u32 s33, s17, s1
	v_cmp_gt_i32_e64 s[0:1], s10, v0
	v_add_u32_e32 v1, 1, v0
	s_and_saveexec_b64 s[16:17], s[0:1]
	s_cbranch_execz .LBB207_5
; %bb.1:
	s_lshl_b32 s22, s10, 4
	s_add_i32 s18, s22, 0
	v_add_u32_e32 v4, 1, v0
	v_lshl_add_u32 v5, v0, 4, s18
	s_lshl_b32 s23, s11, 4
	s_mov_b64 s[18:19], 0
	v_mov_b32_e32 v6, s33
	v_mov_b32_e32 v7, v0
.LBB207_2:                              ; =>This Loop Header: Depth=1
                                        ;     Child Loop BB207_3 Depth 2
	s_mov_b64 s[20:21], 0
	v_mov_b32_e32 v2, v7
	v_mov_b32_e32 v8, v5
	s_mov_b32 s24, 0
.LBB207_3:                              ;   Parent Loop BB207_2 Depth=1
                                        ; =>  This Inner Loop Header: Depth=2
	v_ashrrev_i32_e32 v3, 31, v2
	v_lshlrev_b64 v[10:11], 4, v[2:3]
	v_add_co_u32_e32 v10, vcc, s31, v10
	v_addc_co_u32_e32 v11, vcc, v6, v11, vcc
	global_load_dwordx4 v[10:13], v[10:11], off
	s_add_i32 s24, s24, 1
	v_cmp_eq_u32_e32 vcc, s24, v4
	v_add_u32_e32 v2, s30, v2
	s_or_b64 s[20:21], vcc, s[20:21]
	s_waitcnt vmcnt(0)
	ds_write2_b64 v8, v[10:11], v[12:13] offset1:1
	v_add_u32_e32 v8, s22, v8
	s_andn2_b64 exec, exec, s[20:21]
	s_cbranch_execnz .LBB207_3
; %bb.4:                                ;   in Loop: Header=BB207_2 Depth=1
	s_or_b64 exec, exec, s[20:21]
	v_add_u32_e32 v7, s11, v7
	v_cmp_le_i32_e32 vcc, s10, v7
	v_add_u32_e32 v4, s11, v4
	s_or_b64 s[18:19], vcc, s[18:19]
	v_add_u32_e32 v5, s23, v5
	s_andn2_b64 exec, exec, s[18:19]
	s_cbranch_execnz .LBB207_2
.LBB207_5:
	s_or_b64 exec, exec, s[16:17]
	s_cmp_lt_i32 s10, 2
	s_waitcnt lgkmcnt(0)
	s_barrier
	s_cbranch_scc1 .LBB207_29
; %bb.6:
	s_load_dwordx2 s[16:17], s[4:5], 0x18
	s_mul_i32 s4, s6, s15
	s_mul_hi_u32 s5, s6, s14
	s_add_i32 s15, s5, s4
	s_mul_i32 s7, s7, s14
	s_add_i32 s7, s15, s7
	s_mul_i32 s6, s6, s14
	s_waitcnt lgkmcnt(0)
	s_ashr_i32 s5, s16, 31
	s_lshl_b64 s[6:7], s[6:7], 4
	s_mov_b32 s4, s16
	s_add_u32 s16, s12, s6
	s_addc_u32 s34, s13, s7
	s_lshl_b32 s35, s10, 4
	s_add_i32 s36, s35, 0
	s_add_i32 s12, s10, -2
	s_sub_i32 s37, s9, s10
	s_mov_b32 s13, 0
	s_cmpk_lg_i32 s8, 0xb5
	s_cselect_b64 s[8:9], -1, 0
	s_lshl_b64 s[4:5], s[4:5], 4
	s_lshl_b64 s[6:7], s[12:13], 4
	s_add_u32 s14, s2, s6
	s_addc_u32 s15, s3, s7
	s_add_u32 s14, s14, s4
	v_lshlrev_b32_e32 v4, 4, v0
	s_addc_u32 s15, s15, s5
	v_mov_b32_e32 v2, s15
	v_add_co_u32_e32 v3, vcc, s14, v4
	s_ashr_i32 s15, s17, 31
	s_mov_b32 s14, s17
	s_lshl_b32 s38, s11, 4
	s_lshl_b64 s[14:15], s[14:15], 4
	s_add_u32 s2, s4, s2
	s_addc_u32 s3, s5, s3
	s_add_u32 s40, s2, 8
	s_addc_u32 s41, s3, 0
	;; [unrolled: 2-line block ×3, first 2 shown]
	s_add_i32 s2, s10, -1
	s_mul_i32 s20, s17, s2
	s_add_i32 s2, s35, 16
	v_addc_co_u32_e32 v5, vcc, 0, v2, vcc
	s_mul_i32 s2, s10, s2
	v_add_co_u32_e32 v2, vcc, 16, v3
	s_add_i32 s2, s2, 0
	v_addc_co_u32_e32 v3, vcc, 0, v5, vcc
	s_mov_b32 s39, s13
	s_mul_i32 s18, s17, s12
	v_mul_lo_u32 v12, v0, s17
	s_mul_i32 s44, s17, s11
	v_add3_u32 v13, s2, v4, -16
	s_xor_b32 s45, s35, -16
	s_branch .LBB207_8
.LBB207_7:                              ;   in Loop: Header=BB207_8 Depth=1
	s_or_b64 exec, exec, s[2:3]
	s_add_i32 s2, s12, -1
	s_add_u32 s42, s42, -16
	v_add_co_u32_e32 v2, vcc, -16, v2
	s_addc_u32 s43, s43, -1
	s_sub_i32 s18, s18, s17
	s_sub_i32 s20, s20, s17
	v_addc_co_u32_e32 v3, vcc, -1, v3, vcc
	v_add_u32_e32 v13, s45, v13
	s_cmp_lt_i32 s12, 1
	s_mov_b32 s12, s2
	s_waitcnt lgkmcnt(0)
	s_barrier
	s_cbranch_scc1 .LBB207_29
.LBB207_8:                              ; =>This Loop Header: Depth=1
                                        ;     Child Loop BB207_12 Depth 2
                                        ;       Child Loop BB207_14 Depth 3
                                        ;     Child Loop BB207_20 Depth 2
                                        ;       Child Loop BB207_22 Depth 3
	;; [unrolled: 2-line block ×3, first 2 shown]
	s_lshl_b32 s2, s12, 4
	s_not_b32 s46, s12
	s_add_i32 s47, s36, s2
	s_mul_i32 s2, s12, s10
	s_add_i32 s46, s46, s10
	s_lshl_b32 s2, s2, 4
	s_add_i32 s48, s12, s37
	s_add_i32 s47, s47, s2
	s_mov_b64 s[4:5], -1
	s_and_b64 vcc, exec, s[8:9]
	v_cmp_gt_i32_e64 s[2:3], s46, v0
	s_cbranch_vccz .LBB207_16
; %bb.9:                                ;   in Loop: Header=BB207_8 Depth=1
	s_and_saveexec_b64 s[22:23], s[2:3]
	s_cbranch_execz .LBB207_15
; %bb.10:                               ;   in Loop: Header=BB207_8 Depth=1
	s_cmp_gt_i32 s48, 0
	s_cselect_b64 s[2:3], -1, 0
	s_lshl_b64 s[4:5], s[12:13], 4
	s_add_u32 s4, s16, s4
	s_addc_u32 s5, s34, s5
	s_load_dwordx4 s[4:7], s[4:5], 0x0
	v_cndmask_b32_e64 v4, 0, 1, s[2:3]
	s_add_i32 s19, s47, 16
	s_mov_b64 s[24:25], 0
	v_cmp_ne_u32_e64 s[2:3], 1, v4
	v_pk_mov_b32 v[4:5], v[2:3], v[2:3] op_sel:[0,1]
	v_mov_b32_e32 v10, v0
	s_branch .LBB207_12
.LBB207_11:                             ;   in Loop: Header=BB207_12 Depth=2
	v_lshlrev_b32_e32 v11, 4, v10
	v_add_u32_e32 v14, s19, v11
	ds_read2_b64 v[14:17], v14 offset1:1
	s_waitcnt lgkmcnt(0)
	v_mul_f64 v[18:19], v[6:7], s[6:7]
	v_mul_f64 v[20:21], v[8:9], s[6:7]
	v_fma_f64 v[8:9], v[8:9], s[4:5], -v[18:19]
	v_fmac_f64_e32 v[20:21], s[4:5], v[6:7]
	v_add_u32_e32 v10, s11, v10
	v_add_f64 v[6:7], v[14:15], v[8:9]
	v_add_f64 v[8:9], v[20:21], v[16:17]
	v_add_u32_e32 v11, 0, v11
	v_cmp_le_i32_e32 vcc, s46, v10
	ds_write2_b64 v11, v[6:7], v[8:9] offset1:1
	v_mov_b32_e32 v6, s39
	s_or_b64 s[24:25], vcc, s[24:25]
	v_add_co_u32_e32 v4, vcc, s38, v4
	v_addc_co_u32_e32 v5, vcc, v5, v6, vcc
	s_andn2_b64 exec, exec, s[24:25]
	s_cbranch_execz .LBB207_15
.LBB207_12:                             ;   Parent Loop BB207_8 Depth=1
                                        ; =>  This Loop Header: Depth=2
                                        ;       Child Loop BB207_14 Depth 3
	v_pk_mov_b32 v[6:7], 0, 0
	s_and_b64 vcc, exec, s[2:3]
	v_pk_mov_b32 v[8:9], v[6:7], v[6:7] op_sel:[0,1]
	s_cbranch_vccnz .LBB207_11
; %bb.13:                               ;   in Loop: Header=BB207_12 Depth=2
	v_pk_mov_b32 v[6:7], 0, 0
	s_mov_b64 s[26:27], 0
	s_mov_b32 s21, 0
	v_pk_mov_b32 v[8:9], v[6:7], v[6:7] op_sel:[0,1]
.LBB207_14:                             ;   Parent Loop BB207_8 Depth=1
                                        ;     Parent Loop BB207_12 Depth=2
                                        ; =>    This Inner Loop Header: Depth=3
	v_mov_b32_e32 v11, s27
	v_add_co_u32_e32 v14, vcc, s26, v4
	v_addc_co_u32_e32 v15, vcc, v5, v11, vcc
	global_load_dwordx4 v[14:17], v[14:15], off
	s_add_u32 s28, s42, s26
	s_addc_u32 s29, s43, s27
	s_add_u32 s28, s28, -8
	s_addc_u32 s29, s29, -1
	s_load_dwordx4 s[52:55], s[28:29], 0x0
	s_add_i32 s21, s21, 1
	s_add_u32 s26, s26, s14
	s_addc_u32 s27, s27, s15
	s_cmp_ge_i32 s21, s48
	s_waitcnt vmcnt(0) lgkmcnt(0)
	v_mul_f64 v[18:19], s[54:55], v[16:17]
	v_mul_f64 v[20:21], s[54:55], v[14:15]
	v_fmac_f64_e32 v[18:19], s[52:53], v[14:15]
	v_fma_f64 v[14:15], s[52:53], v[16:17], -v[20:21]
	v_add_f64 v[8:9], v[8:9], v[18:19]
	v_add_f64 v[6:7], v[6:7], v[14:15]
	s_cbranch_scc0 .LBB207_14
	s_branch .LBB207_11
.LBB207_15:                             ;   in Loop: Header=BB207_8 Depth=1
	s_or_b64 exec, exec, s[22:23]
	s_mov_b64 s[4:5], 0
.LBB207_16:                             ;   in Loop: Header=BB207_8 Depth=1
	s_andn2_b64 vcc, exec, s[4:5]
	s_cbranch_vccnz .LBB207_24
; %bb.17:                               ;   in Loop: Header=BB207_8 Depth=1
	v_cmp_gt_i32_e32 vcc, s46, v0
	s_and_saveexec_b64 s[2:3], vcc
	s_cbranch_execz .LBB207_23
; %bb.18:                               ;   in Loop: Header=BB207_8 Depth=1
	s_ashr_i32 s19, s18, 31
	s_lshl_b64 s[4:5], s[18:19], 4
	s_add_u32 s22, s40, s4
	s_addc_u32 s23, s41, s5
	s_ashr_i32 s21, s20, 31
	s_lshl_b64 s[26:27], s[20:21], 4
	s_cmp_gt_i32 s48, 0
	s_cselect_b64 s[24:25], -1, 0
	s_lshl_b64 s[4:5], s[12:13], 4
	s_add_u32 s4, s16, s4
	s_addc_u32 s5, s34, s5
	s_load_dwordx4 s[4:7], s[4:5], 0x0
	s_add_i32 s19, s47, 16
	s_add_u32 s21, s40, s26
	s_addc_u32 s49, s41, s27
	s_mov_b64 s[26:27], 0
	v_mov_b32_e32 v4, v12
	v_mov_b32_e32 v14, v0
	s_branch .LBB207_20
.LBB207_19:                             ;   in Loop: Header=BB207_20 Depth=2
	v_lshlrev_b32_e32 v5, 4, v14
	v_add_u32_e32 v10, s19, v5
	ds_read2_b64 v[16:19], v10 offset1:1
	s_waitcnt lgkmcnt(0)
	v_mul_f64 v[10:11], v[6:7], s[6:7]
	v_mul_f64 v[20:21], v[8:9], s[6:7]
	v_add_u32_e32 v14, s11, v14
	v_fma_f64 v[8:9], v[8:9], s[4:5], -v[10:11]
	v_fmac_f64_e32 v[20:21], s[4:5], v[6:7]
	v_cmp_le_i32_e32 vcc, s46, v14
	v_add_f64 v[6:7], v[16:17], v[8:9]
	v_add_f64 v[8:9], v[20:21], v[18:19]
	v_add_u32_e32 v5, 0, v5
	s_or_b64 s[26:27], vcc, s[26:27]
	v_add_u32_e32 v4, s44, v4
	ds_write2_b64 v5, v[6:7], v[8:9] offset1:1
	s_andn2_b64 exec, exec, s[26:27]
	s_cbranch_execz .LBB207_23
.LBB207_20:                             ;   Parent Loop BB207_8 Depth=1
                                        ; =>  This Loop Header: Depth=2
                                        ;       Child Loop BB207_22 Depth 3
	v_pk_mov_b32 v[6:7], 0, 0
	s_andn2_b64 vcc, exec, s[24:25]
	v_pk_mov_b32 v[8:9], v[6:7], v[6:7] op_sel:[0,1]
	s_cbranch_vccnz .LBB207_19
; %bb.21:                               ;   in Loop: Header=BB207_20 Depth=2
	v_ashrrev_i32_e32 v5, 31, v4
	v_lshlrev_b64 v[6:7], 4, v[4:5]
	v_mov_b32_e32 v5, s49
	v_add_co_u32_e32 v10, vcc, s21, v6
	v_addc_co_u32_e32 v11, vcc, v5, v7, vcc
	v_pk_mov_b32 v[6:7], 0, 0
	s_mov_b32 s50, 0
	s_mov_b64 s[28:29], s[22:23]
	v_pk_mov_b32 v[8:9], v[6:7], v[6:7] op_sel:[0,1]
.LBB207_22:                             ;   Parent Loop BB207_8 Depth=1
                                        ;     Parent Loop BB207_20 Depth=2
                                        ; =>    This Inner Loop Header: Depth=3
	global_load_dwordx4 v[16:19], v[10:11], off offset:-8
	s_add_u32 s52, s28, -8
	s_addc_u32 s53, s29, -1
	s_load_dwordx4 s[52:55], s[52:53], 0x0
	s_add_i32 s50, s50, 1
	s_add_u32 s28, s28, 16
	v_add_co_u32_e32 v10, vcc, 16, v10
	s_addc_u32 s29, s29, 0
	v_addc_co_u32_e32 v11, vcc, 0, v11, vcc
	s_cmp_ge_i32 s50, s48
	s_waitcnt vmcnt(0) lgkmcnt(0)
	v_mul_f64 v[20:21], v[18:19], s[54:55]
	v_mul_f64 v[18:19], v[18:19], s[52:53]
	v_fmac_f64_e32 v[20:21], s[52:53], v[16:17]
	v_fma_f64 v[16:17], v[16:17], s[54:55], -v[18:19]
	v_add_f64 v[8:9], v[8:9], v[20:21]
	v_add_f64 v[6:7], v[6:7], v[16:17]
	s_cbranch_scc0 .LBB207_22
	s_branch .LBB207_19
.LBB207_23:                             ;   in Loop: Header=BB207_8 Depth=1
	s_or_b64 exec, exec, s[2:3]
.LBB207_24:                             ;   in Loop: Header=BB207_8 Depth=1
	v_cmp_gt_i32_e32 vcc, s46, v0
	s_waitcnt lgkmcnt(0)
	s_barrier
	s_and_saveexec_b64 s[2:3], vcc
	s_cbranch_execz .LBB207_7
; %bb.25:                               ;   in Loop: Header=BB207_8 Depth=1
	s_add_i32 s47, s47, 16
	s_mov_b64 s[4:5], 0
	v_mov_b32_e32 v8, v13
	v_mov_b32_e32 v9, v0
.LBB207_26:                             ;   Parent Loop BB207_8 Depth=1
                                        ; =>  This Loop Header: Depth=2
                                        ;       Child Loop BB207_27 Depth 3
	v_pk_mov_b32 v[4:5], 0, 0
	s_mov_b32 s19, -1
	s_mov_b32 s21, 0
	s_mov_b64 s[6:7], 0
	v_mov_b32_e32 v10, v8
	v_pk_mov_b32 v[6:7], v[4:5], v[4:5] op_sel:[0,1]
.LBB207_27:                             ;   Parent Loop BB207_8 Depth=1
                                        ;     Parent Loop BB207_26 Depth=2
                                        ; =>    This Inner Loop Header: Depth=3
	v_mov_b32_e32 v11, s21
	ds_read2_b64 v[14:17], v10 offset1:1
	ds_read2_b64 v[18:21], v11 offset1:1
	s_add_i32 s19, s19, 1
	s_add_i32 s21, s21, 16
	v_cmp_eq_u32_e32 vcc, s19, v9
	v_add_u32_e32 v10, s35, v10
	s_waitcnt lgkmcnt(0)
	v_mul_f64 v[22:23], v[20:21], v[16:17]
	v_mul_f64 v[16:17], v[18:19], v[16:17]
	v_fma_f64 v[18:19], v[18:19], v[14:15], -v[22:23]
	v_fmac_f64_e32 v[16:17], v[20:21], v[14:15]
	s_or_b64 s[6:7], vcc, s[6:7]
	v_add_f64 v[4:5], v[4:5], v[18:19]
	v_add_f64 v[6:7], v[6:7], v[16:17]
	s_andn2_b64 exec, exec, s[6:7]
	s_cbranch_execnz .LBB207_27
; %bb.28:                               ;   in Loop: Header=BB207_26 Depth=2
	s_or_b64 exec, exec, s[6:7]
	v_lshl_add_u32 v10, v9, 4, s47
	v_add_u32_e32 v9, s11, v9
	v_cmp_le_i32_e32 vcc, s46, v9
	s_or_b64 s[4:5], vcc, s[4:5]
	v_add_u32_e32 v8, s38, v8
	ds_write2_b64 v10, v[4:5], v[6:7] offset1:1
	s_andn2_b64 exec, exec, s[4:5]
	s_cbranch_execnz .LBB207_26
	s_branch .LBB207_7
.LBB207_29:
	s_and_saveexec_b64 s[2:3], s[0:1]
	s_cbranch_execz .LBB207_34
; %bb.30:
	s_lshl_b32 s6, s10, 4
	s_add_i32 s0, s6, 0
	v_lshl_add_u32 v4, v0, 4, s0
	s_lshl_b32 s7, s11, 4
	s_mov_b64 s[2:3], 0
	v_mov_b32_e32 v5, s33
.LBB207_31:                             ; =>This Loop Header: Depth=1
                                        ;     Child Loop BB207_32 Depth 2
	s_mov_b64 s[4:5], 0
	v_mov_b32_e32 v6, v4
	v_mov_b32_e32 v2, v0
	s_mov_b32 s8, 0
.LBB207_32:                             ;   Parent Loop BB207_31 Depth=1
                                        ; =>  This Inner Loop Header: Depth=2
	ds_read2_b64 v[8:11], v6 offset1:1
	v_ashrrev_i32_e32 v3, 31, v2
	s_add_i32 s8, s8, 1
	v_lshlrev_b64 v[12:13], 4, v[2:3]
	v_cmp_eq_u32_e32 vcc, s8, v1
	v_add_co_u32_e64 v12, s[0:1], s31, v12
	v_add_u32_e32 v6, s6, v6
	v_add_u32_e32 v2, s30, v2
	v_addc_co_u32_e64 v13, s[0:1], v5, v13, s[0:1]
	s_or_b64 s[4:5], vcc, s[4:5]
	s_waitcnt lgkmcnt(0)
	global_store_dwordx4 v[12:13], v[8:11], off
	s_andn2_b64 exec, exec, s[4:5]
	s_cbranch_execnz .LBB207_32
; %bb.33:                               ;   in Loop: Header=BB207_31 Depth=1
	s_or_b64 exec, exec, s[4:5]
	v_add_u32_e32 v0, s11, v0
	v_cmp_le_i32_e32 vcc, s10, v0
	v_add_u32_e32 v1, s11, v1
	s_or_b64 s[2:3], vcc, s[2:3]
	v_add_u32_e32 v4, s7, v4
	s_andn2_b64 exec, exec, s[2:3]
	s_cbranch_execnz .LBB207_31
.LBB207_34:
	s_endpgm
	.section	.rodata,"a",@progbits
	.p2align	6, 0x0
	.amdhsa_kernel _ZN9rocsolver6v33100L21larft_kernel_backwardI19rocblas_complex_numIdEPKPS3_EEv15rocblas_storev_iiT0_iilPT_lSA_il
		.amdhsa_group_segment_fixed_size 0
		.amdhsa_private_segment_fixed_size 0
		.amdhsa_kernarg_size 336
		.amdhsa_user_sgpr_count 6
		.amdhsa_user_sgpr_private_segment_buffer 1
		.amdhsa_user_sgpr_dispatch_ptr 0
		.amdhsa_user_sgpr_queue_ptr 0
		.amdhsa_user_sgpr_kernarg_segment_ptr 1
		.amdhsa_user_sgpr_dispatch_id 0
		.amdhsa_user_sgpr_flat_scratch_init 0
		.amdhsa_user_sgpr_kernarg_preload_length 0
		.amdhsa_user_sgpr_kernarg_preload_offset 0
		.amdhsa_user_sgpr_private_segment_size 0
		.amdhsa_uses_dynamic_stack 0
		.amdhsa_system_sgpr_private_segment_wavefront_offset 0
		.amdhsa_system_sgpr_workgroup_id_x 1
		.amdhsa_system_sgpr_workgroup_id_y 1
		.amdhsa_system_sgpr_workgroup_id_z 0
		.amdhsa_system_sgpr_workgroup_info 0
		.amdhsa_system_vgpr_workitem_id 0
		.amdhsa_next_free_vgpr 24
		.amdhsa_next_free_sgpr 56
		.amdhsa_accum_offset 24
		.amdhsa_reserve_vcc 1
		.amdhsa_reserve_flat_scratch 0
		.amdhsa_float_round_mode_32 0
		.amdhsa_float_round_mode_16_64 0
		.amdhsa_float_denorm_mode_32 3
		.amdhsa_float_denorm_mode_16_64 3
		.amdhsa_dx10_clamp 1
		.amdhsa_ieee_mode 1
		.amdhsa_fp16_overflow 0
		.amdhsa_tg_split 0
		.amdhsa_exception_fp_ieee_invalid_op 0
		.amdhsa_exception_fp_denorm_src 0
		.amdhsa_exception_fp_ieee_div_zero 0
		.amdhsa_exception_fp_ieee_overflow 0
		.amdhsa_exception_fp_ieee_underflow 0
		.amdhsa_exception_fp_ieee_inexact 0
		.amdhsa_exception_int_div_zero 0
	.end_amdhsa_kernel
	.section	.text._ZN9rocsolver6v33100L21larft_kernel_backwardI19rocblas_complex_numIdEPKPS3_EEv15rocblas_storev_iiT0_iilPT_lSA_il,"axG",@progbits,_ZN9rocsolver6v33100L21larft_kernel_backwardI19rocblas_complex_numIdEPKPS3_EEv15rocblas_storev_iiT0_iilPT_lSA_il,comdat
.Lfunc_end207:
	.size	_ZN9rocsolver6v33100L21larft_kernel_backwardI19rocblas_complex_numIdEPKPS3_EEv15rocblas_storev_iiT0_iilPT_lSA_il, .Lfunc_end207-_ZN9rocsolver6v33100L21larft_kernel_backwardI19rocblas_complex_numIdEPKPS3_EEv15rocblas_storev_iiT0_iilPT_lSA_il
                                        ; -- End function
	.section	.AMDGPU.csdata,"",@progbits
; Kernel info:
; codeLenInByte = 1772
; NumSgprs: 60
; NumVgprs: 24
; NumAgprs: 0
; TotalNumVgprs: 24
; ScratchSize: 0
; MemoryBound: 0
; FloatMode: 240
; IeeeMode: 1
; LDSByteSize: 0 bytes/workgroup (compile time only)
; SGPRBlocks: 7
; VGPRBlocks: 2
; NumSGPRsForWavesPerEU: 60
; NumVGPRsForWavesPerEU: 24
; AccumOffset: 24
; Occupancy: 8
; WaveLimiterHint : 0
; COMPUTE_PGM_RSRC2:SCRATCH_EN: 0
; COMPUTE_PGM_RSRC2:USER_SGPR: 6
; COMPUTE_PGM_RSRC2:TRAP_HANDLER: 0
; COMPUTE_PGM_RSRC2:TGID_X_EN: 1
; COMPUTE_PGM_RSRC2:TGID_Y_EN: 1
; COMPUTE_PGM_RSRC2:TGID_Z_EN: 0
; COMPUTE_PGM_RSRC2:TIDIG_COMP_CNT: 0
; COMPUTE_PGM_RSRC3_GFX90A:ACCUM_OFFSET: 5
; COMPUTE_PGM_RSRC3_GFX90A:TG_SPLIT: 0
	.section	.text._ZN9rocsolver6v33100L9copymatA1I19rocblas_complex_numIdEPKPS3_EEviiT0_iilPT_,"axG",@progbits,_ZN9rocsolver6v33100L9copymatA1I19rocblas_complex_numIdEPKPS3_EEviiT0_iilPT_,comdat
	.globl	_ZN9rocsolver6v33100L9copymatA1I19rocblas_complex_numIdEPKPS3_EEviiT0_iilPT_ ; -- Begin function _ZN9rocsolver6v33100L9copymatA1I19rocblas_complex_numIdEPKPS3_EEviiT0_iilPT_
	.p2align	8
	.type	_ZN9rocsolver6v33100L9copymatA1I19rocblas_complex_numIdEPKPS3_EEviiT0_iilPT_,@function
_ZN9rocsolver6v33100L9copymatA1I19rocblas_complex_numIdEPKPS3_EEviiT0_iilPT_: ; @_ZN9rocsolver6v33100L9copymatA1I19rocblas_complex_numIdEPKPS3_EEviiT0_iilPT_
; %bb.0:
	s_load_dword s0, s[4:5], 0x34
	s_load_dwordx2 s[2:3], s[4:5], 0x0
	v_and_b32_e32 v1, 0x3ff, v0
	v_bfe_u32 v0, v0, 10, 10
	s_waitcnt lgkmcnt(0)
	s_lshr_b32 s1, s0, 16
	s_and_b32 s0, s0, 0xffff
	s_mul_i32 s6, s6, s0
	s_mul_i32 s7, s7, s1
	v_add_u32_e32 v1, s6, v1
	v_add_u32_e32 v0, s7, v0
	v_cmp_gt_u32_e32 vcc, s2, v0
	v_cmp_gt_u32_e64 s[0:1], s3, v1
	s_and_b64 s[0:1], s[0:1], vcc
	s_and_saveexec_b64 s[6:7], s[0:1]
	s_cbranch_execz .LBB208_2
; %bb.1:
	s_load_dwordx4 s[12:15], s[4:5], 0x8
	s_load_dwordx2 s[0:1], s[4:5], 0x20
	s_ashr_i32 s4, s2, 31
	s_mul_hi_u32 s6, s2, s8
	s_mul_i32 s4, s4, s8
	s_ashr_i32 s5, s3, 31
	s_add_i32 s4, s6, s4
	s_mul_i32 s6, s2, s8
	s_mul_i32 s5, s6, s5
	s_mul_hi_u32 s7, s6, s3
	s_add_i32 s5, s7, s5
	s_mul_i32 s4, s4, s3
	s_add_i32 s5, s5, s4
	s_mul_i32 s4, s6, s3
	s_lshl_b64 s[4:5], s[4:5], 4
	s_mov_b32 s9, 0
	s_waitcnt lgkmcnt(0)
	s_add_u32 s3, s0, s4
	s_addc_u32 s6, s1, s5
	s_ashr_i32 s1, s14, 31
	s_lshl_b64 s[4:5], s[8:9], 3
	s_add_u32 s4, s12, s4
	s_addc_u32 s5, s13, s5
	s_load_dwordx2 s[4:5], s[4:5], 0x0
	s_mov_b32 s0, s14
	s_lshl_b64 s[0:1], s[0:1], 4
	s_waitcnt lgkmcnt(0)
	s_add_u32 s4, s4, s0
	s_addc_u32 s5, s5, s1
	v_mad_u64_u32 v[6:7], s[0:1], v1, s15, v[0:1]
	v_mov_b32_e32 v7, 0
	v_lshlrev_b64 v[2:3], 4, v[6:7]
	v_mov_b32_e32 v4, s5
	v_add_co_u32_e32 v2, vcc, s4, v2
	v_addc_co_u32_e32 v3, vcc, v4, v3, vcc
	global_load_dwordx4 v[2:5], v[2:3], off
	v_mad_u64_u32 v[0:1], s[0:1], v1, s2, v[0:1]
	v_mov_b32_e32 v1, v7
	v_lshlrev_b64 v[0:1], 4, v[0:1]
	v_mov_b32_e32 v6, s6
	v_add_co_u32_e32 v0, vcc, s3, v0
	v_addc_co_u32_e32 v1, vcc, v6, v1, vcc
	s_waitcnt vmcnt(0)
	global_store_dwordx4 v[0:1], v[2:5], off
.LBB208_2:
	s_endpgm
	.section	.rodata,"a",@progbits
	.p2align	6, 0x0
	.amdhsa_kernel _ZN9rocsolver6v33100L9copymatA1I19rocblas_complex_numIdEPKPS3_EEviiT0_iilPT_
		.amdhsa_group_segment_fixed_size 0
		.amdhsa_private_segment_fixed_size 0
		.amdhsa_kernarg_size 296
		.amdhsa_user_sgpr_count 6
		.amdhsa_user_sgpr_private_segment_buffer 1
		.amdhsa_user_sgpr_dispatch_ptr 0
		.amdhsa_user_sgpr_queue_ptr 0
		.amdhsa_user_sgpr_kernarg_segment_ptr 1
		.amdhsa_user_sgpr_dispatch_id 0
		.amdhsa_user_sgpr_flat_scratch_init 0
		.amdhsa_user_sgpr_kernarg_preload_length 0
		.amdhsa_user_sgpr_kernarg_preload_offset 0
		.amdhsa_user_sgpr_private_segment_size 0
		.amdhsa_uses_dynamic_stack 0
		.amdhsa_system_sgpr_private_segment_wavefront_offset 0
		.amdhsa_system_sgpr_workgroup_id_x 1
		.amdhsa_system_sgpr_workgroup_id_y 1
		.amdhsa_system_sgpr_workgroup_id_z 1
		.amdhsa_system_sgpr_workgroup_info 0
		.amdhsa_system_vgpr_workitem_id 1
		.amdhsa_next_free_vgpr 8
		.amdhsa_next_free_sgpr 16
		.amdhsa_accum_offset 8
		.amdhsa_reserve_vcc 1
		.amdhsa_reserve_flat_scratch 0
		.amdhsa_float_round_mode_32 0
		.amdhsa_float_round_mode_16_64 0
		.amdhsa_float_denorm_mode_32 3
		.amdhsa_float_denorm_mode_16_64 3
		.amdhsa_dx10_clamp 1
		.amdhsa_ieee_mode 1
		.amdhsa_fp16_overflow 0
		.amdhsa_tg_split 0
		.amdhsa_exception_fp_ieee_invalid_op 0
		.amdhsa_exception_fp_denorm_src 0
		.amdhsa_exception_fp_ieee_div_zero 0
		.amdhsa_exception_fp_ieee_overflow 0
		.amdhsa_exception_fp_ieee_underflow 0
		.amdhsa_exception_fp_ieee_inexact 0
		.amdhsa_exception_int_div_zero 0
	.end_amdhsa_kernel
	.section	.text._ZN9rocsolver6v33100L9copymatA1I19rocblas_complex_numIdEPKPS3_EEviiT0_iilPT_,"axG",@progbits,_ZN9rocsolver6v33100L9copymatA1I19rocblas_complex_numIdEPKPS3_EEviiT0_iilPT_,comdat
.Lfunc_end208:
	.size	_ZN9rocsolver6v33100L9copymatA1I19rocblas_complex_numIdEPKPS3_EEviiT0_iilPT_, .Lfunc_end208-_ZN9rocsolver6v33100L9copymatA1I19rocblas_complex_numIdEPKPS3_EEviiT0_iilPT_
                                        ; -- End function
	.section	.AMDGPU.csdata,"",@progbits
; Kernel info:
; codeLenInByte = 304
; NumSgprs: 20
; NumVgprs: 8
; NumAgprs: 0
; TotalNumVgprs: 8
; ScratchSize: 0
; MemoryBound: 0
; FloatMode: 240
; IeeeMode: 1
; LDSByteSize: 0 bytes/workgroup (compile time only)
; SGPRBlocks: 2
; VGPRBlocks: 0
; NumSGPRsForWavesPerEU: 20
; NumVGPRsForWavesPerEU: 8
; AccumOffset: 8
; Occupancy: 8
; WaveLimiterHint : 0
; COMPUTE_PGM_RSRC2:SCRATCH_EN: 0
; COMPUTE_PGM_RSRC2:USER_SGPR: 6
; COMPUTE_PGM_RSRC2:TRAP_HANDLER: 0
; COMPUTE_PGM_RSRC2:TGID_X_EN: 1
; COMPUTE_PGM_RSRC2:TGID_Y_EN: 1
; COMPUTE_PGM_RSRC2:TGID_Z_EN: 1
; COMPUTE_PGM_RSRC2:TIDIG_COMP_CNT: 1
; COMPUTE_PGM_RSRC3_GFX90A:ACCUM_OFFSET: 1
; COMPUTE_PGM_RSRC3_GFX90A:TG_SPLIT: 0
	.section	.text._ZN9rocsolver6v33100L8addmatA1I19rocblas_complex_numIdEPKPS3_EEviiT0_iilPT_,"axG",@progbits,_ZN9rocsolver6v33100L8addmatA1I19rocblas_complex_numIdEPKPS3_EEviiT0_iilPT_,comdat
	.globl	_ZN9rocsolver6v33100L8addmatA1I19rocblas_complex_numIdEPKPS3_EEviiT0_iilPT_ ; -- Begin function _ZN9rocsolver6v33100L8addmatA1I19rocblas_complex_numIdEPKPS3_EEviiT0_iilPT_
	.p2align	8
	.type	_ZN9rocsolver6v33100L8addmatA1I19rocblas_complex_numIdEPKPS3_EEviiT0_iilPT_,@function
_ZN9rocsolver6v33100L8addmatA1I19rocblas_complex_numIdEPKPS3_EEviiT0_iilPT_: ; @_ZN9rocsolver6v33100L8addmatA1I19rocblas_complex_numIdEPKPS3_EEviiT0_iilPT_
; %bb.0:
	s_load_dword s0, s[4:5], 0x34
	s_load_dwordx2 s[10:11], s[4:5], 0x0
	v_and_b32_e32 v1, 0x3ff, v0
	v_bfe_u32 v0, v0, 10, 10
	s_waitcnt lgkmcnt(0)
	s_lshr_b32 s1, s0, 16
	s_and_b32 s0, s0, 0xffff
	s_mul_i32 s6, s6, s0
	s_mul_i32 s7, s7, s1
	v_add_u32_e32 v1, s6, v1
	v_add_u32_e32 v0, s7, v0
	v_cmp_gt_u32_e32 vcc, s10, v0
	v_cmp_gt_u32_e64 s[0:1], s11, v1
	s_and_b64 s[0:1], s[0:1], vcc
	s_and_saveexec_b64 s[2:3], s[0:1]
	s_cbranch_execz .LBB209_2
; %bb.1:
	s_load_dwordx4 s[0:3], s[4:5], 0x8
	s_load_dwordx2 s[6:7], s[4:5], 0x20
	s_ashr_i32 s4, s10, 31
	s_mul_hi_u32 s12, s10, s8
	s_mul_i32 s4, s4, s8
	s_ashr_i32 s5, s11, 31
	s_add_i32 s4, s12, s4
	s_mul_i32 s12, s10, s8
	s_mul_i32 s5, s12, s5
	s_mul_hi_u32 s13, s12, s11
	s_add_i32 s5, s13, s5
	s_mul_i32 s4, s4, s11
	s_add_i32 s5, s5, s4
	s_mul_i32 s4, s12, s11
	s_lshl_b64 s[4:5], s[4:5], 4
	s_mov_b32 s9, 0
	s_waitcnt lgkmcnt(0)
	s_add_u32 s11, s6, s4
	s_addc_u32 s12, s7, s5
	s_ashr_i32 s5, s2, 31
	s_lshl_b64 s[6:7], s[8:9], 3
	s_add_u32 s0, s0, s6
	s_addc_u32 s1, s1, s7
	s_load_dwordx2 s[0:1], s[0:1], 0x0
	s_mov_b32 s4, s2
	s_lshl_b64 s[4:5], s[4:5], 4
	s_waitcnt lgkmcnt(0)
	s_add_u32 s2, s0, s4
	s_addc_u32 s4, s1, s5
	v_mad_u64_u32 v[2:3], s[0:1], v1, s10, v[0:1]
	v_mov_b32_e32 v3, 0
	v_lshlrev_b64 v[4:5], 4, v[2:3]
	v_mad_u64_u32 v[0:1], s[0:1], v1, s3, v[0:1]
	v_mov_b32_e32 v2, s12
	v_add_co_u32_e32 v8, vcc, s11, v4
	v_mov_b32_e32 v1, v3
	v_addc_co_u32_e32 v9, vcc, v2, v5, vcc
	v_lshlrev_b64 v[0:1], 4, v[0:1]
	v_mov_b32_e32 v2, s4
	v_add_co_u32_e32 v10, vcc, s2, v0
	v_addc_co_u32_e32 v11, vcc, v2, v1, vcc
	global_load_dwordx4 v[0:3], v[8:9], off
	global_load_dwordx4 v[4:7], v[10:11], off
	s_waitcnt vmcnt(0)
	v_add_f64 v[0:1], v[4:5], -v[0:1]
	v_add_f64 v[2:3], v[6:7], -v[2:3]
	global_store_dwordx4 v[10:11], v[0:3], off
.LBB209_2:
	s_endpgm
	.section	.rodata,"a",@progbits
	.p2align	6, 0x0
	.amdhsa_kernel _ZN9rocsolver6v33100L8addmatA1I19rocblas_complex_numIdEPKPS3_EEviiT0_iilPT_
		.amdhsa_group_segment_fixed_size 0
		.amdhsa_private_segment_fixed_size 0
		.amdhsa_kernarg_size 296
		.amdhsa_user_sgpr_count 6
		.amdhsa_user_sgpr_private_segment_buffer 1
		.amdhsa_user_sgpr_dispatch_ptr 0
		.amdhsa_user_sgpr_queue_ptr 0
		.amdhsa_user_sgpr_kernarg_segment_ptr 1
		.amdhsa_user_sgpr_dispatch_id 0
		.amdhsa_user_sgpr_flat_scratch_init 0
		.amdhsa_user_sgpr_kernarg_preload_length 0
		.amdhsa_user_sgpr_kernarg_preload_offset 0
		.amdhsa_user_sgpr_private_segment_size 0
		.amdhsa_uses_dynamic_stack 0
		.amdhsa_system_sgpr_private_segment_wavefront_offset 0
		.amdhsa_system_sgpr_workgroup_id_x 1
		.amdhsa_system_sgpr_workgroup_id_y 1
		.amdhsa_system_sgpr_workgroup_id_z 1
		.amdhsa_system_sgpr_workgroup_info 0
		.amdhsa_system_vgpr_workitem_id 1
		.amdhsa_next_free_vgpr 12
		.amdhsa_next_free_sgpr 14
		.amdhsa_accum_offset 12
		.amdhsa_reserve_vcc 1
		.amdhsa_reserve_flat_scratch 0
		.amdhsa_float_round_mode_32 0
		.amdhsa_float_round_mode_16_64 0
		.amdhsa_float_denorm_mode_32 3
		.amdhsa_float_denorm_mode_16_64 3
		.amdhsa_dx10_clamp 1
		.amdhsa_ieee_mode 1
		.amdhsa_fp16_overflow 0
		.amdhsa_tg_split 0
		.amdhsa_exception_fp_ieee_invalid_op 0
		.amdhsa_exception_fp_denorm_src 0
		.amdhsa_exception_fp_ieee_div_zero 0
		.amdhsa_exception_fp_ieee_overflow 0
		.amdhsa_exception_fp_ieee_underflow 0
		.amdhsa_exception_fp_ieee_inexact 0
		.amdhsa_exception_int_div_zero 0
	.end_amdhsa_kernel
	.section	.text._ZN9rocsolver6v33100L8addmatA1I19rocblas_complex_numIdEPKPS3_EEviiT0_iilPT_,"axG",@progbits,_ZN9rocsolver6v33100L8addmatA1I19rocblas_complex_numIdEPKPS3_EEviiT0_iilPT_,comdat
.Lfunc_end209:
	.size	_ZN9rocsolver6v33100L8addmatA1I19rocblas_complex_numIdEPKPS3_EEviiT0_iilPT_, .Lfunc_end209-_ZN9rocsolver6v33100L8addmatA1I19rocblas_complex_numIdEPKPS3_EEviiT0_iilPT_
                                        ; -- End function
	.section	.AMDGPU.csdata,"",@progbits
; Kernel info:
; codeLenInByte = 328
; NumSgprs: 18
; NumVgprs: 12
; NumAgprs: 0
; TotalNumVgprs: 12
; ScratchSize: 0
; MemoryBound: 0
; FloatMode: 240
; IeeeMode: 1
; LDSByteSize: 0 bytes/workgroup (compile time only)
; SGPRBlocks: 2
; VGPRBlocks: 1
; NumSGPRsForWavesPerEU: 18
; NumVGPRsForWavesPerEU: 12
; AccumOffset: 12
; Occupancy: 8
; WaveLimiterHint : 1
; COMPUTE_PGM_RSRC2:SCRATCH_EN: 0
; COMPUTE_PGM_RSRC2:USER_SGPR: 6
; COMPUTE_PGM_RSRC2:TRAP_HANDLER: 0
; COMPUTE_PGM_RSRC2:TGID_X_EN: 1
; COMPUTE_PGM_RSRC2:TGID_Y_EN: 1
; COMPUTE_PGM_RSRC2:TGID_Z_EN: 1
; COMPUTE_PGM_RSRC2:TIDIG_COMP_CNT: 1
; COMPUTE_PGM_RSRC3_GFX90A:ACCUM_OFFSET: 2
; COMPUTE_PGM_RSRC3_GFX90A:TG_SPLIT: 0
	.section	.text._ZN9rocsolver6v33100L8set_diagI19rocblas_complex_numIdEiS3_PKPS3_TnNSt9enable_ifIXoont18rocblas_is_complexIT_E18rocblas_is_complexIT1_EEiE4typeELi0EEEvPS9_llT2_lT0_lSE_b,"axG",@progbits,_ZN9rocsolver6v33100L8set_diagI19rocblas_complex_numIdEiS3_PKPS3_TnNSt9enable_ifIXoont18rocblas_is_complexIT_E18rocblas_is_complexIT1_EEiE4typeELi0EEEvPS9_llT2_lT0_lSE_b,comdat
	.globl	_ZN9rocsolver6v33100L8set_diagI19rocblas_complex_numIdEiS3_PKPS3_TnNSt9enable_ifIXoont18rocblas_is_complexIT_E18rocblas_is_complexIT1_EEiE4typeELi0EEEvPS9_llT2_lT0_lSE_b ; -- Begin function _ZN9rocsolver6v33100L8set_diagI19rocblas_complex_numIdEiS3_PKPS3_TnNSt9enable_ifIXoont18rocblas_is_complexIT_E18rocblas_is_complexIT1_EEiE4typeELi0EEEvPS9_llT2_lT0_lSE_b
	.p2align	8
	.type	_ZN9rocsolver6v33100L8set_diagI19rocblas_complex_numIdEiS3_PKPS3_TnNSt9enable_ifIXoont18rocblas_is_complexIT_E18rocblas_is_complexIT1_EEiE4typeELi0EEEvPS9_llT2_lT0_lSE_b,@function
_ZN9rocsolver6v33100L8set_diagI19rocblas_complex_numIdEiS3_PKPS3_TnNSt9enable_ifIXoont18rocblas_is_complexIT_E18rocblas_is_complexIT1_EEiE4typeELi0EEEvPS9_llT2_lT0_lSE_b: ; @_ZN9rocsolver6v33100L8set_diagI19rocblas_complex_numIdEiS3_PKPS3_TnNSt9enable_ifIXoont18rocblas_is_complexIT_E18rocblas_is_complexIT1_EEiE4typeELi0EEEvPS9_llT2_lT0_lSE_b
; %bb.0:
	s_load_dword s2, s[4:5], 0x4c
	s_load_dwordx2 s[0:1], s[4:5], 0x38
	v_bfe_u32 v0, v0, 10, 10
	s_waitcnt lgkmcnt(0)
	s_lshr_b32 s2, s2, 16
	s_mul_i32 s7, s7, s2
	v_add_u32_e32 v0, s7, v0
	v_cmp_gt_i32_e32 vcc, s0, v0
	s_and_saveexec_b64 s[2:3], vcc
	s_cbranch_execz .LBB210_5
; %bb.1:
	s_load_dwordx8 s[8:15], s[4:5], 0x0
	s_bitcmp1_b32 s1, 0
	s_cselect_b64 s[0:1], -1, 0
	s_ashr_i32 s7, s6, 31
	s_lshl_b64 s[2:3], s[6:7], 3
	s_waitcnt lgkmcnt(0)
	s_add_u32 s2, s14, s2
	s_addc_u32 s3, s15, s3
	s_load_dwordx2 s[14:15], s[4:5], 0x20
	s_load_dwordx2 s[16:17], s[2:3], 0x0
	s_load_dword s18, s[4:5], 0x28
	s_waitcnt lgkmcnt(0)
	s_lshl_b64 s[2:3], s[14:15], 4
	s_add_u32 s4, s16, s2
	s_addc_u32 s5, s17, s3
	v_mad_u64_u32 v[2:3], s[2:3], v0, s18, v[0:1]
	v_ashrrev_i32_e32 v3, 31, v2
	v_lshlrev_b64 v[2:3], 4, v[2:3]
	v_mov_b32_e32 v1, s5
	v_add_co_u32_e32 v4, vcc, s4, v2
	v_addc_co_u32_e32 v5, vcc, v1, v3, vcc
	global_load_dwordx4 v[6:9], v[4:5], off
	s_mul_i32 s3, s6, s13
	s_mul_hi_u32 s4, s6, s12
	s_mul_i32 s5, s7, s12
	s_add_i32 s3, s4, s3
	s_mul_i32 s2, s6, s12
	s_add_i32 s3, s3, s5
	s_lshl_b64 s[2:3], s[2:3], 4
	s_add_u32 s4, s8, s2
	s_addc_u32 s5, s9, s3
	s_lshl_b64 s[2:3], s[10:11], 4
	v_ashrrev_i32_e32 v1, 31, v0
	s_add_u32 s2, s4, s2
	v_lshlrev_b64 v[0:1], 4, v[0:1]
	s_addc_u32 s3, s5, s3
	s_and_b64 vcc, exec, s[0:1]
	v_mov_b32_e32 v2, s3
	v_add_co_u32_e64 v0, s[0:1], s2, v0
	v_addc_co_u32_e64 v1, s[0:1], v2, v1, s[0:1]
	s_waitcnt vmcnt(0)
	global_store_dwordx4 v[0:1], v[6:9], off
	s_cbranch_vccnz .LBB210_3
; %bb.2:
	global_load_dwordx4 v[0:3], v[4:5], off
	s_branch .LBB210_4
.LBB210_3:
	v_mov_b32_e32 v0, 0
	v_pk_mov_b32 v[2:3], 0, 0
	v_mov_b32_e32 v1, 0x3ff00000
.LBB210_4:
	s_waitcnt vmcnt(0)
	global_store_dwordx4 v[4:5], v[0:3], off
.LBB210_5:
	s_endpgm
	.section	.rodata,"a",@progbits
	.p2align	6, 0x0
	.amdhsa_kernel _ZN9rocsolver6v33100L8set_diagI19rocblas_complex_numIdEiS3_PKPS3_TnNSt9enable_ifIXoont18rocblas_is_complexIT_E18rocblas_is_complexIT1_EEiE4typeELi0EEEvPS9_llT2_lT0_lSE_b
		.amdhsa_group_segment_fixed_size 0
		.amdhsa_private_segment_fixed_size 0
		.amdhsa_kernarg_size 320
		.amdhsa_user_sgpr_count 6
		.amdhsa_user_sgpr_private_segment_buffer 1
		.amdhsa_user_sgpr_dispatch_ptr 0
		.amdhsa_user_sgpr_queue_ptr 0
		.amdhsa_user_sgpr_kernarg_segment_ptr 1
		.amdhsa_user_sgpr_dispatch_id 0
		.amdhsa_user_sgpr_flat_scratch_init 0
		.amdhsa_user_sgpr_kernarg_preload_length 0
		.amdhsa_user_sgpr_kernarg_preload_offset 0
		.amdhsa_user_sgpr_private_segment_size 0
		.amdhsa_uses_dynamic_stack 0
		.amdhsa_system_sgpr_private_segment_wavefront_offset 0
		.amdhsa_system_sgpr_workgroup_id_x 1
		.amdhsa_system_sgpr_workgroup_id_y 1
		.amdhsa_system_sgpr_workgroup_id_z 0
		.amdhsa_system_sgpr_workgroup_info 0
		.amdhsa_system_vgpr_workitem_id 1
		.amdhsa_next_free_vgpr 10
		.amdhsa_next_free_sgpr 19
		.amdhsa_accum_offset 12
		.amdhsa_reserve_vcc 1
		.amdhsa_reserve_flat_scratch 0
		.amdhsa_float_round_mode_32 0
		.amdhsa_float_round_mode_16_64 0
		.amdhsa_float_denorm_mode_32 3
		.amdhsa_float_denorm_mode_16_64 3
		.amdhsa_dx10_clamp 1
		.amdhsa_ieee_mode 1
		.amdhsa_fp16_overflow 0
		.amdhsa_tg_split 0
		.amdhsa_exception_fp_ieee_invalid_op 0
		.amdhsa_exception_fp_denorm_src 0
		.amdhsa_exception_fp_ieee_div_zero 0
		.amdhsa_exception_fp_ieee_overflow 0
		.amdhsa_exception_fp_ieee_underflow 0
		.amdhsa_exception_fp_ieee_inexact 0
		.amdhsa_exception_int_div_zero 0
	.end_amdhsa_kernel
	.section	.text._ZN9rocsolver6v33100L8set_diagI19rocblas_complex_numIdEiS3_PKPS3_TnNSt9enable_ifIXoont18rocblas_is_complexIT_E18rocblas_is_complexIT1_EEiE4typeELi0EEEvPS9_llT2_lT0_lSE_b,"axG",@progbits,_ZN9rocsolver6v33100L8set_diagI19rocblas_complex_numIdEiS3_PKPS3_TnNSt9enable_ifIXoont18rocblas_is_complexIT_E18rocblas_is_complexIT1_EEiE4typeELi0EEEvPS9_llT2_lT0_lSE_b,comdat
.Lfunc_end210:
	.size	_ZN9rocsolver6v33100L8set_diagI19rocblas_complex_numIdEiS3_PKPS3_TnNSt9enable_ifIXoont18rocblas_is_complexIT_E18rocblas_is_complexIT1_EEiE4typeELi0EEEvPS9_llT2_lT0_lSE_b, .Lfunc_end210-_ZN9rocsolver6v33100L8set_diagI19rocblas_complex_numIdEiS3_PKPS3_TnNSt9enable_ifIXoont18rocblas_is_complexIT_E18rocblas_is_complexIT1_EEiE4typeELi0EEEvPS9_llT2_lT0_lSE_b
                                        ; -- End function
	.section	.AMDGPU.csdata,"",@progbits
; Kernel info:
; codeLenInByte = 316
; NumSgprs: 23
; NumVgprs: 10
; NumAgprs: 0
; TotalNumVgprs: 10
; ScratchSize: 0
; MemoryBound: 1
; FloatMode: 240
; IeeeMode: 1
; LDSByteSize: 0 bytes/workgroup (compile time only)
; SGPRBlocks: 2
; VGPRBlocks: 1
; NumSGPRsForWavesPerEU: 23
; NumVGPRsForWavesPerEU: 10
; AccumOffset: 12
; Occupancy: 8
; WaveLimiterHint : 1
; COMPUTE_PGM_RSRC2:SCRATCH_EN: 0
; COMPUTE_PGM_RSRC2:USER_SGPR: 6
; COMPUTE_PGM_RSRC2:TRAP_HANDLER: 0
; COMPUTE_PGM_RSRC2:TGID_X_EN: 1
; COMPUTE_PGM_RSRC2:TGID_Y_EN: 1
; COMPUTE_PGM_RSRC2:TGID_Z_EN: 0
; COMPUTE_PGM_RSRC2:TIDIG_COMP_CNT: 1
; COMPUTE_PGM_RSRC3_GFX90A:ACCUM_OFFSET: 2
; COMPUTE_PGM_RSRC3_GFX90A:TG_SPLIT: 0
	.section	.text._ZN9rocsolver6v33100L12restore_diagI19rocblas_complex_numIdEiS3_PKPS3_EEvPT1_llT2_lT0_lSA_,"axG",@progbits,_ZN9rocsolver6v33100L12restore_diagI19rocblas_complex_numIdEiS3_PKPS3_EEvPT1_llT2_lT0_lSA_,comdat
	.globl	_ZN9rocsolver6v33100L12restore_diagI19rocblas_complex_numIdEiS3_PKPS3_EEvPT1_llT2_lT0_lSA_ ; -- Begin function _ZN9rocsolver6v33100L12restore_diagI19rocblas_complex_numIdEiS3_PKPS3_EEvPT1_llT2_lT0_lSA_
	.p2align	8
	.type	_ZN9rocsolver6v33100L12restore_diagI19rocblas_complex_numIdEiS3_PKPS3_EEvPT1_llT2_lT0_lSA_,@function
_ZN9rocsolver6v33100L12restore_diagI19rocblas_complex_numIdEiS3_PKPS3_EEvPT1_llT2_lT0_lSA_: ; @_ZN9rocsolver6v33100L12restore_diagI19rocblas_complex_numIdEiS3_PKPS3_EEvPT1_llT2_lT0_lSA_
; %bb.0:
	s_load_dword s0, s[4:5], 0x4c
	s_load_dword s1, s[4:5], 0x38
	v_bfe_u32 v0, v0, 10, 10
	s_waitcnt lgkmcnt(0)
	s_lshr_b32 s0, s0, 16
	s_mul_i32 s7, s7, s0
	v_add_u32_e32 v0, s7, v0
	v_cmp_gt_i32_e32 vcc, s1, v0
	s_and_saveexec_b64 s[0:1], vcc
	s_cbranch_execz .LBB211_2
; %bb.1:
	s_load_dwordx8 s[8:15], s[4:5], 0x0
	s_ashr_i32 s7, s6, 31
	s_lshl_b64 s[0:1], s[6:7], 3
	s_waitcnt lgkmcnt(0)
	s_add_u32 s0, s14, s0
	s_addc_u32 s1, s15, s1
	s_load_dwordx2 s[2:3], s[4:5], 0x20
	s_load_dwordx2 s[14:15], s[0:1], 0x0
	s_load_dword s16, s[4:5], 0x28
	s_mul_i32 s4, s6, s13
	s_mul_hi_u32 s5, s6, s12
	s_waitcnt lgkmcnt(0)
	s_lshl_b64 s[0:1], s[2:3], 4
	s_add_u32 s2, s14, s0
	s_addc_u32 s3, s15, s1
	s_add_i32 s0, s5, s4
	s_mul_i32 s1, s7, s12
	s_add_i32 s1, s0, s1
	s_mul_i32 s0, s6, s12
	s_lshl_b64 s[0:1], s[0:1], 4
	s_add_u32 s4, s8, s0
	s_addc_u32 s5, s9, s1
	s_lshl_b64 s[0:1], s[10:11], 4
	s_add_u32 s4, s4, s0
	s_addc_u32 s5, s5, s1
	v_mad_u64_u32 v[4:5], s[0:1], v0, s16, v[0:1]
	v_ashrrev_i32_e32 v1, 31, v0
	v_lshlrev_b64 v[0:1], 4, v[0:1]
	v_mov_b32_e32 v2, s5
	v_add_co_u32_e32 v0, vcc, s4, v0
	v_addc_co_u32_e32 v1, vcc, v2, v1, vcc
	global_load_dwordx4 v[0:3], v[0:1], off
	v_ashrrev_i32_e32 v5, 31, v4
	v_lshlrev_b64 v[4:5], 4, v[4:5]
	v_mov_b32_e32 v6, s3
	v_add_co_u32_e32 v4, vcc, s2, v4
	v_addc_co_u32_e32 v5, vcc, v6, v5, vcc
	s_waitcnt vmcnt(0)
	global_store_dwordx4 v[4:5], v[0:3], off
.LBB211_2:
	s_endpgm
	.section	.rodata,"a",@progbits
	.p2align	6, 0x0
	.amdhsa_kernel _ZN9rocsolver6v33100L12restore_diagI19rocblas_complex_numIdEiS3_PKPS3_EEvPT1_llT2_lT0_lSA_
		.amdhsa_group_segment_fixed_size 0
		.amdhsa_private_segment_fixed_size 0
		.amdhsa_kernarg_size 320
		.amdhsa_user_sgpr_count 6
		.amdhsa_user_sgpr_private_segment_buffer 1
		.amdhsa_user_sgpr_dispatch_ptr 0
		.amdhsa_user_sgpr_queue_ptr 0
		.amdhsa_user_sgpr_kernarg_segment_ptr 1
		.amdhsa_user_sgpr_dispatch_id 0
		.amdhsa_user_sgpr_flat_scratch_init 0
		.amdhsa_user_sgpr_kernarg_preload_length 0
		.amdhsa_user_sgpr_kernarg_preload_offset 0
		.amdhsa_user_sgpr_private_segment_size 0
		.amdhsa_uses_dynamic_stack 0
		.amdhsa_system_sgpr_private_segment_wavefront_offset 0
		.amdhsa_system_sgpr_workgroup_id_x 1
		.amdhsa_system_sgpr_workgroup_id_y 1
		.amdhsa_system_sgpr_workgroup_id_z 0
		.amdhsa_system_sgpr_workgroup_info 0
		.amdhsa_system_vgpr_workitem_id 1
		.amdhsa_next_free_vgpr 7
		.amdhsa_next_free_sgpr 17
		.amdhsa_accum_offset 8
		.amdhsa_reserve_vcc 1
		.amdhsa_reserve_flat_scratch 0
		.amdhsa_float_round_mode_32 0
		.amdhsa_float_round_mode_16_64 0
		.amdhsa_float_denorm_mode_32 3
		.amdhsa_float_denorm_mode_16_64 3
		.amdhsa_dx10_clamp 1
		.amdhsa_ieee_mode 1
		.amdhsa_fp16_overflow 0
		.amdhsa_tg_split 0
		.amdhsa_exception_fp_ieee_invalid_op 0
		.amdhsa_exception_fp_denorm_src 0
		.amdhsa_exception_fp_ieee_div_zero 0
		.amdhsa_exception_fp_ieee_overflow 0
		.amdhsa_exception_fp_ieee_underflow 0
		.amdhsa_exception_fp_ieee_inexact 0
		.amdhsa_exception_int_div_zero 0
	.end_amdhsa_kernel
	.section	.text._ZN9rocsolver6v33100L12restore_diagI19rocblas_complex_numIdEiS3_PKPS3_EEvPT1_llT2_lT0_lSA_,"axG",@progbits,_ZN9rocsolver6v33100L12restore_diagI19rocblas_complex_numIdEiS3_PKPS3_EEvPT1_llT2_lT0_lSA_,comdat
.Lfunc_end211:
	.size	_ZN9rocsolver6v33100L12restore_diagI19rocblas_complex_numIdEiS3_PKPS3_EEvPT1_llT2_lT0_lSA_, .Lfunc_end211-_ZN9rocsolver6v33100L12restore_diagI19rocblas_complex_numIdEiS3_PKPS3_EEvPT1_llT2_lT0_lSA_
                                        ; -- End function
	.section	.AMDGPU.csdata,"",@progbits
; Kernel info:
; codeLenInByte = 248
; NumSgprs: 21
; NumVgprs: 7
; NumAgprs: 0
; TotalNumVgprs: 7
; ScratchSize: 0
; MemoryBound: 0
; FloatMode: 240
; IeeeMode: 1
; LDSByteSize: 0 bytes/workgroup (compile time only)
; SGPRBlocks: 2
; VGPRBlocks: 0
; NumSGPRsForWavesPerEU: 21
; NumVGPRsForWavesPerEU: 7
; AccumOffset: 8
; Occupancy: 8
; WaveLimiterHint : 1
; COMPUTE_PGM_RSRC2:SCRATCH_EN: 0
; COMPUTE_PGM_RSRC2:USER_SGPR: 6
; COMPUTE_PGM_RSRC2:TRAP_HANDLER: 0
; COMPUTE_PGM_RSRC2:TGID_X_EN: 1
; COMPUTE_PGM_RSRC2:TGID_Y_EN: 1
; COMPUTE_PGM_RSRC2:TGID_Z_EN: 0
; COMPUTE_PGM_RSRC2:TIDIG_COMP_CNT: 1
; COMPUTE_PGM_RSRC3_GFX90A:ACCUM_OFFSET: 1
; COMPUTE_PGM_RSRC3_GFX90A:TG_SPLIT: 0
	.section	.text._ZN9rocsolver6v33100L8set_zeroI19rocblas_complex_numIdEPKPS3_EEviiT0_iil13rocblas_fill_,"axG",@progbits,_ZN9rocsolver6v33100L8set_zeroI19rocblas_complex_numIdEPKPS3_EEviiT0_iil13rocblas_fill_,comdat
	.globl	_ZN9rocsolver6v33100L8set_zeroI19rocblas_complex_numIdEPKPS3_EEviiT0_iil13rocblas_fill_ ; -- Begin function _ZN9rocsolver6v33100L8set_zeroI19rocblas_complex_numIdEPKPS3_EEviiT0_iil13rocblas_fill_
	.p2align	8
	.type	_ZN9rocsolver6v33100L8set_zeroI19rocblas_complex_numIdEPKPS3_EEviiT0_iil13rocblas_fill_,@function
_ZN9rocsolver6v33100L8set_zeroI19rocblas_complex_numIdEPKPS3_EEviiT0_iil13rocblas_fill_: ; @_ZN9rocsolver6v33100L8set_zeroI19rocblas_complex_numIdEPKPS3_EEviiT0_iil13rocblas_fill_
; %bb.0:
	s_load_dword s2, s[4:5], 0x34
	s_load_dwordx2 s[0:1], s[4:5], 0x0
	v_and_b32_e32 v1, 0x3ff, v0
	v_bfe_u32 v0, v0, 10, 10
	s_waitcnt lgkmcnt(0)
	s_lshr_b32 s3, s2, 16
	s_and_b32 s2, s2, 0xffff
	s_mul_i32 s6, s6, s2
	s_mul_i32 s7, s7, s3
	v_add_u32_e32 v2, s6, v1
	v_add_u32_e32 v0, s7, v0
	v_cmp_gt_u32_e32 vcc, s0, v2
	v_cmp_gt_u32_e64 s[0:1], s1, v0
	s_and_b64 s[0:1], vcc, s[0:1]
	s_and_saveexec_b64 s[2:3], s[0:1]
	s_cbranch_execz .LBB212_12
; %bb.1:
	s_load_dword s6, s[4:5], 0x20
	s_waitcnt lgkmcnt(0)
	s_cmpk_lt_i32 s6, 0x7a
	s_cbranch_scc1 .LBB212_4
; %bb.2:
	s_cmpk_gt_i32 s6, 0x7a
	s_cbranch_scc0 .LBB212_5
; %bb.3:
	s_cmpk_eq_i32 s6, 0x7b
	s_cselect_b64 s[0:1], -1, 0
	s_cbranch_execz .LBB212_6
	s_branch .LBB212_7
.LBB212_4:
	s_mov_b64 s[0:1], 0
	s_cbranch_execnz .LBB212_8
	s_branch .LBB212_10
.LBB212_5:
	s_mov_b64 s[0:1], 0
.LBB212_6:
	v_cmp_gt_u32_e32 vcc, v0, v2
	s_andn2_b64 s[0:1], s[0:1], exec
	s_and_b64 s[2:3], vcc, exec
	s_or_b64 s[0:1], s[0:1], s[2:3]
.LBB212_7:
	s_branch .LBB212_10
.LBB212_8:
	s_cmpk_eq_i32 s6, 0x79
	s_cbranch_scc0 .LBB212_10
; %bb.9:
	v_cmp_gt_u32_e32 vcc, v2, v0
	s_andn2_b64 s[0:1], s[0:1], exec
	s_and_b64 s[2:3], vcc, exec
	s_or_b64 s[0:1], s[0:1], s[2:3]
.LBB212_10:
	s_and_b64 exec, exec, s[0:1]
	s_cbranch_execz .LBB212_12
; %bb.11:
	s_load_dwordx4 s[0:3], s[4:5], 0x8
	s_mov_b32 s9, 0
	s_lshl_b64 s[4:5], s[8:9], 3
	s_waitcnt lgkmcnt(0)
	s_ashr_i32 s7, s2, 31
	s_add_u32 s0, s0, s4
	s_addc_u32 s1, s1, s5
	s_load_dwordx2 s[0:1], s[0:1], 0x0
	s_mov_b32 s6, s2
	v_mad_u64_u32 v[0:1], s[2:3], v0, s3, v[2:3]
	s_lshl_b64 s[2:3], s[6:7], 4
	v_mov_b32_e32 v1, 0
	s_waitcnt lgkmcnt(0)
	s_add_u32 s0, s0, s2
	v_lshlrev_b64 v[2:3], 4, v[0:1]
	s_addc_u32 s1, s1, s3
	v_mov_b32_e32 v0, s1
	v_add_co_u32_e32 v4, vcc, s0, v2
	v_addc_co_u32_e32 v5, vcc, v0, v3, vcc
	v_mov_b32_e32 v0, v1
	v_mov_b32_e32 v2, v1
	;; [unrolled: 1-line block ×3, first 2 shown]
	global_store_dwordx4 v[4:5], v[0:3], off
.LBB212_12:
	s_endpgm
	.section	.rodata,"a",@progbits
	.p2align	6, 0x0
	.amdhsa_kernel _ZN9rocsolver6v33100L8set_zeroI19rocblas_complex_numIdEPKPS3_EEviiT0_iil13rocblas_fill_
		.amdhsa_group_segment_fixed_size 0
		.amdhsa_private_segment_fixed_size 0
		.amdhsa_kernarg_size 296
		.amdhsa_user_sgpr_count 6
		.amdhsa_user_sgpr_private_segment_buffer 1
		.amdhsa_user_sgpr_dispatch_ptr 0
		.amdhsa_user_sgpr_queue_ptr 0
		.amdhsa_user_sgpr_kernarg_segment_ptr 1
		.amdhsa_user_sgpr_dispatch_id 0
		.amdhsa_user_sgpr_flat_scratch_init 0
		.amdhsa_user_sgpr_kernarg_preload_length 0
		.amdhsa_user_sgpr_kernarg_preload_offset 0
		.amdhsa_user_sgpr_private_segment_size 0
		.amdhsa_uses_dynamic_stack 0
		.amdhsa_system_sgpr_private_segment_wavefront_offset 0
		.amdhsa_system_sgpr_workgroup_id_x 1
		.amdhsa_system_sgpr_workgroup_id_y 1
		.amdhsa_system_sgpr_workgroup_id_z 1
		.amdhsa_system_sgpr_workgroup_info 0
		.amdhsa_system_vgpr_workitem_id 1
		.amdhsa_next_free_vgpr 6
		.amdhsa_next_free_sgpr 10
		.amdhsa_accum_offset 8
		.amdhsa_reserve_vcc 1
		.amdhsa_reserve_flat_scratch 0
		.amdhsa_float_round_mode_32 0
		.amdhsa_float_round_mode_16_64 0
		.amdhsa_float_denorm_mode_32 3
		.amdhsa_float_denorm_mode_16_64 3
		.amdhsa_dx10_clamp 1
		.amdhsa_ieee_mode 1
		.amdhsa_fp16_overflow 0
		.amdhsa_tg_split 0
		.amdhsa_exception_fp_ieee_invalid_op 0
		.amdhsa_exception_fp_denorm_src 0
		.amdhsa_exception_fp_ieee_div_zero 0
		.amdhsa_exception_fp_ieee_overflow 0
		.amdhsa_exception_fp_ieee_underflow 0
		.amdhsa_exception_fp_ieee_inexact 0
		.amdhsa_exception_int_div_zero 0
	.end_amdhsa_kernel
	.section	.text._ZN9rocsolver6v33100L8set_zeroI19rocblas_complex_numIdEPKPS3_EEviiT0_iil13rocblas_fill_,"axG",@progbits,_ZN9rocsolver6v33100L8set_zeroI19rocblas_complex_numIdEPKPS3_EEviiT0_iil13rocblas_fill_,comdat
.Lfunc_end212:
	.size	_ZN9rocsolver6v33100L8set_zeroI19rocblas_complex_numIdEPKPS3_EEviiT0_iil13rocblas_fill_, .Lfunc_end212-_ZN9rocsolver6v33100L8set_zeroI19rocblas_complex_numIdEPKPS3_EEviiT0_iil13rocblas_fill_
                                        ; -- End function
	.section	.AMDGPU.csdata,"",@progbits
; Kernel info:
; codeLenInByte = 316
; NumSgprs: 14
; NumVgprs: 6
; NumAgprs: 0
; TotalNumVgprs: 6
; ScratchSize: 0
; MemoryBound: 0
; FloatMode: 240
; IeeeMode: 1
; LDSByteSize: 0 bytes/workgroup (compile time only)
; SGPRBlocks: 1
; VGPRBlocks: 0
; NumSGPRsForWavesPerEU: 14
; NumVGPRsForWavesPerEU: 6
; AccumOffset: 8
; Occupancy: 8
; WaveLimiterHint : 1
; COMPUTE_PGM_RSRC2:SCRATCH_EN: 0
; COMPUTE_PGM_RSRC2:USER_SGPR: 6
; COMPUTE_PGM_RSRC2:TRAP_HANDLER: 0
; COMPUTE_PGM_RSRC2:TGID_X_EN: 1
; COMPUTE_PGM_RSRC2:TGID_Y_EN: 1
; COMPUTE_PGM_RSRC2:TGID_Z_EN: 1
; COMPUTE_PGM_RSRC2:TIDIG_COMP_CNT: 1
; COMPUTE_PGM_RSRC3_GFX90A:ACCUM_OFFSET: 1
; COMPUTE_PGM_RSRC3_GFX90A:TG_SPLIT: 0
	.section	.text._ZN9rocsolver6v33100L16org2r_init_identI19rocblas_complex_numIdEPKPS3_EEviiiT0_iil,"axG",@progbits,_ZN9rocsolver6v33100L16org2r_init_identI19rocblas_complex_numIdEPKPS3_EEviiiT0_iil,comdat
	.globl	_ZN9rocsolver6v33100L16org2r_init_identI19rocblas_complex_numIdEPKPS3_EEviiiT0_iil ; -- Begin function _ZN9rocsolver6v33100L16org2r_init_identI19rocblas_complex_numIdEPKPS3_EEviiiT0_iil
	.p2align	8
	.type	_ZN9rocsolver6v33100L16org2r_init_identI19rocblas_complex_numIdEPKPS3_EEviiiT0_iil,@function
_ZN9rocsolver6v33100L16org2r_init_identI19rocblas_complex_numIdEPKPS3_EEviiiT0_iil: ; @_ZN9rocsolver6v33100L16org2r_init_identI19rocblas_complex_numIdEPKPS3_EEviiiT0_iil
; %bb.0:
	s_load_dword s0, s[4:5], 0x34
	s_load_dwordx4 s[12:15], s[4:5], 0x0
	v_bfe_u32 v1, v0, 10, 10
	v_and_b32_e32 v0, 0x3ff, v0
	s_waitcnt lgkmcnt(0)
	s_lshr_b32 s1, s0, 16
	s_and_b32 s0, s0, 0xffff
	s_mul_i32 s7, s7, s1
	s_mul_i32 s6, s6, s0
	v_add_u32_e32 v2, s7, v1
	v_add_u32_e32 v4, s6, v0
	v_cmp_gt_u32_e32 vcc, s12, v4
	v_cmp_gt_u32_e64 s[0:1], s13, v2
	s_and_b64 s[0:1], vcc, s[0:1]
	s_and_saveexec_b64 s[2:3], s[0:1]
	s_cbranch_execz .LBB213_5
; %bb.1:
	s_load_dwordx4 s[0:3], s[4:5], 0x10
	s_mov_b32 s9, 0
	s_lshl_b64 s[4:5], s[8:9], 3
	v_cmp_ne_u32_e32 vcc, v4, v2
                                        ; implicit-def: $vgpr0_vgpr1
	s_waitcnt lgkmcnt(0)
	s_ashr_i32 s7, s2, 31
	s_add_u32 s0, s0, s4
	s_addc_u32 s1, s1, s5
	s_load_dwordx2 s[0:1], s[0:1], 0x0
	s_mov_b32 s6, s2
	s_lshl_b64 s[4:5], s[6:7], 4
	s_waitcnt lgkmcnt(0)
	s_add_u32 s2, s0, s4
	s_addc_u32 s10, s1, s5
	s_mov_b64 s[4:5], 0
	s_and_saveexec_b64 s[0:1], vcc
	s_xor_b64 s[0:1], exec, s[0:1]
	s_cbranch_execnz .LBB213_6
; %bb.2:
	s_andn2_saveexec_b64 s[0:1], s[0:1]
	s_cbranch_execnz .LBB213_13
.LBB213_3:
	s_or_b64 exec, exec, s[0:1]
	s_and_b64 exec, exec, s[4:5]
	s_cbranch_execz .LBB213_5
.LBB213_4:
	v_mov_b32_e32 v2, 0
	v_mov_b32_e32 v3, v2
	global_store_dwordx2 v[0:1], v[2:3], off
.LBB213_5:
	s_endpgm
.LBB213_6:
	v_cmp_le_u32_e32 vcc, v2, v4
                                        ; implicit-def: $vgpr0_vgpr1
	s_and_saveexec_b64 s[6:7], vcc
	s_xor_b64 s[6:7], exec, s[6:7]
	s_cbranch_execz .LBB213_10
; %bb.7:
	v_cmp_le_u32_e32 vcc, s14, v2
                                        ; implicit-def: $vgpr0_vgpr1
	s_and_saveexec_b64 s[8:9], vcc
	s_xor_b64 s[8:9], exec, s[8:9]
	s_cbranch_execz .LBB213_9
; %bb.8:
	v_mad_u64_u32 v[2:3], s[12:13], v2, s3, v[4:5]
	v_mov_b32_e32 v3, 0
	v_lshlrev_b64 v[0:1], 4, v[2:3]
	v_mov_b32_e32 v2, s10
	v_add_co_u32_e32 v4, vcc, s2, v0
	v_addc_co_u32_e32 v5, vcc, v2, v1, vcc
	v_add_co_u32_e32 v0, vcc, 8, v4
	s_mov_b64 s[4:5], exec
	v_addc_co_u32_e32 v1, vcc, 0, v5, vcc
	v_mov_b32_e32 v2, v3
	global_store_dwordx2 v[4:5], v[2:3], off
.LBB213_9:
	s_or_b64 exec, exec, s[8:9]
	s_and_b64 s[4:5], s[4:5], exec
                                        ; implicit-def: $vgpr4
                                        ; implicit-def: $vgpr2
.LBB213_10:
	s_andn2_saveexec_b64 s[6:7], s[6:7]
	s_cbranch_execz .LBB213_12
; %bb.11:
	v_mad_u64_u32 v[0:1], s[8:9], v2, s3, v[4:5]
	v_mov_b32_e32 v1, 0
	v_lshlrev_b64 v[2:3], 4, v[0:1]
	v_mov_b32_e32 v0, s10
	v_add_co_u32_e32 v2, vcc, s2, v2
	v_addc_co_u32_e32 v3, vcc, v0, v3, vcc
	v_mov_b32_e32 v0, v1
	global_store_dwordx2 v[2:3], v[0:1], off
	v_add_co_u32_e32 v0, vcc, 8, v2
	v_addc_co_u32_e32 v1, vcc, 0, v3, vcc
	s_or_b64 s[4:5], s[4:5], exec
.LBB213_12:
	s_or_b64 exec, exec, s[6:7]
	s_and_b64 s[4:5], s[4:5], exec
                                        ; implicit-def: $vgpr2
	s_andn2_saveexec_b64 s[0:1], s[0:1]
	s_cbranch_execz .LBB213_3
.LBB213_13:
	v_mad_u64_u32 v[0:1], s[6:7], v2, s3, v[2:3]
	v_mov_b32_e32 v1, 0
	v_lshlrev_b64 v[2:3], 4, v[0:1]
	v_mov_b32_e32 v0, s10
	v_add_co_u32_e32 v2, vcc, s2, v2
	v_addc_co_u32_e32 v3, vcc, v0, v3, vcc
	v_add_co_u32_e32 v0, vcc, 8, v2
	v_mov_b32_e32 v5, 0x3ff00000
	v_mov_b32_e32 v4, v1
	v_addc_co_u32_e32 v1, vcc, 0, v3, vcc
	s_or_b64 s[4:5], s[4:5], exec
	global_store_dwordx2 v[2:3], v[4:5], off
	s_or_b64 exec, exec, s[0:1]
	s_and_b64 exec, exec, s[4:5]
	s_cbranch_execnz .LBB213_4
	s_branch .LBB213_5
	.section	.rodata,"a",@progbits
	.p2align	6, 0x0
	.amdhsa_kernel _ZN9rocsolver6v33100L16org2r_init_identI19rocblas_complex_numIdEPKPS3_EEviiiT0_iil
		.amdhsa_group_segment_fixed_size 0
		.amdhsa_private_segment_fixed_size 0
		.amdhsa_kernarg_size 296
		.amdhsa_user_sgpr_count 6
		.amdhsa_user_sgpr_private_segment_buffer 1
		.amdhsa_user_sgpr_dispatch_ptr 0
		.amdhsa_user_sgpr_queue_ptr 0
		.amdhsa_user_sgpr_kernarg_segment_ptr 1
		.amdhsa_user_sgpr_dispatch_id 0
		.amdhsa_user_sgpr_flat_scratch_init 0
		.amdhsa_user_sgpr_kernarg_preload_length 0
		.amdhsa_user_sgpr_kernarg_preload_offset 0
		.amdhsa_user_sgpr_private_segment_size 0
		.amdhsa_uses_dynamic_stack 0
		.amdhsa_system_sgpr_private_segment_wavefront_offset 0
		.amdhsa_system_sgpr_workgroup_id_x 1
		.amdhsa_system_sgpr_workgroup_id_y 1
		.amdhsa_system_sgpr_workgroup_id_z 1
		.amdhsa_system_sgpr_workgroup_info 0
		.amdhsa_system_vgpr_workitem_id 1
		.amdhsa_next_free_vgpr 6
		.amdhsa_next_free_sgpr 16
		.amdhsa_accum_offset 8
		.amdhsa_reserve_vcc 1
		.amdhsa_reserve_flat_scratch 0
		.amdhsa_float_round_mode_32 0
		.amdhsa_float_round_mode_16_64 0
		.amdhsa_float_denorm_mode_32 3
		.amdhsa_float_denorm_mode_16_64 3
		.amdhsa_dx10_clamp 1
		.amdhsa_ieee_mode 1
		.amdhsa_fp16_overflow 0
		.amdhsa_tg_split 0
		.amdhsa_exception_fp_ieee_invalid_op 0
		.amdhsa_exception_fp_denorm_src 0
		.amdhsa_exception_fp_ieee_div_zero 0
		.amdhsa_exception_fp_ieee_overflow 0
		.amdhsa_exception_fp_ieee_underflow 0
		.amdhsa_exception_fp_ieee_inexact 0
		.amdhsa_exception_int_div_zero 0
	.end_amdhsa_kernel
	.section	.text._ZN9rocsolver6v33100L16org2r_init_identI19rocblas_complex_numIdEPKPS3_EEviiiT0_iil,"axG",@progbits,_ZN9rocsolver6v33100L16org2r_init_identI19rocblas_complex_numIdEPKPS3_EEviiiT0_iil,comdat
.Lfunc_end213:
	.size	_ZN9rocsolver6v33100L16org2r_init_identI19rocblas_complex_numIdEPKPS3_EEviiiT0_iil, .Lfunc_end213-_ZN9rocsolver6v33100L16org2r_init_identI19rocblas_complex_numIdEPKPS3_EEviiiT0_iil
                                        ; -- End function
	.section	.AMDGPU.csdata,"",@progbits
; Kernel info:
; codeLenInByte = 464
; NumSgprs: 20
; NumVgprs: 6
; NumAgprs: 0
; TotalNumVgprs: 6
; ScratchSize: 0
; MemoryBound: 0
; FloatMode: 240
; IeeeMode: 1
; LDSByteSize: 0 bytes/workgroup (compile time only)
; SGPRBlocks: 2
; VGPRBlocks: 0
; NumSGPRsForWavesPerEU: 20
; NumVGPRsForWavesPerEU: 6
; AccumOffset: 8
; Occupancy: 8
; WaveLimiterHint : 1
; COMPUTE_PGM_RSRC2:SCRATCH_EN: 0
; COMPUTE_PGM_RSRC2:USER_SGPR: 6
; COMPUTE_PGM_RSRC2:TRAP_HANDLER: 0
; COMPUTE_PGM_RSRC2:TGID_X_EN: 1
; COMPUTE_PGM_RSRC2:TGID_Y_EN: 1
; COMPUTE_PGM_RSRC2:TGID_Z_EN: 1
; COMPUTE_PGM_RSRC2:TIDIG_COMP_CNT: 1
; COMPUTE_PGM_RSRC3_GFX90A:ACCUM_OFFSET: 1
; COMPUTE_PGM_RSRC3_GFX90A:TG_SPLIT: 0
	.section	.text._ZN9rocsolver6v33100L12subtract_tauI19rocblas_complex_numIdEPKPS3_EEviiT0_iilPT_l,"axG",@progbits,_ZN9rocsolver6v33100L12subtract_tauI19rocblas_complex_numIdEPKPS3_EEviiT0_iilPT_l,comdat
	.globl	_ZN9rocsolver6v33100L12subtract_tauI19rocblas_complex_numIdEPKPS3_EEviiT0_iilPT_l ; -- Begin function _ZN9rocsolver6v33100L12subtract_tauI19rocblas_complex_numIdEPKPS3_EEviiT0_iilPT_l
	.p2align	8
	.type	_ZN9rocsolver6v33100L12subtract_tauI19rocblas_complex_numIdEPKPS3_EEviiT0_iilPT_l,@function
_ZN9rocsolver6v33100L12subtract_tauI19rocblas_complex_numIdEPKPS3_EEviiT0_iilPT_l: ; @_ZN9rocsolver6v33100L12subtract_tauI19rocblas_complex_numIdEPKPS3_EEviiT0_iilPT_l
; %bb.0:
	s_load_dwordx2 s[12:13], s[4:5], 0x10
	s_load_dwordx4 s[0:3], s[4:5], 0x0
	s_mov_b32 s7, 0
	s_load_dwordx4 s[8:11], s[4:5], 0x20
	s_lshl_b64 s[14:15], s[6:7], 3
	s_waitcnt lgkmcnt(0)
	s_ashr_i32 s5, s12, 31
	s_add_u32 s2, s2, s14
	s_addc_u32 s3, s3, s15
	s_load_dwordx2 s[2:3], s[2:3], 0x0
	s_mov_b32 s4, s12
	s_lshl_b64 s[4:5], s[4:5], 4
	s_mul_i32 s7, s6, s11
	s_mul_i32 s1, s13, s1
	s_waitcnt lgkmcnt(0)
	s_add_u32 s11, s2, s4
	s_mul_hi_u32 s2, s6, s10
	s_addc_u32 s12, s3, s5
	s_add_i32 s3, s2, s7
	s_mul_i32 s2, s6, s10
	s_lshl_b64 s[2:3], s[2:3], 4
	s_add_u32 s2, s8, s2
	s_addc_u32 s3, s9, s3
	s_load_dwordx4 s[4:7], s[2:3], 0x0
	s_add_i32 s0, s1, s0
	s_ashr_i32 s1, s0, 31
	s_lshl_b64 s[0:1], s[0:1], 4
	v_mov_b32_e32 v4, 0
	s_waitcnt lgkmcnt(0)
	s_xor_b32 s8, s5, 0x80000000
	s_xor_b32 s7, s7, 0x80000000
	v_mov_b32_e32 v0, s4
	v_mov_b32_e32 v1, s8
	v_mov_b32_e32 v2, s6
	v_mov_b32_e32 v3, s7
	s_add_u32 s0, s11, s0
	global_store_dwordx4 v4, v[0:3], s[2:3]
	s_addc_u32 s1, s12, s1
	v_add_f64 v[0:1], -s[4:5], 1.0
	global_store_dwordx4 v4, v[0:3], s[0:1]
	s_endpgm
	.section	.rodata,"a",@progbits
	.p2align	6, 0x0
	.amdhsa_kernel _ZN9rocsolver6v33100L12subtract_tauI19rocblas_complex_numIdEPKPS3_EEviiT0_iilPT_l
		.amdhsa_group_segment_fixed_size 0
		.amdhsa_private_segment_fixed_size 0
		.amdhsa_kernarg_size 48
		.amdhsa_user_sgpr_count 6
		.amdhsa_user_sgpr_private_segment_buffer 1
		.amdhsa_user_sgpr_dispatch_ptr 0
		.amdhsa_user_sgpr_queue_ptr 0
		.amdhsa_user_sgpr_kernarg_segment_ptr 1
		.amdhsa_user_sgpr_dispatch_id 0
		.amdhsa_user_sgpr_flat_scratch_init 0
		.amdhsa_user_sgpr_kernarg_preload_length 0
		.amdhsa_user_sgpr_kernarg_preload_offset 0
		.amdhsa_user_sgpr_private_segment_size 0
		.amdhsa_uses_dynamic_stack 0
		.amdhsa_system_sgpr_private_segment_wavefront_offset 0
		.amdhsa_system_sgpr_workgroup_id_x 1
		.amdhsa_system_sgpr_workgroup_id_y 0
		.amdhsa_system_sgpr_workgroup_id_z 0
		.amdhsa_system_sgpr_workgroup_info 0
		.amdhsa_system_vgpr_workitem_id 0
		.amdhsa_next_free_vgpr 5
		.amdhsa_next_free_sgpr 16
		.amdhsa_accum_offset 8
		.amdhsa_reserve_vcc 0
		.amdhsa_reserve_flat_scratch 0
		.amdhsa_float_round_mode_32 0
		.amdhsa_float_round_mode_16_64 0
		.amdhsa_float_denorm_mode_32 3
		.amdhsa_float_denorm_mode_16_64 3
		.amdhsa_dx10_clamp 1
		.amdhsa_ieee_mode 1
		.amdhsa_fp16_overflow 0
		.amdhsa_tg_split 0
		.amdhsa_exception_fp_ieee_invalid_op 0
		.amdhsa_exception_fp_denorm_src 0
		.amdhsa_exception_fp_ieee_div_zero 0
		.amdhsa_exception_fp_ieee_overflow 0
		.amdhsa_exception_fp_ieee_underflow 0
		.amdhsa_exception_fp_ieee_inexact 0
		.amdhsa_exception_int_div_zero 0
	.end_amdhsa_kernel
	.section	.text._ZN9rocsolver6v33100L12subtract_tauI19rocblas_complex_numIdEPKPS3_EEviiT0_iilPT_l,"axG",@progbits,_ZN9rocsolver6v33100L12subtract_tauI19rocblas_complex_numIdEPKPS3_EEviiT0_iilPT_l,comdat
.Lfunc_end214:
	.size	_ZN9rocsolver6v33100L12subtract_tauI19rocblas_complex_numIdEPKPS3_EEviiT0_iilPT_l, .Lfunc_end214-_ZN9rocsolver6v33100L12subtract_tauI19rocblas_complex_numIdEPKPS3_EEviiT0_iilPT_l
                                        ; -- End function
	.section	.AMDGPU.csdata,"",@progbits
; Kernel info:
; codeLenInByte = 204
; NumSgprs: 20
; NumVgprs: 5
; NumAgprs: 0
; TotalNumVgprs: 5
; ScratchSize: 0
; MemoryBound: 0
; FloatMode: 240
; IeeeMode: 1
; LDSByteSize: 0 bytes/workgroup (compile time only)
; SGPRBlocks: 2
; VGPRBlocks: 0
; NumSGPRsForWavesPerEU: 20
; NumVGPRsForWavesPerEU: 5
; AccumOffset: 8
; Occupancy: 8
; WaveLimiterHint : 1
; COMPUTE_PGM_RSRC2:SCRATCH_EN: 0
; COMPUTE_PGM_RSRC2:USER_SGPR: 6
; COMPUTE_PGM_RSRC2:TRAP_HANDLER: 0
; COMPUTE_PGM_RSRC2:TGID_X_EN: 1
; COMPUTE_PGM_RSRC2:TGID_Y_EN: 0
; COMPUTE_PGM_RSRC2:TGID_Z_EN: 0
; COMPUTE_PGM_RSRC2:TIDIG_COMP_CNT: 0
; COMPUTE_PGM_RSRC3_GFX90A:ACCUM_OFFSET: 1
; COMPUTE_PGM_RSRC3_GFX90A:TG_SPLIT: 0
	.section	.text._ZN9rocsolver6v33100L6restauI19rocblas_complex_numIdEEEviPT_l,"axG",@progbits,_ZN9rocsolver6v33100L6restauI19rocblas_complex_numIdEEEviPT_l,comdat
	.globl	_ZN9rocsolver6v33100L6restauI19rocblas_complex_numIdEEEviPT_l ; -- Begin function _ZN9rocsolver6v33100L6restauI19rocblas_complex_numIdEEEviPT_l
	.p2align	8
	.type	_ZN9rocsolver6v33100L6restauI19rocblas_complex_numIdEEEviPT_l,@function
_ZN9rocsolver6v33100L6restauI19rocblas_complex_numIdEEEviPT_l: ; @_ZN9rocsolver6v33100L6restauI19rocblas_complex_numIdEEEviPT_l
; %bb.0:
	s_load_dword s0, s[4:5], 0x24
	s_load_dword s1, s[4:5], 0x0
	s_waitcnt lgkmcnt(0)
	s_and_b32 s0, s0, 0xffff
	s_mul_i32 s6, s6, s0
	v_add_u32_e32 v0, s6, v0
	v_cmp_gt_u32_e32 vcc, s1, v0
	s_and_saveexec_b64 s[0:1], vcc
	s_cbranch_execz .LBB215_2
; %bb.1:
	s_load_dwordx4 s[0:3], s[4:5], 0x8
	v_mov_b32_e32 v1, 0
	v_lshlrev_b64 v[0:1], 4, v[0:1]
	s_waitcnt lgkmcnt(0)
	s_mul_i32 s3, s7, s3
	s_mul_hi_u32 s4, s7, s2
	s_mul_i32 s2, s7, s2
	s_add_i32 s3, s4, s3
	s_lshl_b64 s[2:3], s[2:3], 4
	s_add_u32 s0, s0, s2
	s_addc_u32 s1, s1, s3
	v_mov_b32_e32 v2, s1
	v_add_co_u32_e32 v4, vcc, s0, v0
	v_addc_co_u32_e32 v5, vcc, v2, v1, vcc
	global_load_dwordx4 v[0:3], v[4:5], off
	s_waitcnt vmcnt(0)
	v_xor_b32_e32 v1, 0x80000000, v1
	v_xor_b32_e32 v3, 0x80000000, v3
	global_store_dwordx4 v[4:5], v[0:3], off
.LBB215_2:
	s_endpgm
	.section	.rodata,"a",@progbits
	.p2align	6, 0x0
	.amdhsa_kernel _ZN9rocsolver6v33100L6restauI19rocblas_complex_numIdEEEviPT_l
		.amdhsa_group_segment_fixed_size 0
		.amdhsa_private_segment_fixed_size 0
		.amdhsa_kernarg_size 280
		.amdhsa_user_sgpr_count 6
		.amdhsa_user_sgpr_private_segment_buffer 1
		.amdhsa_user_sgpr_dispatch_ptr 0
		.amdhsa_user_sgpr_queue_ptr 0
		.amdhsa_user_sgpr_kernarg_segment_ptr 1
		.amdhsa_user_sgpr_dispatch_id 0
		.amdhsa_user_sgpr_flat_scratch_init 0
		.amdhsa_user_sgpr_kernarg_preload_length 0
		.amdhsa_user_sgpr_kernarg_preload_offset 0
		.amdhsa_user_sgpr_private_segment_size 0
		.amdhsa_uses_dynamic_stack 0
		.amdhsa_system_sgpr_private_segment_wavefront_offset 0
		.amdhsa_system_sgpr_workgroup_id_x 1
		.amdhsa_system_sgpr_workgroup_id_y 1
		.amdhsa_system_sgpr_workgroup_id_z 0
		.amdhsa_system_sgpr_workgroup_info 0
		.amdhsa_system_vgpr_workitem_id 0
		.amdhsa_next_free_vgpr 6
		.amdhsa_next_free_sgpr 8
		.amdhsa_accum_offset 8
		.amdhsa_reserve_vcc 1
		.amdhsa_reserve_flat_scratch 0
		.amdhsa_float_round_mode_32 0
		.amdhsa_float_round_mode_16_64 0
		.amdhsa_float_denorm_mode_32 3
		.amdhsa_float_denorm_mode_16_64 3
		.amdhsa_dx10_clamp 1
		.amdhsa_ieee_mode 1
		.amdhsa_fp16_overflow 0
		.amdhsa_tg_split 0
		.amdhsa_exception_fp_ieee_invalid_op 0
		.amdhsa_exception_fp_denorm_src 0
		.amdhsa_exception_fp_ieee_div_zero 0
		.amdhsa_exception_fp_ieee_overflow 0
		.amdhsa_exception_fp_ieee_underflow 0
		.amdhsa_exception_fp_ieee_inexact 0
		.amdhsa_exception_int_div_zero 0
	.end_amdhsa_kernel
	.section	.text._ZN9rocsolver6v33100L6restauI19rocblas_complex_numIdEEEviPT_l,"axG",@progbits,_ZN9rocsolver6v33100L6restauI19rocblas_complex_numIdEEEviPT_l,comdat
.Lfunc_end215:
	.size	_ZN9rocsolver6v33100L6restauI19rocblas_complex_numIdEEEviPT_l, .Lfunc_end215-_ZN9rocsolver6v33100L6restauI19rocblas_complex_numIdEEEviPT_l
                                        ; -- End function
	.section	.AMDGPU.csdata,"",@progbits
; Kernel info:
; codeLenInByte = 152
; NumSgprs: 12
; NumVgprs: 6
; NumAgprs: 0
; TotalNumVgprs: 6
; ScratchSize: 0
; MemoryBound: 0
; FloatMode: 240
; IeeeMode: 1
; LDSByteSize: 0 bytes/workgroup (compile time only)
; SGPRBlocks: 1
; VGPRBlocks: 0
; NumSGPRsForWavesPerEU: 12
; NumVGPRsForWavesPerEU: 6
; AccumOffset: 8
; Occupancy: 8
; WaveLimiterHint : 0
; COMPUTE_PGM_RSRC2:SCRATCH_EN: 0
; COMPUTE_PGM_RSRC2:USER_SGPR: 6
; COMPUTE_PGM_RSRC2:TRAP_HANDLER: 0
; COMPUTE_PGM_RSRC2:TGID_X_EN: 1
; COMPUTE_PGM_RSRC2:TGID_Y_EN: 1
; COMPUTE_PGM_RSRC2:TGID_Z_EN: 0
; COMPUTE_PGM_RSRC2:TIDIG_COMP_CNT: 0
; COMPUTE_PGM_RSRC3_GFX90A:ACCUM_OFFSET: 1
; COMPUTE_PGM_RSRC3_GFX90A:TG_SPLIT: 0
	.section	.text._ZN9rocsolver6v33100L15copyshift_rightI19rocblas_complex_numIdEPKPS3_EEvbiT0_iilPT_iil,"axG",@progbits,_ZN9rocsolver6v33100L15copyshift_rightI19rocblas_complex_numIdEPKPS3_EEvbiT0_iilPT_iil,comdat
	.globl	_ZN9rocsolver6v33100L15copyshift_rightI19rocblas_complex_numIdEPKPS3_EEvbiT0_iilPT_iil ; -- Begin function _ZN9rocsolver6v33100L15copyshift_rightI19rocblas_complex_numIdEPKPS3_EEvbiT0_iilPT_iil
	.p2align	8
	.type	_ZN9rocsolver6v33100L15copyshift_rightI19rocblas_complex_numIdEPKPS3_EEvbiT0_iilPT_iil,@function
_ZN9rocsolver6v33100L15copyshift_rightI19rocblas_complex_numIdEPKPS3_EEvbiT0_iilPT_iil: ; @_ZN9rocsolver6v33100L15copyshift_rightI19rocblas_complex_numIdEPKPS3_EEvbiT0_iilPT_iil
; %bb.0:
	s_load_dwordx4 s[0:3], s[4:5], 0x0
	s_load_dword s9, s[4:5], 0x44
	s_load_dwordx2 s[10:11], s[4:5], 0x10
	v_and_b32_e32 v1, 0x3ff, v0
	v_bfe_u32 v0, v0, 10, 10
	s_waitcnt lgkmcnt(0)
	s_bitcmp1_b32 s0, 0
	s_cselect_b64 s[12:13], -1, 0
	s_and_b32 s0, s9, 0xffff
	s_lshr_b32 s9, s9, 16
	s_mul_i32 s16, s7, s9
	s_mov_b32 s9, 0
	s_xor_b64 s[12:13], s[12:13], -1
	s_ashr_i32 s7, s10, 31
	s_lshl_b64 s[14:15], s[8:9], 3
	s_add_u32 s2, s2, s14
	s_addc_u32 s3, s3, s15
	s_load_dwordx2 s[2:3], s[2:3], 0x0
	s_mul_i32 s6, s6, s0
	v_add_u32_e32 v4, s6, v1
	v_add_u32_e32 v6, s16, v0
	s_mov_b32 s6, s10
	s_lshl_b64 s[6:7], s[6:7], 4
	v_or_b32_e32 v0, v4, v6
	s_waitcnt lgkmcnt(0)
	s_add_u32 s6, s2, s6
	v_cmp_eq_u32_e32 vcc, 0, v0
	s_addc_u32 s7, s3, s7
	s_and_b64 s[14:15], vcc, s[12:13]
	s_and_saveexec_b64 s[2:3], s[14:15]
	s_cbranch_execz .LBB216_2
; %bb.1:
	v_mov_b32_e32 v0, 0
	v_mov_b32_e32 v1, 0x3ff00000
	;; [unrolled: 1-line block ×4, first 2 shown]
	global_store_dwordx4 v0, v[0:3], s[6:7]
.LBB216_2:
	s_or_b64 exec, exec, s[2:3]
	v_max_u32_e32 v0, v6, v4
	v_cmp_gt_u32_e32 vcc, s1, v0
	v_cmp_le_u32_e64 s[0:1], v6, v4
	s_and_b64 s[0:1], s[0:1], vcc
	s_and_saveexec_b64 s[2:3], s[0:1]
	s_cbranch_execz .LBB216_11
; %bb.3:
	s_load_dwordx4 s[0:3], s[4:5], 0x20
	s_load_dwordx2 s[14:15], s[4:5], 0x30
	s_waitcnt lgkmcnt(0)
	s_ashr_i32 s5, s2, 31
	s_mov_b32 s4, s2
	s_mul_i32 s2, s8, s15
	s_mul_hi_u32 s9, s8, s14
	s_add_i32 s9, s9, s2
	s_mul_i32 s8, s8, s14
	s_lshl_b64 s[8:9], s[8:9], 4
	s_add_u32 s2, s0, s8
	s_addc_u32 s8, s1, s9
	s_lshl_b64 s[0:1], s[4:5], 4
	s_add_u32 s2, s2, s0
	s_addc_u32 s4, s8, s1
	v_mad_u64_u32 v[0:1], s[0:1], v6, v6, v[6:7]
	v_lshrrev_b32_e32 v5, 1, v0
	s_mov_b64 s[0:1], -1
	s_and_b64 vcc, exec, s[12:13]
	s_cbranch_vccz .LBB216_7
; %bb.4:
	v_mad_u64_u32 v[0:1], s[0:1], v6, s3, v[4:5]
	v_sub_u32_e32 v0, v0, v5
	v_mov_b32_e32 v1, 0
	v_lshlrev_b64 v[2:3], 4, v[0:1]
	v_mov_b32_e32 v0, s4
	v_add_co_u32_e32 v2, vcc, s2, v2
	v_addc_co_u32_e32 v3, vcc, v0, v3, vcc
	global_load_dwordx4 v[8:11], v[2:3], off
	v_mul_lo_u32 v2, v6, s11
	v_add3_u32 v0, v4, v2, 1
	v_lshlrev_b64 v[12:13], 4, v[0:1]
	v_mov_b32_e32 v3, s7
	v_add_co_u32_e32 v12, vcc, s6, v12
	v_addc_co_u32_e32 v13, vcc, v3, v13, vcc
	v_cmp_eq_u32_e32 vcc, v4, v6
	s_waitcnt vmcnt(0)
	global_store_dwordx4 v[12:13], v[8:11], off
	s_and_saveexec_b64 s[0:1], vcc
	s_cbranch_execz .LBB216_6
; %bb.5:
	v_add_u32_e32 v0, s11, v2
	v_lshlrev_b64 v[2:3], 4, v[0:1]
	v_mov_b32_e32 v0, s7
	v_add_co_u32_e32 v8, vcc, s6, v2
	v_addc_co_u32_e32 v9, vcc, v0, v3, vcc
	v_mov_b32_e32 v0, v1
	v_mov_b32_e32 v2, v1
	;; [unrolled: 1-line block ×3, first 2 shown]
	global_store_dwordx4 v[8:9], v[0:3], off
.LBB216_6:
	s_or_b64 exec, exec, s[0:1]
	s_mov_b64 s[0:1], 0
.LBB216_7:
	s_andn2_b64 vcc, exec, s[0:1]
	s_cbranch_vccnz .LBB216_11
; %bb.8:
	v_pk_mov_b32 v[0:1], 0, 0
	v_cmp_ne_u32_e32 vcc, 0, v6
	v_pk_mov_b32 v[2:3], v[0:1], v[0:1] op_sel:[0,1]
	s_and_saveexec_b64 s[0:1], vcc
	s_cbranch_execz .LBB216_10
; %bb.9:
	v_add_u32_e32 v0, -1, v6
	v_mul_lo_u32 v0, v0, s11
	v_add3_u32 v0, v4, v0, 1
	v_mov_b32_e32 v1, 0
	v_lshlrev_b64 v[0:1], 4, v[0:1]
	v_mov_b32_e32 v2, s7
	v_add_co_u32_e32 v0, vcc, s6, v0
	v_addc_co_u32_e32 v1, vcc, v2, v1, vcc
	global_load_dwordx4 v[0:3], v[0:1], off
.LBB216_10:
	s_or_b64 exec, exec, s[0:1]
	v_mad_u64_u32 v[6:7], s[0:1], v6, s3, v[4:5]
	v_sub_u32_e32 v4, v6, v5
	v_mov_b32_e32 v5, 0
	v_lshlrev_b64 v[4:5], 4, v[4:5]
	v_mov_b32_e32 v6, s4
	v_add_co_u32_e32 v4, vcc, s2, v4
	v_addc_co_u32_e32 v5, vcc, v6, v5, vcc
	s_waitcnt vmcnt(0)
	global_store_dwordx4 v[4:5], v[0:3], off
.LBB216_11:
	s_endpgm
	.section	.rodata,"a",@progbits
	.p2align	6, 0x0
	.amdhsa_kernel _ZN9rocsolver6v33100L15copyshift_rightI19rocblas_complex_numIdEPKPS3_EEvbiT0_iilPT_iil
		.amdhsa_group_segment_fixed_size 0
		.amdhsa_private_segment_fixed_size 0
		.amdhsa_kernarg_size 312
		.amdhsa_user_sgpr_count 6
		.amdhsa_user_sgpr_private_segment_buffer 1
		.amdhsa_user_sgpr_dispatch_ptr 0
		.amdhsa_user_sgpr_queue_ptr 0
		.amdhsa_user_sgpr_kernarg_segment_ptr 1
		.amdhsa_user_sgpr_dispatch_id 0
		.amdhsa_user_sgpr_flat_scratch_init 0
		.amdhsa_user_sgpr_kernarg_preload_length 0
		.amdhsa_user_sgpr_kernarg_preload_offset 0
		.amdhsa_user_sgpr_private_segment_size 0
		.amdhsa_uses_dynamic_stack 0
		.amdhsa_system_sgpr_private_segment_wavefront_offset 0
		.amdhsa_system_sgpr_workgroup_id_x 1
		.amdhsa_system_sgpr_workgroup_id_y 1
		.amdhsa_system_sgpr_workgroup_id_z 1
		.amdhsa_system_sgpr_workgroup_info 0
		.amdhsa_system_vgpr_workitem_id 1
		.amdhsa_next_free_vgpr 14
		.amdhsa_next_free_sgpr 17
		.amdhsa_accum_offset 16
		.amdhsa_reserve_vcc 1
		.amdhsa_reserve_flat_scratch 0
		.amdhsa_float_round_mode_32 0
		.amdhsa_float_round_mode_16_64 0
		.amdhsa_float_denorm_mode_32 3
		.amdhsa_float_denorm_mode_16_64 3
		.amdhsa_dx10_clamp 1
		.amdhsa_ieee_mode 1
		.amdhsa_fp16_overflow 0
		.amdhsa_tg_split 0
		.amdhsa_exception_fp_ieee_invalid_op 0
		.amdhsa_exception_fp_denorm_src 0
		.amdhsa_exception_fp_ieee_div_zero 0
		.amdhsa_exception_fp_ieee_overflow 0
		.amdhsa_exception_fp_ieee_underflow 0
		.amdhsa_exception_fp_ieee_inexact 0
		.amdhsa_exception_int_div_zero 0
	.end_amdhsa_kernel
	.section	.text._ZN9rocsolver6v33100L15copyshift_rightI19rocblas_complex_numIdEPKPS3_EEvbiT0_iilPT_iil,"axG",@progbits,_ZN9rocsolver6v33100L15copyshift_rightI19rocblas_complex_numIdEPKPS3_EEvbiT0_iilPT_iil,comdat
.Lfunc_end216:
	.size	_ZN9rocsolver6v33100L15copyshift_rightI19rocblas_complex_numIdEPKPS3_EEvbiT0_iilPT_iil, .Lfunc_end216-_ZN9rocsolver6v33100L15copyshift_rightI19rocblas_complex_numIdEPKPS3_EEvbiT0_iilPT_iil
                                        ; -- End function
	.section	.AMDGPU.csdata,"",@progbits
; Kernel info:
; codeLenInByte = 604
; NumSgprs: 21
; NumVgprs: 14
; NumAgprs: 0
; TotalNumVgprs: 14
; ScratchSize: 0
; MemoryBound: 0
; FloatMode: 240
; IeeeMode: 1
; LDSByteSize: 0 bytes/workgroup (compile time only)
; SGPRBlocks: 2
; VGPRBlocks: 1
; NumSGPRsForWavesPerEU: 21
; NumVGPRsForWavesPerEU: 14
; AccumOffset: 16
; Occupancy: 8
; WaveLimiterHint : 1
; COMPUTE_PGM_RSRC2:SCRATCH_EN: 0
; COMPUTE_PGM_RSRC2:USER_SGPR: 6
; COMPUTE_PGM_RSRC2:TRAP_HANDLER: 0
; COMPUTE_PGM_RSRC2:TGID_X_EN: 1
; COMPUTE_PGM_RSRC2:TGID_Y_EN: 1
; COMPUTE_PGM_RSRC2:TGID_Z_EN: 1
; COMPUTE_PGM_RSRC2:TIDIG_COMP_CNT: 1
; COMPUTE_PGM_RSRC3_GFX90A:ACCUM_OFFSET: 3
; COMPUTE_PGM_RSRC3_GFX90A:TG_SPLIT: 0
	.section	.text._ZN9rocsolver6v33100L16orgl2_init_identI19rocblas_complex_numIdEPKPS3_EEviiiT0_iil,"axG",@progbits,_ZN9rocsolver6v33100L16orgl2_init_identI19rocblas_complex_numIdEPKPS3_EEviiiT0_iil,comdat
	.globl	_ZN9rocsolver6v33100L16orgl2_init_identI19rocblas_complex_numIdEPKPS3_EEviiiT0_iil ; -- Begin function _ZN9rocsolver6v33100L16orgl2_init_identI19rocblas_complex_numIdEPKPS3_EEviiiT0_iil
	.p2align	8
	.type	_ZN9rocsolver6v33100L16orgl2_init_identI19rocblas_complex_numIdEPKPS3_EEviiiT0_iil,@function
_ZN9rocsolver6v33100L16orgl2_init_identI19rocblas_complex_numIdEPKPS3_EEviiiT0_iil: ; @_ZN9rocsolver6v33100L16orgl2_init_identI19rocblas_complex_numIdEPKPS3_EEviiiT0_iil
; %bb.0:
	s_load_dword s0, s[4:5], 0x34
	s_load_dwordx4 s[12:15], s[4:5], 0x0
	v_bfe_u32 v1, v0, 10, 10
	v_and_b32_e32 v0, 0x3ff, v0
	s_waitcnt lgkmcnt(0)
	s_lshr_b32 s1, s0, 16
	s_and_b32 s0, s0, 0xffff
	s_mul_i32 s7, s7, s1
	s_mul_i32 s6, s6, s0
	v_add_u32_e32 v2, s7, v1
	v_add_u32_e32 v4, s6, v0
	v_cmp_gt_u32_e32 vcc, s12, v4
	v_cmp_gt_u32_e64 s[0:1], s13, v2
	s_and_b64 s[0:1], vcc, s[0:1]
	s_and_saveexec_b64 s[2:3], s[0:1]
	s_cbranch_execz .LBB217_5
; %bb.1:
	s_load_dwordx4 s[0:3], s[4:5], 0x10
	s_mov_b32 s9, 0
	s_lshl_b64 s[4:5], s[8:9], 3
	v_cmp_ne_u32_e32 vcc, v4, v2
                                        ; implicit-def: $vgpr0_vgpr1
	s_waitcnt lgkmcnt(0)
	s_ashr_i32 s7, s2, 31
	s_add_u32 s0, s0, s4
	s_addc_u32 s1, s1, s5
	s_load_dwordx2 s[0:1], s[0:1], 0x0
	s_mov_b32 s6, s2
	s_lshl_b64 s[4:5], s[6:7], 4
	s_waitcnt lgkmcnt(0)
	s_add_u32 s2, s0, s4
	s_addc_u32 s10, s1, s5
	s_mov_b64 s[4:5], 0
	s_and_saveexec_b64 s[0:1], vcc
	s_xor_b64 s[0:1], exec, s[0:1]
	s_cbranch_execnz .LBB217_6
; %bb.2:
	s_andn2_saveexec_b64 s[0:1], s[0:1]
	s_cbranch_execnz .LBB217_13
.LBB217_3:
	s_or_b64 exec, exec, s[0:1]
	s_and_b64 exec, exec, s[4:5]
	s_cbranch_execz .LBB217_5
.LBB217_4:
	v_mov_b32_e32 v2, 0
	v_mov_b32_e32 v3, v2
	global_store_dwordx2 v[0:1], v[2:3], off
.LBB217_5:
	s_endpgm
.LBB217_6:
	v_cmp_ge_u32_e32 vcc, v2, v4
                                        ; implicit-def: $vgpr0_vgpr1
	s_and_saveexec_b64 s[6:7], vcc
	s_xor_b64 s[6:7], exec, s[6:7]
	s_cbranch_execz .LBB217_10
; %bb.7:
	v_cmp_le_u32_e32 vcc, s14, v4
                                        ; implicit-def: $vgpr0_vgpr1
	s_and_saveexec_b64 s[8:9], vcc
	s_xor_b64 s[8:9], exec, s[8:9]
	s_cbranch_execz .LBB217_9
; %bb.8:
	v_mad_u64_u32 v[2:3], s[12:13], v2, s3, v[4:5]
	v_mov_b32_e32 v3, 0
	v_lshlrev_b64 v[0:1], 4, v[2:3]
	v_mov_b32_e32 v2, s10
	v_add_co_u32_e32 v4, vcc, s2, v0
	v_addc_co_u32_e32 v5, vcc, v2, v1, vcc
	v_add_co_u32_e32 v0, vcc, 8, v4
	s_mov_b64 s[4:5], exec
	v_addc_co_u32_e32 v1, vcc, 0, v5, vcc
	v_mov_b32_e32 v2, v3
	global_store_dwordx2 v[4:5], v[2:3], off
.LBB217_9:
	s_or_b64 exec, exec, s[8:9]
	s_and_b64 s[4:5], s[4:5], exec
                                        ; implicit-def: $vgpr4
                                        ; implicit-def: $vgpr2
.LBB217_10:
	s_andn2_saveexec_b64 s[6:7], s[6:7]
	s_cbranch_execz .LBB217_12
; %bb.11:
	v_mad_u64_u32 v[0:1], s[8:9], v2, s3, v[4:5]
	v_mov_b32_e32 v1, 0
	v_lshlrev_b64 v[2:3], 4, v[0:1]
	v_mov_b32_e32 v0, s10
	v_add_co_u32_e32 v2, vcc, s2, v2
	v_addc_co_u32_e32 v3, vcc, v0, v3, vcc
	v_mov_b32_e32 v0, v1
	global_store_dwordx2 v[2:3], v[0:1], off
	v_add_co_u32_e32 v0, vcc, 8, v2
	v_addc_co_u32_e32 v1, vcc, 0, v3, vcc
	s_or_b64 s[4:5], s[4:5], exec
.LBB217_12:
	s_or_b64 exec, exec, s[6:7]
	s_and_b64 s[4:5], s[4:5], exec
                                        ; implicit-def: $vgpr2
	s_andn2_saveexec_b64 s[0:1], s[0:1]
	s_cbranch_execz .LBB217_3
.LBB217_13:
	v_mad_u64_u32 v[0:1], s[6:7], v2, s3, v[2:3]
	v_mov_b32_e32 v1, 0
	v_lshlrev_b64 v[2:3], 4, v[0:1]
	v_mov_b32_e32 v0, s10
	v_add_co_u32_e32 v2, vcc, s2, v2
	v_addc_co_u32_e32 v3, vcc, v0, v3, vcc
	v_add_co_u32_e32 v0, vcc, 8, v2
	v_mov_b32_e32 v5, 0x3ff00000
	v_mov_b32_e32 v4, v1
	v_addc_co_u32_e32 v1, vcc, 0, v3, vcc
	s_or_b64 s[4:5], s[4:5], exec
	global_store_dwordx2 v[2:3], v[4:5], off
	s_or_b64 exec, exec, s[0:1]
	s_and_b64 exec, exec, s[4:5]
	s_cbranch_execnz .LBB217_4
	s_branch .LBB217_5
	.section	.rodata,"a",@progbits
	.p2align	6, 0x0
	.amdhsa_kernel _ZN9rocsolver6v33100L16orgl2_init_identI19rocblas_complex_numIdEPKPS3_EEviiiT0_iil
		.amdhsa_group_segment_fixed_size 0
		.amdhsa_private_segment_fixed_size 0
		.amdhsa_kernarg_size 296
		.amdhsa_user_sgpr_count 6
		.amdhsa_user_sgpr_private_segment_buffer 1
		.amdhsa_user_sgpr_dispatch_ptr 0
		.amdhsa_user_sgpr_queue_ptr 0
		.amdhsa_user_sgpr_kernarg_segment_ptr 1
		.amdhsa_user_sgpr_dispatch_id 0
		.amdhsa_user_sgpr_flat_scratch_init 0
		.amdhsa_user_sgpr_kernarg_preload_length 0
		.amdhsa_user_sgpr_kernarg_preload_offset 0
		.amdhsa_user_sgpr_private_segment_size 0
		.amdhsa_uses_dynamic_stack 0
		.amdhsa_system_sgpr_private_segment_wavefront_offset 0
		.amdhsa_system_sgpr_workgroup_id_x 1
		.amdhsa_system_sgpr_workgroup_id_y 1
		.amdhsa_system_sgpr_workgroup_id_z 1
		.amdhsa_system_sgpr_workgroup_info 0
		.amdhsa_system_vgpr_workitem_id 1
		.amdhsa_next_free_vgpr 6
		.amdhsa_next_free_sgpr 16
		.amdhsa_accum_offset 8
		.amdhsa_reserve_vcc 1
		.amdhsa_reserve_flat_scratch 0
		.amdhsa_float_round_mode_32 0
		.amdhsa_float_round_mode_16_64 0
		.amdhsa_float_denorm_mode_32 3
		.amdhsa_float_denorm_mode_16_64 3
		.amdhsa_dx10_clamp 1
		.amdhsa_ieee_mode 1
		.amdhsa_fp16_overflow 0
		.amdhsa_tg_split 0
		.amdhsa_exception_fp_ieee_invalid_op 0
		.amdhsa_exception_fp_denorm_src 0
		.amdhsa_exception_fp_ieee_div_zero 0
		.amdhsa_exception_fp_ieee_overflow 0
		.amdhsa_exception_fp_ieee_underflow 0
		.amdhsa_exception_fp_ieee_inexact 0
		.amdhsa_exception_int_div_zero 0
	.end_amdhsa_kernel
	.section	.text._ZN9rocsolver6v33100L16orgl2_init_identI19rocblas_complex_numIdEPKPS3_EEviiiT0_iil,"axG",@progbits,_ZN9rocsolver6v33100L16orgl2_init_identI19rocblas_complex_numIdEPKPS3_EEviiiT0_iil,comdat
.Lfunc_end217:
	.size	_ZN9rocsolver6v33100L16orgl2_init_identI19rocblas_complex_numIdEPKPS3_EEviiiT0_iil, .Lfunc_end217-_ZN9rocsolver6v33100L16orgl2_init_identI19rocblas_complex_numIdEPKPS3_EEviiiT0_iil
                                        ; -- End function
	.section	.AMDGPU.csdata,"",@progbits
; Kernel info:
; codeLenInByte = 464
; NumSgprs: 20
; NumVgprs: 6
; NumAgprs: 0
; TotalNumVgprs: 6
; ScratchSize: 0
; MemoryBound: 0
; FloatMode: 240
; IeeeMode: 1
; LDSByteSize: 0 bytes/workgroup (compile time only)
; SGPRBlocks: 2
; VGPRBlocks: 0
; NumSGPRsForWavesPerEU: 20
; NumVGPRsForWavesPerEU: 6
; AccumOffset: 8
; Occupancy: 8
; WaveLimiterHint : 1
; COMPUTE_PGM_RSRC2:SCRATCH_EN: 0
; COMPUTE_PGM_RSRC2:USER_SGPR: 6
; COMPUTE_PGM_RSRC2:TRAP_HANDLER: 0
; COMPUTE_PGM_RSRC2:TGID_X_EN: 1
; COMPUTE_PGM_RSRC2:TGID_Y_EN: 1
; COMPUTE_PGM_RSRC2:TGID_Z_EN: 1
; COMPUTE_PGM_RSRC2:TIDIG_COMP_CNT: 1
; COMPUTE_PGM_RSRC3_GFX90A:ACCUM_OFFSET: 1
; COMPUTE_PGM_RSRC3_GFX90A:TG_SPLIT: 0
	.section	.text._ZN9rocsolver6v33100L14copyshift_downI19rocblas_complex_numIdEPKPS3_EEvbiT0_iilPT_iil,"axG",@progbits,_ZN9rocsolver6v33100L14copyshift_downI19rocblas_complex_numIdEPKPS3_EEvbiT0_iilPT_iil,comdat
	.globl	_ZN9rocsolver6v33100L14copyshift_downI19rocblas_complex_numIdEPKPS3_EEvbiT0_iilPT_iil ; -- Begin function _ZN9rocsolver6v33100L14copyshift_downI19rocblas_complex_numIdEPKPS3_EEvbiT0_iilPT_iil
	.p2align	8
	.type	_ZN9rocsolver6v33100L14copyshift_downI19rocblas_complex_numIdEPKPS3_EEvbiT0_iilPT_iil,@function
_ZN9rocsolver6v33100L14copyshift_downI19rocblas_complex_numIdEPKPS3_EEvbiT0_iilPT_iil: ; @_ZN9rocsolver6v33100L14copyshift_downI19rocblas_complex_numIdEPKPS3_EEvbiT0_iilPT_iil
; %bb.0:
	s_load_dwordx4 s[0:3], s[4:5], 0x0
	s_load_dword s9, s[4:5], 0x44
	s_load_dwordx2 s[10:11], s[4:5], 0x10
	v_and_b32_e32 v1, 0x3ff, v0
	v_bfe_u32 v0, v0, 10, 10
	s_waitcnt lgkmcnt(0)
	s_bitcmp1_b32 s0, 0
	s_cselect_b64 s[12:13], -1, 0
	s_and_b32 s0, s9, 0xffff
	s_lshr_b32 s9, s9, 16
	s_mul_i32 s16, s7, s9
	s_mov_b32 s9, 0
	s_xor_b64 s[12:13], s[12:13], -1
	s_ashr_i32 s7, s10, 31
	s_lshl_b64 s[14:15], s[8:9], 3
	s_add_u32 s2, s2, s14
	s_addc_u32 s3, s3, s15
	s_load_dwordx2 s[2:3], s[2:3], 0x0
	s_mul_i32 s6, s6, s0
	v_add_u32_e32 v4, s6, v1
	v_add_u32_e32 v0, s16, v0
	s_mov_b32 s6, s10
	s_lshl_b64 s[6:7], s[6:7], 4
	v_or_b32_e32 v1, v4, v0
	s_waitcnt lgkmcnt(0)
	s_add_u32 s2, s2, s6
	v_cmp_eq_u32_e32 vcc, 0, v1
	s_addc_u32 s3, s3, s7
	s_and_b64 s[14:15], vcc, s[12:13]
	s_and_saveexec_b64 s[6:7], s[14:15]
	s_cbranch_execz .LBB218_2
; %bb.1:
	v_mov_b32_e32 v6, 0
	v_mov_b32_e32 v7, 0x3ff00000
	;; [unrolled: 1-line block ×4, first 2 shown]
	global_store_dwordx4 v6, v[6:9], s[2:3]
.LBB218_2:
	s_or_b64 exec, exec, s[6:7]
	v_max_u32_e32 v1, v0, v4
	v_cmp_gt_u32_e32 vcc, s1, v1
	v_cmp_le_u32_e64 s[0:1], v4, v0
	s_and_b64 s[0:1], s[0:1], vcc
	s_and_saveexec_b64 s[6:7], s[0:1]
	s_cbranch_execz .LBB218_11
; %bb.3:
	s_load_dword s0, s[4:5], 0x28
	s_load_dwordx2 s[6:7], s[4:5], 0x30
	s_load_dwordx2 s[14:15], s[4:5], 0x20
	v_add_u32_e32 v8, 1, v0
	v_mul_lo_u32 v1, v8, v0
	s_waitcnt lgkmcnt(0)
	s_ashr_i32 s1, s0, 31
	s_mul_i32 s4, s8, s7
	s_mul_hi_u32 s5, s8, s6
	s_add_i32 s5, s5, s4
	s_mul_i32 s4, s8, s6
	s_lshl_b64 s[4:5], s[4:5], 4
	s_add_u32 s4, s14, s4
	s_addc_u32 s5, s15, s5
	s_lshl_b64 s[0:1], s[0:1], 4
	s_add_u32 s4, s4, s0
	v_lshrrev_b32_e32 v1, 1, v1
	s_addc_u32 s5, s5, s1
	s_mov_b64 s[0:1], -1
	s_and_b64 vcc, exec, s[12:13]
	v_add_u32_e32 v6, v4, v1
	s_cbranch_vccz .LBB218_7
; %bb.4:
	v_mov_b32_e32 v7, 0
	v_lshlrev_b64 v[2:3], 4, v[6:7]
	v_mov_b32_e32 v1, s5
	v_add_co_u32_e32 v2, vcc, s4, v2
	v_addc_co_u32_e32 v3, vcc, v1, v3, vcc
	global_load_dwordx4 v[10:13], v[2:3], off
	v_mad_u64_u32 v[2:3], s[0:1], v8, s11, v[4:5]
	v_mov_b32_e32 v3, v7
	v_lshlrev_b64 v[2:3], 4, v[2:3]
	v_mov_b32_e32 v1, s3
	v_add_co_u32_e32 v2, vcc, s2, v2
	v_addc_co_u32_e32 v3, vcc, v1, v3, vcc
	v_cmp_eq_u32_e32 vcc, v4, v0
	s_waitcnt vmcnt(0)
	global_store_dwordx4 v[2:3], v[10:13], off
	s_and_saveexec_b64 s[0:1], vcc
	s_cbranch_execz .LBB218_6
; %bb.5:
	v_mov_b32_e32 v5, v7
	v_lshlrev_b64 v[0:1], 4, v[4:5]
	v_mov_b32_e32 v2, s3
	v_add_co_u32_e32 v10, vcc, s2, v0
	v_addc_co_u32_e32 v11, vcc, v2, v1, vcc
	v_mov_b32_e32 v0, v7
	v_mov_b32_e32 v1, v7
	;; [unrolled: 1-line block ×4, first 2 shown]
	global_store_dwordx4 v[10:11], v[0:3], off offset:16
.LBB218_6:
	s_or_b64 exec, exec, s[0:1]
	s_mov_b64 s[0:1], 0
.LBB218_7:
	s_andn2_b64 vcc, exec, s[0:1]
	s_cbranch_vccnz .LBB218_11
; %bb.8:
	v_pk_mov_b32 v[0:1], 0, 0
	v_cmp_ne_u32_e32 vcc, 0, v4
	v_pk_mov_b32 v[2:3], v[0:1], v[0:1] op_sel:[0,1]
	s_and_saveexec_b64 s[0:1], vcc
	s_cbranch_execz .LBB218_10
; %bb.9:
	v_mul_lo_u32 v0, v8, s11
	v_add3_u32 v0, v4, v0, -1
	v_mov_b32_e32 v1, 0
	v_lshlrev_b64 v[0:1], 4, v[0:1]
	v_mov_b32_e32 v2, s3
	v_add_co_u32_e32 v0, vcc, s2, v0
	v_addc_co_u32_e32 v1, vcc, v2, v1, vcc
	global_load_dwordx4 v[0:3], v[0:1], off
.LBB218_10:
	s_or_b64 exec, exec, s[0:1]
	v_mov_b32_e32 v7, 0
	v_lshlrev_b64 v[4:5], 4, v[6:7]
	v_mov_b32_e32 v6, s5
	v_add_co_u32_e32 v4, vcc, s4, v4
	v_addc_co_u32_e32 v5, vcc, v6, v5, vcc
	s_waitcnt vmcnt(0)
	global_store_dwordx4 v[4:5], v[0:3], off
.LBB218_11:
	s_endpgm
	.section	.rodata,"a",@progbits
	.p2align	6, 0x0
	.amdhsa_kernel _ZN9rocsolver6v33100L14copyshift_downI19rocblas_complex_numIdEPKPS3_EEvbiT0_iilPT_iil
		.amdhsa_group_segment_fixed_size 0
		.amdhsa_private_segment_fixed_size 0
		.amdhsa_kernarg_size 312
		.amdhsa_user_sgpr_count 6
		.amdhsa_user_sgpr_private_segment_buffer 1
		.amdhsa_user_sgpr_dispatch_ptr 0
		.amdhsa_user_sgpr_queue_ptr 0
		.amdhsa_user_sgpr_kernarg_segment_ptr 1
		.amdhsa_user_sgpr_dispatch_id 0
		.amdhsa_user_sgpr_flat_scratch_init 0
		.amdhsa_user_sgpr_kernarg_preload_length 0
		.amdhsa_user_sgpr_kernarg_preload_offset 0
		.amdhsa_user_sgpr_private_segment_size 0
		.amdhsa_uses_dynamic_stack 0
		.amdhsa_system_sgpr_private_segment_wavefront_offset 0
		.amdhsa_system_sgpr_workgroup_id_x 1
		.amdhsa_system_sgpr_workgroup_id_y 1
		.amdhsa_system_sgpr_workgroup_id_z 1
		.amdhsa_system_sgpr_workgroup_info 0
		.amdhsa_system_vgpr_workitem_id 1
		.amdhsa_next_free_vgpr 14
		.amdhsa_next_free_sgpr 17
		.amdhsa_accum_offset 16
		.amdhsa_reserve_vcc 1
		.amdhsa_reserve_flat_scratch 0
		.amdhsa_float_round_mode_32 0
		.amdhsa_float_round_mode_16_64 0
		.amdhsa_float_denorm_mode_32 3
		.amdhsa_float_denorm_mode_16_64 3
		.amdhsa_dx10_clamp 1
		.amdhsa_ieee_mode 1
		.amdhsa_fp16_overflow 0
		.amdhsa_tg_split 0
		.amdhsa_exception_fp_ieee_invalid_op 0
		.amdhsa_exception_fp_denorm_src 0
		.amdhsa_exception_fp_ieee_div_zero 0
		.amdhsa_exception_fp_ieee_overflow 0
		.amdhsa_exception_fp_ieee_underflow 0
		.amdhsa_exception_fp_ieee_inexact 0
		.amdhsa_exception_int_div_zero 0
	.end_amdhsa_kernel
	.section	.text._ZN9rocsolver6v33100L14copyshift_downI19rocblas_complex_numIdEPKPS3_EEvbiT0_iilPT_iil,"axG",@progbits,_ZN9rocsolver6v33100L14copyshift_downI19rocblas_complex_numIdEPKPS3_EEvbiT0_iilPT_iil,comdat
.Lfunc_end218:
	.size	_ZN9rocsolver6v33100L14copyshift_downI19rocblas_complex_numIdEPKPS3_EEvbiT0_iilPT_iil, .Lfunc_end218-_ZN9rocsolver6v33100L14copyshift_downI19rocblas_complex_numIdEPKPS3_EEvbiT0_iilPT_iil
                                        ; -- End function
	.section	.AMDGPU.csdata,"",@progbits
; Kernel info:
; codeLenInByte = 588
; NumSgprs: 21
; NumVgprs: 14
; NumAgprs: 0
; TotalNumVgprs: 14
; ScratchSize: 0
; MemoryBound: 0
; FloatMode: 240
; IeeeMode: 1
; LDSByteSize: 0 bytes/workgroup (compile time only)
; SGPRBlocks: 2
; VGPRBlocks: 1
; NumSGPRsForWavesPerEU: 21
; NumVGPRsForWavesPerEU: 14
; AccumOffset: 16
; Occupancy: 8
; WaveLimiterHint : 1
; COMPUTE_PGM_RSRC2:SCRATCH_EN: 0
; COMPUTE_PGM_RSRC2:USER_SGPR: 6
; COMPUTE_PGM_RSRC2:TRAP_HANDLER: 0
; COMPUTE_PGM_RSRC2:TGID_X_EN: 1
; COMPUTE_PGM_RSRC2:TGID_Y_EN: 1
; COMPUTE_PGM_RSRC2:TGID_Z_EN: 1
; COMPUTE_PGM_RSRC2:TIDIG_COMP_CNT: 1
; COMPUTE_PGM_RSRC3_GFX90A:ACCUM_OFFSET: 3
; COMPUTE_PGM_RSRC3_GFX90A:TG_SPLIT: 0
	.section	.text._ZN9rocsolver6v33100L10bdsqr_initI19rocblas_complex_numIdEdEEviPT0_lS5_lPiiS4_S4_S6_S5_lS6_,"axG",@progbits,_ZN9rocsolver6v33100L10bdsqr_initI19rocblas_complex_numIdEdEEviPT0_lS5_lPiiS4_S4_S6_S5_lS6_,comdat
	.globl	_ZN9rocsolver6v33100L10bdsqr_initI19rocblas_complex_numIdEdEEviPT0_lS5_lPiiS4_S4_S6_S5_lS6_ ; -- Begin function _ZN9rocsolver6v33100L10bdsqr_initI19rocblas_complex_numIdEdEEviPT0_lS5_lPiiS4_S4_S6_S5_lS6_
	.p2align	8
	.type	_ZN9rocsolver6v33100L10bdsqr_initI19rocblas_complex_numIdEdEEviPT0_lS5_lPiiS4_S4_S6_S5_lS6_,@function
_ZN9rocsolver6v33100L10bdsqr_initI19rocblas_complex_numIdEdEEviPT0_lS5_lPiiS4_S4_S6_S5_lS6_: ; @_ZN9rocsolver6v33100L10bdsqr_initI19rocblas_complex_numIdEdEEviPT0_lS5_lPiiS4_S4_S6_S5_lS6_
; %bb.0:
	s_load_dword s6, s[4:5], 0x0
	s_load_dwordx8 s[8:15], s[4:5], 0x8
	s_mov_b32 s16, s7
	s_ashr_i32 s17, s7, 31
	s_waitcnt lgkmcnt(0)
	s_ashr_i32 s7, s6, 31
	s_mul_i32 s0, s16, s11
	s_mul_hi_u32 s1, s16, s10
	s_add_i32 s0, s1, s0
	s_mul_i32 s1, s17, s10
	s_add_i32 s1, s0, s1
	s_mul_i32 s0, s16, s10
	s_lshl_b64 s[0:1], s[0:1], 3
	s_add_u32 s18, s8, s0
	s_addc_u32 s19, s9, s1
	s_mul_i32 s0, s16, s15
	s_mul_hi_u32 s1, s16, s14
	s_add_i32 s0, s1, s0
	s_mul_i32 s1, s17, s14
	s_add_i32 s1, s0, s1
	s_mul_i32 s0, s16, s14
	s_lshl_b64 s[0:1], s[0:1], 3
	s_add_u32 s22, s12, s0
	s_addc_u32 s23, s13, s1
	s_lshl_b64 s[0:1], s[6:7], 3
	s_add_u32 s20, s18, s0
	s_addc_u32 s21, s19, s1
	s_add_u32 s0, s20, -8
	s_addc_u32 s1, s21, -1
	s_load_dwordx2 s[2:3], s[0:1], 0x0
	s_load_dwordx2 s[8:9], s[18:19], 0x0
	;; [unrolled: 1-line block ×3, first 2 shown]
	v_cmp_lt_i64_e64 s[10:11], s[6:7], 2
	v_cmp_gt_i64_e64 s[26:27], s[6:7], 1
	s_waitcnt lgkmcnt(0)
	v_pk_mov_b32 v[0:1], s[2:3], s[2:3] op_sel:[0,1]
	v_cmp_ge_f64_e64 s[0:1], s[8:9], v[0:1]
	s_and_b64 s[12:13], s[0:1], exec
	s_cselect_b32 s3, s9, s3
	s_cselect_b32 s2, s8, s2
	s_bitset0_b32 s3, 31
	s_and_b64 vcc, exec, s[10:11]
	v_pk_mov_b32 v[0:1], s[2:3], s[2:3] op_sel:[0,1]
	s_cbranch_vccnz .LBB219_3
; %bb.1:
	s_add_i32 s7, s6, -2
	s_mov_b32 s8, 1
	v_pk_mov_b32 v[0:1], s[2:3], s[2:3] op_sel:[0,1]
	v_pk_mov_b32 v[2:3], s[2:3], s[2:3] op_sel:[0,1]
.LBB219_2:                              ; =>This Inner Loop Header: Depth=1
	s_and_b64 s[2:3], s[0:1], exec
	s_cselect_b32 s2, s8, s7
	s_add_i32 s3, s8, -1
	s_and_b64 s[10:11], s[0:1], exec
	s_cselect_b32 s10, s3, s7
	s_ashr_i32 s11, s10, 31
	s_lshl_b64 s[10:11], s[10:11], 3
	s_add_u32 s10, s22, s10
	s_addc_u32 s11, s23, s11
	s_load_dwordx2 s[10:11], s[10:11], 0x0
	s_ashr_i32 s3, s2, 31
	s_lshl_b64 s[2:3], s[2:3], 3
	s_add_u32 s2, s18, s2
	s_addc_u32 s3, s19, s3
	s_waitcnt lgkmcnt(0)
	v_add_f64 v[4:5], v[2:3], |s[10:11]|
	v_div_scale_f64 v[6:7], s[10:11], v[4:5], v[4:5], v[2:3]
	v_rcp_f64_e32 v[8:9], v[6:7]
	s_load_dwordx2 s[2:3], s[2:3], 0x0
	v_div_scale_f64 v[10:11], vcc, v[2:3], v[4:5], v[2:3]
	v_fma_f64 v[12:13], -v[6:7], v[8:9], 1.0
	v_fmac_f64_e32 v[8:9], v[8:9], v[12:13]
	v_fma_f64 v[12:13], -v[6:7], v[8:9], 1.0
	v_fmac_f64_e32 v[8:9], v[8:9], v[12:13]
	v_mul_f64 v[12:13], v[10:11], v[8:9]
	v_fma_f64 v[6:7], -v[6:7], v[12:13], v[10:11]
	v_div_fmas_f64 v[6:7], v[6:7], v[8:9], v[12:13]
	v_div_fixup_f64 v[2:3], v[6:7], v[4:5], v[2:3]
	s_waitcnt lgkmcnt(0)
	v_mul_f64 v[2:3], |s[2:3]|, v[2:3]
	s_add_i32 s7, s7, -1
	s_add_i32 s8, s8, 1
	v_cmp_lt_f64_e32 vcc, v[2:3], v[0:1]
	s_cmp_lg_u32 s8, s6
	v_cndmask_b32_e32 v1, v1, v3, vcc
	v_cndmask_b32_e32 v0, v0, v2, vcc
	s_cbranch_scc1 .LBB219_2
.LBB219_3:
	s_load_dwordx8 s[8:15], s[4:5], 0x38
	s_load_dwordx4 s[0:3], s[4:5], 0x58
	s_lshl_b32 s31, s6, 1
	s_mul_i32 s28, s31, s16
	s_ashr_i32 s29, s28, 31
	s_lshl_b64 s[34:35], s[28:29], 2
	s_waitcnt lgkmcnt(0)
	s_add_u32 s29, s12, s34
	s_addc_u32 s30, s13, s35
	s_mov_b32 s34, 0
	v_cvt_f64_i32_e32 v[2:3], s6
	s_brev_b32 s35, 8
	v_cmp_gt_f64_e32 vcc, s[34:35], v[2:3]
	v_cndmask_b32_e64 v4, 0, 1, vcc
	v_lshlrev_b32_e32 v4, 8, v4
	v_ldexp_f64 v[2:3], v[2:3], v4
	v_rsq_f64_e32 v[4:5], v[2:3]
	s_mul_i32 s1, s16, s1
	s_mul_hi_u32 s7, s16, s0
	s_add_i32 s1, s7, s1
	s_mul_i32 s7, s17, s0
	v_mul_f64 v[8:9], v[2:3], v[4:5]
	v_mul_f64 v[4:5], v[4:5], 0.5
	s_add_i32 s1, s1, s7
	s_mul_i32 s0, s16, s0
	v_fma_f64 v[10:11], -v[4:5], v[8:9], 0.5
	s_lshl_b64 s[0:1], s[0:1], 3
	v_fmac_f64_e32 v[8:9], v[8:9], v[10:11]
	s_add_u32 s12, s14, s0
	v_fma_f64 v[12:13], -v[8:9], v[8:9], v[2:3]
	v_fmac_f64_e32 v[4:5], v[4:5], v[10:11]
	s_addc_u32 s13, s15, s1
	s_add_i32 s7, s6, -1
	v_fmac_f64_e32 v[8:9], v[12:13], v[4:5]
	v_fma_f64 v[10:11], -v[8:9], v[8:9], v[2:3]
	s_and_b64 s[0:1], vcc, exec
	v_fmac_f64_e32 v[8:9], v[10:11], v[4:5]
	s_cselect_b32 s0, 0xffffff80, 0
	v_ldexp_f64 v[4:5], v[8:9], s0
	v_mov_b32_e32 v8, 0x260
	v_cmp_class_f64_e32 vcc, v[2:3], v8
	v_mul_f64 v[6:7], v[0:1], s[10:11]
	v_cndmask_b32_e32 v3, v5, v3, vcc
	v_cndmask_b32_e32 v2, v4, v2, vcc
	v_div_scale_f64 v[8:9], s[0:1], v[2:3], v[2:3], v[6:7]
	v_rcp_f64_e32 v[10:11], v[8:9]
	s_load_dword s0, s[4:5], 0x30
	v_mov_b32_e32 v4, 0
	s_mov_b32 s28, 0
	v_fma_f64 v[12:13], -v[8:9], v[10:11], 1.0
	v_fmac_f64_e32 v[10:11], v[10:11], v[12:13]
	v_fma_f64 v[12:13], -v[8:9], v[10:11], 1.0
	v_fmac_f64_e32 v[10:11], v[10:11], v[12:13]
	v_div_scale_f64 v[12:13], vcc, v[6:7], v[2:3], v[6:7]
	v_mul_f64 v[14:15], v[12:13], v[10:11]
	v_fma_f64 v[8:9], -v[8:9], v[14:15], v[12:13]
	s_mov_b64 s[4:5], 0
	s_nop 0
	v_div_fmas_f64 v[8:9], v[8:9], v[10:11], v[14:15]
	v_div_fixup_f64 v[2:3], v[8:9], v[2:3], v[6:7]
	s_waitcnt lgkmcnt(0)
	v_cvt_f64_i32_e32 v[6:7], s0
	v_mul_f64 v[6:7], v[6:7], s[8:9]
	v_cmp_lt_f64_e32 vcc, v[2:3], v[6:7]
	v_cndmask_b32_e32 v3, v3, v7, vcc
	v_cndmask_b32_e32 v2, v2, v6, vcc
	global_store_dwordx4 v4, v[0:3], s[12:13]
	s_andn2_b64 vcc, exec, s[26:27]
	v_cndmask_b32_e64 v0, 0, 1, s[26:27]
	v_cmp_ne_u32_e64 s[0:1], 1, v0
	s_mov_b32 s8, 0
	s_cbranch_vccnz .LBB219_20
; %bb.4:
	s_add_u32 s33, s29, 4
	s_mov_b32 s11, 0
	s_addc_u32 s34, s30, 0
	s_movk_i32 s35, 0x1f8
	s_mov_b32 s8, s11
	s_mov_b32 s10, s11
	s_lshl_b32 s14, s10, 2
	s_or_b32 s9, s14, 3
	s_cmp_ge_i32 s9, s31
	s_cbranch_scc1 .LBB219_6
.LBB219_5:
	s_mov_b32 s15, s11
	s_lshl_b64 s[14:15], s[14:15], 2
	s_add_u32 s14, s29, s14
	s_addc_u32 s15, s30, s15
	v_mov_b32_e32 v5, v4
	v_mov_b32_e32 v6, v4
	;; [unrolled: 1-line block ×3, first 2 shown]
	global_store_dwordx4 v4, v[4:7], s[14:15]
	s_waitcnt vmcnt(0)
	buffer_wbinvl1_vol
.LBB219_6:                              ; =>This Inner Loop Header: Depth=1
	s_lshl_b64 s[14:15], s[10:11], 3
	s_add_u32 s26, s18, s14
	s_addc_u32 s27, s19, s15
	global_load_dwordx2 v[6:7], v4, s[26:27]
	s_add_u32 s14, s22, s14
	s_addc_u32 s15, s23, s15
	global_load_dwordx2 v[0:1], v4, s[14:15]
	s_waitcnt vmcnt(1)
	v_cmp_class_f64_e64 s[26:27], v[6:7], s35
	s_and_b64 vcc, exec, s[26:27]
	s_cbranch_vccz .LBB219_19
; %bb.7:                                ;   in Loop: Header=BB219_6 Depth=1
	s_waitcnt vmcnt(0)
	v_cmp_class_f64_e64 s[26:27], v[0:1], s35
	s_and_b64 vcc, exec, s[26:27]
	s_cbranch_vccnz .LBB219_9
; %bb.8:                                ;   in Loop: Header=BB219_6 Depth=1
	s_mov_b64 s[4:5], -1
.LBB219_9:                              ;   in Loop: Header=BB219_6 Depth=1
	v_and_b32_e32 v7, 0x7fffffff, v1
	v_mov_b32_e32 v6, v0
	s_cbranch_execnz .LBB219_11
.LBB219_10:                             ;   in Loop: Header=BB219_6 Depth=1
	s_waitcnt vmcnt(0)
	v_and_b32_e32 v1, 0x7fffffff, v1
	s_mov_b64 s[4:5], -1
	v_pk_mov_b32 v[6:7], v[0:1], v[0:1] op_sel:[0,1]
.LBB219_11:                             ;   in Loop: Header=BB219_6 Depth=1
	v_cmp_lt_f64_e32 vcc, v[6:7], v[2:3]
	s_mov_b64 s[26:27], -1
                                        ; implicit-def: $sgpr9
	s_cbranch_vccz .LBB219_14
; %bb.12:                               ;   in Loop: Header=BB219_6 Depth=1
	s_andn2_b64 vcc, exec, s[26:27]
	s_cbranch_vccz .LBB219_15
.LBB219_13:                             ;   in Loop: Header=BB219_6 Depth=1
	s_cmp_eq_u32 s9, s7
	s_cbranch_scc0 .LBB219_18
	s_branch .LBB219_20
.LBB219_14:                             ;   in Loop: Header=BB219_6 Depth=1
	s_add_i32 s9, s10, 1
	s_cbranch_execnz .LBB219_13
.LBB219_15:                             ;   in Loop: Header=BB219_6 Depth=1
	v_mov_b32_e32 v5, v4
	s_cmp_ge_i32 s8, s10
	global_store_dwordx2 v4, v[4:5], s[14:15]
	s_cbranch_scc1 .LBB219_17
; %bb.16:                               ;   in Loop: Header=BB219_6 Depth=1
	s_lshl_b32 s14, s28, 2
	s_ashr_i32 s15, s14, 31
	s_lshl_b64 s[14:15], s[14:15], 2
	s_mov_b32 s9, s10
	s_add_u32 s14, s33, s14
	s_addc_u32 s15, s34, s15
	s_waitcnt vmcnt(1)
	v_pk_mov_b32 v[0:1], s[8:9], s[8:9] op_sel:[0,1]
	s_add_i32 s28, s28, 1
	global_store_dwordx2 v4, v[0:1], s[14:15]
.LBB219_17:                             ;   in Loop: Header=BB219_6 Depth=1
	s_add_i32 s9, s10, 1
	s_mov_b32 s8, s9
	s_cmp_eq_u32 s9, s7
	s_cbranch_scc1 .LBB219_20
.LBB219_18:                             ;   in Loop: Header=BB219_6 Depth=1
	s_mov_b32 s10, s9
	s_lshl_b32 s14, s10, 2
	s_or_b32 s9, s14, 3
	s_cmp_ge_i32 s9, s31
	s_cbranch_scc0 .LBB219_5
	s_branch .LBB219_6
.LBB219_19:                             ;   in Loop: Header=BB219_6 Depth=1
                                        ; implicit-def: $sgpr4_sgpr5
                                        ; implicit-def: $vgpr6_vgpr7
	s_branch .LBB219_10
.LBB219_20:
	v_mov_b32_e32 v2, 0
	global_load_dwordx2 v[0:1], v2, s[20:21] offset:-8
	s_cmp_lt_i32 s8, s7
	s_cbranch_scc0 .LBB219_22
; %bb.21:
	s_lshl_b32 s10, s28, 2
	s_ashr_i32 s11, s10, 31
	s_lshl_b64 s[10:11], s[10:11], 2
	s_add_u32 s10, s29, s10
	s_addc_u32 s11, s30, s11
	v_mov_b32_e32 v4, s8
	v_mov_b32_e32 v5, s7
	global_store_dwordx2 v2, v[4:5], s[10:11] offset:4
.LBB219_22:
	s_mov_b32 s8, 0
	s_mov_b32 s9, 0x7ff00000
	s_waitcnt vmcnt(0)
	v_cmp_nlg_f64_e64 s[8:9], |v[0:1]|, s[8:9]
	s_or_b64 s[4:5], s[8:9], s[4:5]
	s_andn2_b64 vcc, exec, s[4:5]
	s_mov_b64 s[4:5], -1
	s_cbranch_vccz .LBB219_28
; %bb.23:
	s_add_i32 s8, s28, 1
	s_lshl_b64 s[4:5], s[16:17], 2
	s_add_u32 s4, s24, s4
	v_mov_b32_e32 v2, 0
	s_addc_u32 s5, s25, s5
	v_cvt_f64_i32_e32 v[0:1], s8
	v_mov_b32_e32 v3, v2
	s_cmp_lt_i32 s28, 0
	global_store_dwordx4 v2, v[0:3], s[12:13] offset:16
	global_store_dword v2, v2, s[4:5]
	s_cbranch_scc1 .LBB219_27
; %bb.24:
	s_mov_b64 s[4:5], 0
	v_mov_b32_e32 v1, 0
.LBB219_25:                             ; =>This Inner Loop Header: Depth=1
	v_mov_b32_e32 v0, s8
	global_atomic_cmpswap v1, v2, v[0:1], s[2:3] offset:4 glc
	s_waitcnt vmcnt(0)
	v_cmp_lt_i32_e32 vcc, s28, v1
	s_or_b64 s[4:5], vcc, s[4:5]
	s_andn2_b64 exec, exec, s[4:5]
	s_cbranch_execnz .LBB219_25
; %bb.26:
	s_or_b64 exec, exec, s[4:5]
.LBB219_27:
	s_mov_b64 s[4:5], 0
.LBB219_28:
	s_andn2_b64 vcc, exec, s[4:5]
	s_cbranch_vccnz .LBB219_34
; %bb.29:
	s_and_b64 vcc, exec, s[0:1]
	s_cbranch_vccnz .LBB219_32
; %bb.30:
	s_mov_b32 s0, 0
	s_mov_b32 s1, 0x7ff80000
	v_mov_b32_e32 v2, 0
	v_pk_mov_b32 v[0:1], s[0:1], s[0:1] op_sel:[0,1]
.LBB219_31:                             ; =>This Inner Loop Header: Depth=1
	s_add_i32 s7, s7, -1
	global_store_dwordx2 v2, v[0:1], s[18:19]
	global_store_dwordx2 v2, v[0:1], s[22:23]
	s_add_u32 s18, s18, 8
	s_addc_u32 s19, s19, 0
	s_add_u32 s22, s22, 8
	s_addc_u32 s23, s23, 0
	s_cmp_eq_u32 s7, 0
	s_cbranch_scc0 .LBB219_31
.LBB219_32:
	s_lshl_b64 s[4:5], s[16:17], 2
	s_add_u32 s8, s24, s4
	v_mov_b32_e32 v0, 0
	v_mov_b32_e32 v1, 0x7ff80000
	s_addc_u32 s9, s25, s5
	global_store_dwordx2 v0, v[0:1], s[20:21] offset:-8
	v_mov_b32_e32 v1, s6
	s_add_u32 s4, s2, s4
	s_mov_b64 s[0:1], exec
	global_store_dword v0, v1, s[8:9]
	s_addc_u32 s5, s3, s5
	v_mov_b32_e32 v1, 2
	global_store_dword v0, v1, s[4:5] offset:8
	v_mbcnt_lo_u32_b32 v1, s0, 0
	v_mbcnt_hi_u32_b32 v1, s1, v1
	v_cmp_eq_u32_e32 vcc, 0, v1
	s_and_saveexec_b64 s[4:5], vcc
	s_cbranch_execz .LBB219_34
; %bb.33:
	s_bcnt1_i32_b64 s0, s[0:1]
	v_mov_b32_e32 v1, s0
	global_atomic_add v0, v1, s[2:3]
.LBB219_34:
	s_endpgm
	.section	.rodata,"a",@progbits
	.p2align	6, 0x0
	.amdhsa_kernel _ZN9rocsolver6v33100L10bdsqr_initI19rocblas_complex_numIdEdEEviPT0_lS5_lPiiS4_S4_S6_S5_lS6_
		.amdhsa_group_segment_fixed_size 0
		.amdhsa_private_segment_fixed_size 0
		.amdhsa_kernarg_size 104
		.amdhsa_user_sgpr_count 6
		.amdhsa_user_sgpr_private_segment_buffer 1
		.amdhsa_user_sgpr_dispatch_ptr 0
		.amdhsa_user_sgpr_queue_ptr 0
		.amdhsa_user_sgpr_kernarg_segment_ptr 1
		.amdhsa_user_sgpr_dispatch_id 0
		.amdhsa_user_sgpr_flat_scratch_init 0
		.amdhsa_user_sgpr_kernarg_preload_length 0
		.amdhsa_user_sgpr_kernarg_preload_offset 0
		.amdhsa_user_sgpr_private_segment_size 0
		.amdhsa_uses_dynamic_stack 0
		.amdhsa_system_sgpr_private_segment_wavefront_offset 0
		.amdhsa_system_sgpr_workgroup_id_x 1
		.amdhsa_system_sgpr_workgroup_id_y 1
		.amdhsa_system_sgpr_workgroup_id_z 0
		.amdhsa_system_sgpr_workgroup_info 0
		.amdhsa_system_vgpr_workitem_id 0
		.amdhsa_next_free_vgpr 16
		.amdhsa_next_free_sgpr 36
		.amdhsa_accum_offset 16
		.amdhsa_reserve_vcc 1
		.amdhsa_reserve_flat_scratch 0
		.amdhsa_float_round_mode_32 0
		.amdhsa_float_round_mode_16_64 0
		.amdhsa_float_denorm_mode_32 3
		.amdhsa_float_denorm_mode_16_64 3
		.amdhsa_dx10_clamp 1
		.amdhsa_ieee_mode 1
		.amdhsa_fp16_overflow 0
		.amdhsa_tg_split 0
		.amdhsa_exception_fp_ieee_invalid_op 0
		.amdhsa_exception_fp_denorm_src 0
		.amdhsa_exception_fp_ieee_div_zero 0
		.amdhsa_exception_fp_ieee_overflow 0
		.amdhsa_exception_fp_ieee_underflow 0
		.amdhsa_exception_fp_ieee_inexact 0
		.amdhsa_exception_int_div_zero 0
	.end_amdhsa_kernel
	.section	.text._ZN9rocsolver6v33100L10bdsqr_initI19rocblas_complex_numIdEdEEviPT0_lS5_lPiiS4_S4_S6_S5_lS6_,"axG",@progbits,_ZN9rocsolver6v33100L10bdsqr_initI19rocblas_complex_numIdEdEEviPT0_lS5_lPiiS4_S4_S6_S5_lS6_,comdat
.Lfunc_end219:
	.size	_ZN9rocsolver6v33100L10bdsqr_initI19rocblas_complex_numIdEdEEviPT0_lS5_lPiiS4_S4_S6_S5_lS6_, .Lfunc_end219-_ZN9rocsolver6v33100L10bdsqr_initI19rocblas_complex_numIdEdEEviPT0_lS5_lPiiS4_S4_S6_S5_lS6_
                                        ; -- End function
	.section	.AMDGPU.csdata,"",@progbits
; Kernel info:
; codeLenInByte = 1584
; NumSgprs: 40
; NumVgprs: 16
; NumAgprs: 0
; TotalNumVgprs: 16
; ScratchSize: 0
; MemoryBound: 0
; FloatMode: 240
; IeeeMode: 1
; LDSByteSize: 0 bytes/workgroup (compile time only)
; SGPRBlocks: 4
; VGPRBlocks: 1
; NumSGPRsForWavesPerEU: 40
; NumVGPRsForWavesPerEU: 16
; AccumOffset: 16
; Occupancy: 8
; WaveLimiterHint : 0
; COMPUTE_PGM_RSRC2:SCRATCH_EN: 0
; COMPUTE_PGM_RSRC2:USER_SGPR: 6
; COMPUTE_PGM_RSRC2:TRAP_HANDLER: 0
; COMPUTE_PGM_RSRC2:TGID_X_EN: 1
; COMPUTE_PGM_RSRC2:TGID_Y_EN: 1
; COMPUTE_PGM_RSRC2:TGID_Z_EN: 0
; COMPUTE_PGM_RSRC2:TIDIG_COMP_CNT: 0
; COMPUTE_PGM_RSRC3_GFX90A:ACCUM_OFFSET: 3
; COMPUTE_PGM_RSRC3_GFX90A:TG_SPLIT: 0
	.section	.text._ZN9rocsolver6v33100L11swap_kernelI19rocblas_complex_numIdEiEEvT0_PT_S4_S6_S4_,"axG",@progbits,_ZN9rocsolver6v33100L11swap_kernelI19rocblas_complex_numIdEiEEvT0_PT_S4_S6_S4_,comdat
	.globl	_ZN9rocsolver6v33100L11swap_kernelI19rocblas_complex_numIdEiEEvT0_PT_S4_S6_S4_ ; -- Begin function _ZN9rocsolver6v33100L11swap_kernelI19rocblas_complex_numIdEiEEvT0_PT_S4_S6_S4_
	.p2align	8
	.type	_ZN9rocsolver6v33100L11swap_kernelI19rocblas_complex_numIdEiEEvT0_PT_S4_S6_S4_,@function
_ZN9rocsolver6v33100L11swap_kernelI19rocblas_complex_numIdEiEEvT0_PT_S4_S6_S4_: ; @_ZN9rocsolver6v33100L11swap_kernelI19rocblas_complex_numIdEiEEvT0_PT_S4_S6_S4_
; %bb.0:
	s_load_dword s16, s[6:7], 0x0
	s_waitcnt lgkmcnt(0)
	s_cmp_lt_i32 s16, 1
	s_cbranch_scc1 .LBB220_10
; %bb.1:
	s_load_dwordx2 s[0:1], s[4:5], 0x4
	s_load_dwordx2 s[2:3], s[6:7], 0x8
	s_load_dword s12, s[6:7], 0x10
	s_load_dwordx2 s[10:11], s[6:7], 0x18
	s_load_dword s9, s[6:7], 0x20
	s_waitcnt lgkmcnt(0)
	s_lshr_b32 s0, s0, 16
	s_mul_i32 s0, s0, s1
	v_and_b32_e32 v2, 0x3ff, v0
	v_mul_lo_u32 v1, s0, v2
	s_load_dword s0, s[6:7], 0x28
	s_load_dword s4, s[6:7], 0x34
	v_bfe_u32 v3, v0, 10, 10
	v_mul_u32_u24_e32 v3, s1, v3
	v_bfe_u32 v0, v0, 20, 10
	v_add3_u32 v1, v1, v3, v0
	s_waitcnt lgkmcnt(0)
	s_and_b32 s1, s4, 0xffff
	s_cmp_eq_u32 s12, 1
	s_mul_i32 s8, s8, s1
	s_mul_i32 s4, s0, s1
	s_cselect_b64 s[0:1], -1, 0
	s_cmp_eq_u32 s9, 1
	s_cselect_b64 s[6:7], -1, 0
	v_add_u32_e32 v0, s8, v2
	s_and_b64 s[14:15], s[0:1], s[6:7]
	v_cmp_gt_i32_e64 s[0:1], s16, v0
	s_mov_b64 s[6:7], -1
	s_and_b64 vcc, exec, s[14:15]
	s_cbranch_vccnz .LBB220_6
; %bb.2:
	s_and_saveexec_b64 s[6:7], s[0:1]
	s_cbranch_execz .LBB220_5
; %bb.3:
	v_mad_i64_i32 v[2:3], s[14:15], s9, v0, 0
	v_lshlrev_b64 v[2:3], 4, v[2:3]
	v_mov_b32_e32 v4, s11
	v_add_co_u32_e32 v2, vcc, s10, v2
	s_mul_hi_i32 s15, s9, s4
	s_mul_i32 s14, s9, s4
	v_addc_co_u32_e32 v3, vcc, v4, v3, vcc
	s_lshl_b64 s[8:9], s[14:15], 4
	v_mad_i64_i32 v[4:5], s[14:15], s12, v0, 0
	v_lshlrev_b64 v[4:5], 4, v[4:5]
	s_mul_hi_i32 s13, s12, s4
	s_mul_i32 s12, s12, s4
	v_mov_b32_e32 v7, s3
	v_add_co_u32_e32 v4, vcc, s2, v4
	s_lshl_b64 s[12:13], s[12:13], 4
	v_lshlrev_b32_e32 v6, 4, v1
	v_addc_co_u32_e32 v5, vcc, v7, v5, vcc
	s_mov_b64 s[14:15], 0
	v_mov_b32_e32 v7, s9
	v_mov_b32_e32 v8, s13
	;; [unrolled: 1-line block ×3, first 2 shown]
.LBB220_4:                              ; =>This Inner Loop Header: Depth=1
	global_load_dwordx4 v[10:13], v[2:3], off
	global_load_dwordx4 v[14:17], v[4:5], off
	v_add_u32_e32 v9, s4, v9
	v_cmp_le_i32_e32 vcc, s16, v9
	s_or_b64 s[14:15], vcc, s[14:15]
	s_waitcnt vmcnt(1)
	ds_write2_b64 v6, v[10:11], v[12:13] offset1:1
	s_waitcnt vmcnt(0)
	global_store_dwordx4 v[2:3], v[14:17], off
	global_store_dwordx4 v[4:5], v[10:13], off
	v_add_co_u32_e32 v2, vcc, s8, v2
	v_addc_co_u32_e32 v3, vcc, v3, v7, vcc
	v_add_co_u32_e32 v4, vcc, s12, v4
	v_addc_co_u32_e32 v5, vcc, v5, v8, vcc
	s_andn2_b64 exec, exec, s[14:15]
	s_cbranch_execnz .LBB220_4
.LBB220_5:
	s_or_b64 exec, exec, s[6:7]
	s_mov_b64 s[6:7], 0
.LBB220_6:
	s_andn2_b64 vcc, exec, s[6:7]
	s_cbranch_vccnz .LBB220_10
; %bb.7:
	s_and_saveexec_b64 s[6:7], s[0:1]
	s_cbranch_execz .LBB220_10
; %bb.8:
	v_mov_b32_e32 v2, 0x4000
	s_ashr_i32 s5, s4, 31
	v_lshl_add_u32 v4, v1, 4, v2
	v_ashrrev_i32_e32 v1, 31, v0
	s_lshl_b64 s[0:1], s[4:5], 4
	v_lshlrev_b64 v[2:3], 4, v[0:1]
	s_mov_b64 s[6:7], 0
	v_mov_b32_e32 v1, s11
	v_mov_b32_e32 v5, s3
	;; [unrolled: 1-line block ×3, first 2 shown]
.LBB220_9:                              ; =>This Inner Loop Header: Depth=1
	v_add_co_u32_e32 v16, vcc, s10, v2
	v_addc_co_u32_e32 v17, vcc, v1, v3, vcc
	v_add_co_u32_e32 v18, vcc, s2, v2
	v_addc_co_u32_e32 v19, vcc, v5, v3, vcc
	global_load_dwordx4 v[8:11], v[16:17], off
	global_load_dwordx4 v[12:15], v[18:19], off
	v_add_co_u32_e32 v2, vcc, s0, v2
	v_add_u32_e32 v0, s4, v0
	v_addc_co_u32_e32 v3, vcc, v3, v6, vcc
	v_cmp_le_i32_e32 vcc, s16, v0
	s_or_b64 s[6:7], vcc, s[6:7]
	s_waitcnt vmcnt(1)
	ds_write2_b64 v4, v[8:9], v[10:11] offset1:1
	s_waitcnt vmcnt(0)
	global_store_dwordx4 v[16:17], v[12:15], off
	global_store_dwordx4 v[18:19], v[8:11], off
	s_andn2_b64 exec, exec, s[6:7]
	s_cbranch_execnz .LBB220_9
.LBB220_10:
	s_endpgm
	.section	.rodata,"a",@progbits
	.p2align	6, 0x0
	.amdhsa_kernel _ZN9rocsolver6v33100L11swap_kernelI19rocblas_complex_numIdEiEEvT0_PT_S4_S6_S4_
		.amdhsa_group_segment_fixed_size 32768
		.amdhsa_private_segment_fixed_size 0
		.amdhsa_kernarg_size 296
		.amdhsa_user_sgpr_count 8
		.amdhsa_user_sgpr_private_segment_buffer 1
		.amdhsa_user_sgpr_dispatch_ptr 1
		.amdhsa_user_sgpr_queue_ptr 0
		.amdhsa_user_sgpr_kernarg_segment_ptr 1
		.amdhsa_user_sgpr_dispatch_id 0
		.amdhsa_user_sgpr_flat_scratch_init 0
		.amdhsa_user_sgpr_kernarg_preload_length 0
		.amdhsa_user_sgpr_kernarg_preload_offset 0
		.amdhsa_user_sgpr_private_segment_size 0
		.amdhsa_uses_dynamic_stack 0
		.amdhsa_system_sgpr_private_segment_wavefront_offset 0
		.amdhsa_system_sgpr_workgroup_id_x 1
		.amdhsa_system_sgpr_workgroup_id_y 0
		.amdhsa_system_sgpr_workgroup_id_z 0
		.amdhsa_system_sgpr_workgroup_info 0
		.amdhsa_system_vgpr_workitem_id 2
		.amdhsa_next_free_vgpr 20
		.amdhsa_next_free_sgpr 17
		.amdhsa_accum_offset 20
		.amdhsa_reserve_vcc 1
		.amdhsa_reserve_flat_scratch 0
		.amdhsa_float_round_mode_32 0
		.amdhsa_float_round_mode_16_64 0
		.amdhsa_float_denorm_mode_32 3
		.amdhsa_float_denorm_mode_16_64 3
		.amdhsa_dx10_clamp 1
		.amdhsa_ieee_mode 1
		.amdhsa_fp16_overflow 0
		.amdhsa_tg_split 0
		.amdhsa_exception_fp_ieee_invalid_op 0
		.amdhsa_exception_fp_denorm_src 0
		.amdhsa_exception_fp_ieee_div_zero 0
		.amdhsa_exception_fp_ieee_overflow 0
		.amdhsa_exception_fp_ieee_underflow 0
		.amdhsa_exception_fp_ieee_inexact 0
		.amdhsa_exception_int_div_zero 0
	.end_amdhsa_kernel
	.section	.text._ZN9rocsolver6v33100L11swap_kernelI19rocblas_complex_numIdEiEEvT0_PT_S4_S6_S4_,"axG",@progbits,_ZN9rocsolver6v33100L11swap_kernelI19rocblas_complex_numIdEiEEvT0_PT_S4_S6_S4_,comdat
.Lfunc_end220:
	.size	_ZN9rocsolver6v33100L11swap_kernelI19rocblas_complex_numIdEiEEvT0_PT_S4_S6_S4_, .Lfunc_end220-_ZN9rocsolver6v33100L11swap_kernelI19rocblas_complex_numIdEiEEvT0_PT_S4_S6_S4_
                                        ; -- End function
	.section	.AMDGPU.csdata,"",@progbits
; Kernel info:
; codeLenInByte = 560
; NumSgprs: 21
; NumVgprs: 20
; NumAgprs: 0
; TotalNumVgprs: 20
; ScratchSize: 0
; MemoryBound: 0
; FloatMode: 240
; IeeeMode: 1
; LDSByteSize: 32768 bytes/workgroup (compile time only)
; SGPRBlocks: 2
; VGPRBlocks: 2
; NumSGPRsForWavesPerEU: 21
; NumVGPRsForWavesPerEU: 20
; AccumOffset: 20
; Occupancy: 8
; WaveLimiterHint : 0
; COMPUTE_PGM_RSRC2:SCRATCH_EN: 0
; COMPUTE_PGM_RSRC2:USER_SGPR: 8
; COMPUTE_PGM_RSRC2:TRAP_HANDLER: 0
; COMPUTE_PGM_RSRC2:TGID_X_EN: 1
; COMPUTE_PGM_RSRC2:TGID_Y_EN: 0
; COMPUTE_PGM_RSRC2:TGID_Z_EN: 0
; COMPUTE_PGM_RSRC2:TIDIG_COMP_CNT: 2
; COMPUTE_PGM_RSRC3_GFX90A:ACCUM_OFFSET: 4
; COMPUTE_PGM_RSRC3_GFX90A:TG_SPLIT: 0
	.section	.text._ZN9rocsolver6v33100L10rot_kernelId19rocblas_complex_numIdEiEEvT1_PT0_S4_S6_S4_T_S7_,"axG",@progbits,_ZN9rocsolver6v33100L10rot_kernelId19rocblas_complex_numIdEiEEvT1_PT0_S4_S6_S4_T_S7_,comdat
	.globl	_ZN9rocsolver6v33100L10rot_kernelId19rocblas_complex_numIdEiEEvT1_PT0_S4_S6_S4_T_S7_ ; -- Begin function _ZN9rocsolver6v33100L10rot_kernelId19rocblas_complex_numIdEiEEvT1_PT0_S4_S6_S4_T_S7_
	.p2align	8
	.type	_ZN9rocsolver6v33100L10rot_kernelId19rocblas_complex_numIdEiEEvT1_PT0_S4_S6_S4_T_S7_,@function
_ZN9rocsolver6v33100L10rot_kernelId19rocblas_complex_numIdEiEEvT1_PT0_S4_S6_S4_T_S7_: ; @_ZN9rocsolver6v33100L10rot_kernelId19rocblas_complex_numIdEiEEvT1_PT0_S4_S6_S4_T_S7_
; %bb.0:
	s_load_dword s20, s[4:5], 0x0
	s_waitcnt lgkmcnt(0)
	s_cmp_lt_i32 s20, 1
	s_cbranch_scc1 .LBB221_10
; %bb.1:
	s_load_dwordx4 s[8:11], s[4:5], 0x28
	s_load_dword s0, s[4:5], 0x38
	s_load_dword s1, s[4:5], 0x44
	s_load_dwordx2 s[2:3], s[4:5], 0x8
	s_load_dword s16, s[4:5], 0x10
	s_load_dwordx2 s[12:13], s[4:5], 0x18
	s_load_dword s14, s[4:5], 0x20
	s_waitcnt lgkmcnt(0)
	s_and_b32 s1, s1, 0xffff
	s_mul_i32 s6, s6, s1
	s_cmp_eq_u32 s16, 1
	s_mul_i32 s4, s0, s1
	s_cselect_b64 s[0:1], -1, 0
	s_cmp_eq_u32 s14, 1
	v_add_u32_e32 v0, s6, v0
	s_cselect_b64 s[6:7], -1, 0
	s_and_b64 s[18:19], s[0:1], s[6:7]
	v_cmp_gt_i32_e64 s[0:1], s20, v0
	s_mov_b64 s[6:7], -1
	s_and_b64 vcc, exec, s[18:19]
	s_cbranch_vccnz .LBB221_6
; %bb.2:
	s_and_saveexec_b64 s[6:7], s[0:1]
	s_cbranch_execz .LBB221_5
; %bb.3:
	v_mad_i64_i32 v[2:3], s[18:19], s14, v0, 0
	v_lshlrev_b64 v[2:3], 4, v[2:3]
	v_mov_b32_e32 v1, s13
	v_add_co_u32_e32 v2, vcc, s12, v2
	v_addc_co_u32_e32 v1, vcc, v3, v1, vcc
	v_add_co_u32_e32 v2, vcc, 8, v2
	v_mad_i64_i32 v[4:5], s[18:19], s16, v0, 0
	v_addc_co_u32_e32 v3, vcc, 0, v1, vcc
	v_lshlrev_b64 v[4:5], 4, v[4:5]
	v_mov_b32_e32 v1, s3
	v_add_co_u32_e32 v4, vcc, s2, v4
	s_mul_hi_i32 s15, s14, s4
	s_mul_i32 s14, s14, s4
	v_addc_co_u32_e32 v1, vcc, v5, v1, vcc
	s_mul_hi_i32 s17, s16, s4
	s_mul_i32 s16, s16, s4
	s_lshl_b64 s[14:15], s[14:15], 4
	v_add_co_u32_e32 v4, vcc, 8, v4
	s_lshl_b64 s[16:17], s[16:17], 4
	v_addc_co_u32_e32 v5, vcc, 0, v1, vcc
	s_mov_b64 s[18:19], 0
	v_mov_b32_e32 v1, s15
	v_mov_b32_e32 v6, s17
	v_mov_b32_e32 v7, v0
.LBB221_4:                              ; =>This Inner Loop Header: Depth=1
	global_load_dwordx4 v[8:11], v[2:3], off offset:-8
	global_load_dwordx4 v[12:15], v[4:5], off offset:-8
	v_add_u32_e32 v7, s4, v7
	v_cmp_le_i32_e32 vcc, s20, v7
	s_or_b64 s[18:19], vcc, s[18:19]
	s_waitcnt vmcnt(1)
	v_mul_f64 v[16:17], v[8:9], s[10:11]
	s_waitcnt vmcnt(0)
	v_mul_f64 v[20:21], v[12:13], s[10:11]
	v_mul_f64 v[22:23], v[14:15], s[10:11]
	;; [unrolled: 1-line block ×3, first 2 shown]
	v_fma_f64 v[8:9], v[8:9], s[8:9], -v[20:21]
	v_fma_f64 v[10:11], v[10:11], s[8:9], -v[22:23]
	v_fmac_f64_e32 v[16:17], s[8:9], v[12:13]
	v_fmac_f64_e32 v[18:19], s[8:9], v[14:15]
	global_store_dwordx4 v[2:3], v[8:11], off offset:-8
	global_store_dwordx4 v[4:5], v[16:19], off offset:-8
	v_add_co_u32_e32 v2, vcc, s14, v2
	v_addc_co_u32_e32 v3, vcc, v3, v1, vcc
	v_add_co_u32_e32 v4, vcc, s16, v4
	v_addc_co_u32_e32 v5, vcc, v5, v6, vcc
	s_andn2_b64 exec, exec, s[18:19]
	s_cbranch_execnz .LBB221_4
.LBB221_5:
	s_or_b64 exec, exec, s[6:7]
	s_mov_b64 s[6:7], 0
.LBB221_6:
	s_andn2_b64 vcc, exec, s[6:7]
	s_cbranch_vccnz .LBB221_10
; %bb.7:
	s_and_saveexec_b64 s[6:7], s[0:1]
	s_cbranch_execz .LBB221_10
; %bb.8:
	s_ashr_i32 s5, s4, 31
	v_ashrrev_i32_e32 v1, 31, v0
	s_lshl_b64 s[0:1], s[4:5], 4
	v_lshlrev_b64 v[2:3], 4, v[0:1]
	s_mov_b64 s[6:7], 0
	v_mov_b32_e32 v1, s3
	v_mov_b32_e32 v4, s13
	;; [unrolled: 1-line block ×3, first 2 shown]
.LBB221_9:                              ; =>This Inner Loop Header: Depth=1
	v_add_co_u32_e32 v18, vcc, s2, v2
	v_addc_co_u32_e32 v19, vcc, v1, v3, vcc
	v_add_co_u32_e32 v20, vcc, s12, v2
	v_addc_co_u32_e32 v21, vcc, v4, v3, vcc
	global_load_dwordx4 v[6:9], v[20:21], off
	global_load_dwordx4 v[10:13], v[18:19], off
	v_add_co_u32_e32 v2, vcc, s0, v2
	v_add_u32_e32 v0, s4, v0
	v_addc_co_u32_e32 v3, vcc, v3, v5, vcc
	v_cmp_le_i32_e32 vcc, s20, v0
	s_or_b64 s[6:7], vcc, s[6:7]
	s_waitcnt vmcnt(1)
	v_mul_f64 v[14:15], v[6:7], s[10:11]
	s_waitcnt vmcnt(0)
	v_mul_f64 v[22:23], v[10:11], s[10:11]
	v_mul_f64 v[24:25], v[12:13], s[10:11]
	;; [unrolled: 1-line block ×3, first 2 shown]
	v_fma_f64 v[6:7], v[6:7], s[8:9], -v[22:23]
	v_fma_f64 v[8:9], v[8:9], s[8:9], -v[24:25]
	v_fmac_f64_e32 v[14:15], s[8:9], v[10:11]
	v_fmac_f64_e32 v[16:17], s[8:9], v[12:13]
	global_store_dwordx4 v[20:21], v[6:9], off
	global_store_dwordx4 v[18:19], v[14:17], off
	s_andn2_b64 exec, exec, s[6:7]
	s_cbranch_execnz .LBB221_9
.LBB221_10:
	s_endpgm
	.section	.rodata,"a",@progbits
	.p2align	6, 0x0
	.amdhsa_kernel _ZN9rocsolver6v33100L10rot_kernelId19rocblas_complex_numIdEiEEvT1_PT0_S4_S6_S4_T_S7_
		.amdhsa_group_segment_fixed_size 0
		.amdhsa_private_segment_fixed_size 0
		.amdhsa_kernarg_size 312
		.amdhsa_user_sgpr_count 6
		.amdhsa_user_sgpr_private_segment_buffer 1
		.amdhsa_user_sgpr_dispatch_ptr 0
		.amdhsa_user_sgpr_queue_ptr 0
		.amdhsa_user_sgpr_kernarg_segment_ptr 1
		.amdhsa_user_sgpr_dispatch_id 0
		.amdhsa_user_sgpr_flat_scratch_init 0
		.amdhsa_user_sgpr_kernarg_preload_length 0
		.amdhsa_user_sgpr_kernarg_preload_offset 0
		.amdhsa_user_sgpr_private_segment_size 0
		.amdhsa_uses_dynamic_stack 0
		.amdhsa_system_sgpr_private_segment_wavefront_offset 0
		.amdhsa_system_sgpr_workgroup_id_x 1
		.amdhsa_system_sgpr_workgroup_id_y 0
		.amdhsa_system_sgpr_workgroup_id_z 0
		.amdhsa_system_sgpr_workgroup_info 0
		.amdhsa_system_vgpr_workitem_id 0
		.amdhsa_next_free_vgpr 26
		.amdhsa_next_free_sgpr 21
		.amdhsa_accum_offset 28
		.amdhsa_reserve_vcc 1
		.amdhsa_reserve_flat_scratch 0
		.amdhsa_float_round_mode_32 0
		.amdhsa_float_round_mode_16_64 0
		.amdhsa_float_denorm_mode_32 3
		.amdhsa_float_denorm_mode_16_64 3
		.amdhsa_dx10_clamp 1
		.amdhsa_ieee_mode 1
		.amdhsa_fp16_overflow 0
		.amdhsa_tg_split 0
		.amdhsa_exception_fp_ieee_invalid_op 0
		.amdhsa_exception_fp_denorm_src 0
		.amdhsa_exception_fp_ieee_div_zero 0
		.amdhsa_exception_fp_ieee_overflow 0
		.amdhsa_exception_fp_ieee_underflow 0
		.amdhsa_exception_fp_ieee_inexact 0
		.amdhsa_exception_int_div_zero 0
	.end_amdhsa_kernel
	.section	.text._ZN9rocsolver6v33100L10rot_kernelId19rocblas_complex_numIdEiEEvT1_PT0_S4_S6_S4_T_S7_,"axG",@progbits,_ZN9rocsolver6v33100L10rot_kernelId19rocblas_complex_numIdEiEEvT1_PT0_S4_S6_S4_T_S7_,comdat
.Lfunc_end221:
	.size	_ZN9rocsolver6v33100L10rot_kernelId19rocblas_complex_numIdEiEEvT1_PT0_S4_S6_S4_T_S7_, .Lfunc_end221-_ZN9rocsolver6v33100L10rot_kernelId19rocblas_complex_numIdEiEEvT1_PT0_S4_S6_S4_T_S7_
                                        ; -- End function
	.section	.AMDGPU.csdata,"",@progbits
; Kernel info:
; codeLenInByte = 596
; NumSgprs: 25
; NumVgprs: 26
; NumAgprs: 0
; TotalNumVgprs: 26
; ScratchSize: 0
; MemoryBound: 0
; FloatMode: 240
; IeeeMode: 1
; LDSByteSize: 0 bytes/workgroup (compile time only)
; SGPRBlocks: 3
; VGPRBlocks: 3
; NumSGPRsForWavesPerEU: 25
; NumVGPRsForWavesPerEU: 26
; AccumOffset: 28
; Occupancy: 8
; WaveLimiterHint : 0
; COMPUTE_PGM_RSRC2:SCRATCH_EN: 0
; COMPUTE_PGM_RSRC2:USER_SGPR: 6
; COMPUTE_PGM_RSRC2:TRAP_HANDLER: 0
; COMPUTE_PGM_RSRC2:TGID_X_EN: 1
; COMPUTE_PGM_RSRC2:TGID_Y_EN: 0
; COMPUTE_PGM_RSRC2:TGID_Z_EN: 0
; COMPUTE_PGM_RSRC2:TIDIG_COMP_CNT: 0
; COMPUTE_PGM_RSRC3_GFX90A:ACCUM_OFFSET: 6
; COMPUTE_PGM_RSRC3_GFX90A:TG_SPLIT: 0
	.section	.text._ZN9rocsolver6v33100L11lasr_kernelI19rocblas_complex_numIdEdPS3_iEEv13rocblas_side_14rocblas_pivot_15rocblas_direct_T2_S8_PT0_lSA_lT1_lS8_lS8_,"axG",@progbits,_ZN9rocsolver6v33100L11lasr_kernelI19rocblas_complex_numIdEdPS3_iEEv13rocblas_side_14rocblas_pivot_15rocblas_direct_T2_S8_PT0_lSA_lT1_lS8_lS8_,comdat
	.globl	_ZN9rocsolver6v33100L11lasr_kernelI19rocblas_complex_numIdEdPS3_iEEv13rocblas_side_14rocblas_pivot_15rocblas_direct_T2_S8_PT0_lSA_lT1_lS8_lS8_ ; -- Begin function _ZN9rocsolver6v33100L11lasr_kernelI19rocblas_complex_numIdEdPS3_iEEv13rocblas_side_14rocblas_pivot_15rocblas_direct_T2_S8_PT0_lSA_lT1_lS8_lS8_
	.p2align	8
	.type	_ZN9rocsolver6v33100L11lasr_kernelI19rocblas_complex_numIdEdPS3_iEEv13rocblas_side_14rocblas_pivot_15rocblas_direct_T2_S8_PT0_lSA_lT1_lS8_lS8_,@function
_ZN9rocsolver6v33100L11lasr_kernelI19rocblas_complex_numIdEdPS3_iEEv13rocblas_side_14rocblas_pivot_15rocblas_direct_T2_S8_PT0_lSA_lT1_lS8_lS8_: ; @_ZN9rocsolver6v33100L11lasr_kernelI19rocblas_complex_numIdEdPS3_iEEv13rocblas_side_14rocblas_pivot_15rocblas_direct_T2_S8_PT0_lSA_lT1_lS8_lS8_
; %bb.0:
	s_load_dword s33, s[4:5], 0x58
	s_waitcnt lgkmcnt(0)
	s_cmp_ge_u32 s7, s33
	s_cbranch_scc1 .LBB222_98
; %bb.1:
	s_load_dwordx4 s[0:3], s[4:5], 0x38
	s_load_dword s20, s[4:5], 0x48
	s_load_dwordx2 s[22:23], s[4:5], 0x50
	s_load_dword s26, s[4:5], 0x60
	s_load_dwordx2 s[24:25], s[4:5], 0x68
	s_load_dwordx4 s[16:19], s[4:5], 0x0
	s_load_dword s86, s[4:5], 0x10
	s_load_dwordx8 s[8:15], s[4:5], 0x18
	s_waitcnt lgkmcnt(0)
	s_ashr_i32 s21, s20, 31
	s_and_b32 s5, s25, 0xffff
	s_mul_i32 s6, s6, s5
	s_lshl_b64 s[2:3], s[2:3], 4
	v_add_u32_e32 v4, s6, v0
	s_add_u32 s6, s0, s2
	s_addc_u32 s25, s1, s3
	s_cmpk_lg_i32 s16, 0x8d
	s_cselect_b64 s[38:39], -1, 0
	s_cmpk_lg_i32 s16, 0x8e
	s_cselect_b64 s[44:45], -1, 0
	;; [unrolled: 2-line block ×6, first 2 shown]
	s_or_b64 s[28:29], s[38:39], s[42:43]
	s_or_b64 s[16:17], s[28:29], s[52:53]
	s_xor_b64 s[16:17], s[16:17], -1
	s_ashr_i32 s27, s19, 31
	s_add_i32 s62, s19, -2
	s_cmpk_lg_i32 s18, 0xac
	s_cselect_b64 s[54:55], -1, 0
	s_or_b64 s[28:29], s[28:29], s[54:55]
	s_xor_b64 s[28:29], s[28:29], -1
	s_cmp_gt_i32 s19, 1
	s_cselect_b64 s[30:31], -1, 0
	s_or_b64 s[36:37], s[38:39], s[50:51]
	s_or_b64 s[40:41], s[38:39], s[48:49]
	s_or_b64 s[46:47], s[44:45], s[42:43]
	s_or_b64 s[34:35], s[36:37], s[52:53]
	s_or_b64 s[36:37], s[36:37], s[54:55]
	s_or_b64 s[38:39], s[40:41], s[52:53]
	s_or_b64 s[40:41], s[40:41], s[54:55]
	s_or_b64 s[42:43], s[46:47], s[52:53]
	s_or_b64 s[46:47], s[46:47], s[54:55]
	s_xor_b64 s[34:35], s[34:35], -1
	s_xor_b64 s[36:37], s[36:37], -1
	;; [unrolled: 1-line block ×5, first 2 shown]
	s_add_i32 s18, s86, -1
	s_xor_b64 s[46:47], s[46:47], -1
                                        ; implicit-def: $vgpr41 : SGPR spill to VGPR lane
	s_add_i32 s68, s86, -2
	v_writelane_b32 v41, s46, 0
	s_cmp_gt_i32 s86, 1
	v_writelane_b32 v41, s47, 1
	s_cselect_b64 s[46:47], -1, 0
	s_or_b64 s[50:51], s[44:45], s[50:51]
	s_or_b64 s[56:57], s[50:51], s[52:53]
	s_xor_b64 s[56:57], s[56:57], -1
	v_writelane_b32 v41, s56, 2
	s_or_b64 s[50:51], s[50:51], s[54:55]
	v_writelane_b32 v41, s57, 3
	s_xor_b64 s[50:51], s[50:51], -1
	s_or_b64 s[44:45], s[44:45], s[48:49]
	v_writelane_b32 v41, s50, 4
	s_or_b64 s[48:49], s[44:45], s[52:53]
	v_writelane_b32 v41, s51, 5
	s_xor_b64 s[48:49], s[48:49], -1
	v_writelane_b32 v41, s48, 6
	v_cmp_le_i32_e32 vcc, s19, v4
	v_writelane_b32 v41, s49, 7
	s_or_b64 s[48:49], s[54:55], vcc
	s_or_b64 s[44:45], s[44:45], s[48:49]
	s_xor_b64 s[44:45], s[44:45], -1
	s_mul_i32 s4, s26, s5
	v_writelane_b32 v41, s44, 8
	v_writelane_b32 v41, s45, 9
	s_mul_hi_i32 s45, s20, s4
	s_mul_i32 s44, s20, s4
	s_mov_b32 s63, 0
	s_add_i32 s56, s19, -1
	s_lshl_b64 s[14:15], s[14:15], 3
	s_lshl_b64 s[10:11], s[10:11], 3
	;; [unrolled: 1-line block ×3, first 2 shown]
	s_ashr_i32 s5, s4, 31
	s_lshl_b64 s[60:61], s[44:45], 4
	s_lshl_b64 s[44:45], s[62:63], 3
	s_add_u32 s87, s8, s44
	s_addc_u32 s88, s9, s45
	s_add_u32 s89, s12, s44
	s_mul_i32 s26, s21, s68
	s_mul_hi_u32 s48, s20, s68
	s_addc_u32 s90, s13, s45
	s_mov_b32 s57, s63
	s_add_i32 s49, s48, s26
	s_mul_i32 s48, s20, s68
	s_mov_b32 s69, s63
	s_lshl_b64 s[44:45], s[62:63], 4
	s_lshl_b64 s[48:49], s[48:49], 4
	s_add_i32 s91, s19, 1
	s_lshl_b64 s[50:51], s[56:57], 4
	s_lshl_b64 s[62:63], s[4:5], 4
	;; [unrolled: 1-line block ×3, first 2 shown]
	s_add_u32 s5, s48, s2
	s_addc_u32 s26, s49, s3
	s_add_u32 s52, s0, s5
	s_mul_i32 s5, s21, s18
	s_mul_hi_u32 s21, s20, s18
	s_mul_i32 s66, s20, s18
	s_addc_u32 s26, s1, s26
	s_add_i32 s49, s21, s5
	s_mov_b32 s48, s66
	s_lshl_b64 s[48:49], s[48:49], 4
	s_add_u32 s5, s48, s2
	s_addc_u32 s21, s49, s3
	s_add_u32 s53, s0, s5
	s_addc_u32 s54, s1, s21
	s_lshl_b64 s[48:49], s[68:69], 3
	s_add_u32 s5, s8, s48
	s_addc_u32 s21, s9, s49
	s_add_u32 s57, s12, s48
	s_addc_u32 s92, s13, s49
	;; [unrolled: 2-line block ×4, first 2 shown]
	v_mad_i64_i32 v[0:1], s[0:1], s20, v4, 0
	v_lshlrev_b64 v[0:1], 4, v[0:1]
	v_mov_b32_e32 v2, s25
	v_add_co_u32_e32 v0, vcc, s6, v0
	v_addc_co_u32_e32 v1, vcc, v2, v1, vcc
	v_add_co_u32_e32 v18, vcc, 24, v0
	v_addc_co_u32_e32 v19, vcc, 0, v1, vcc
	v_mov_b32_e32 v2, s45
	v_add_co_u32_e32 v20, vcc, s44, v0
	v_addc_co_u32_e32 v21, vcc, v1, v2, vcc
	v_add_co_u32_e32 v22, vcc, 16, v0
	v_addc_co_u32_e32 v23, vcc, 0, v1, vcc
	;; [unrolled: 2-line block ×3, first 2 shown]
	v_mov_b32_e32 v0, s51
	v_add_co_u32_e32 v26, vcc, s50, v24
	v_addc_co_u32_e32 v27, vcc, v25, v0, vcc
	v_add_co_u32_e32 v28, vcc, 8, v20
	v_ashrrev_i32_e32 v5, 31, v4
	v_addc_co_u32_e32 v29, vcc, 0, v21, vcc
	v_lshlrev_b64 v[0:1], 4, v[4:5]
	v_mov_b32_e32 v2, s25
	v_add_co_u32_e32 v3, vcc, s6, v0
	v_addc_co_u32_e32 v2, vcc, v2, v1, vcc
	v_add_co_u32_e32 v30, vcc, 8, v3
	v_addc_co_u32_e32 v31, vcc, 0, v2, vcc
	v_mov_b32_e32 v2, s26
	v_add_co_u32_e32 v32, vcc, s52, v0
	v_addc_co_u32_e32 v33, vcc, v2, v1, vcc
	v_mov_b32_e32 v2, s54
	v_add_co_u32_e32 v3, vcc, s53, v0
	v_addc_co_u32_e32 v2, vcc, v2, v1, vcc
	v_add_co_u32_e32 v34, vcc, 8, v3
	v_addc_co_u32_e32 v35, vcc, 0, v2, vcc
	v_mov_b32_e32 v2, s3
	v_add_co_u32_e32 v0, vcc, s2, v0
	v_addc_co_u32_e32 v1, vcc, v2, v1, vcc
	v_add_co_u32_e32 v36, vcc, 8, v0
	v_addc_co_u32_e32 v37, vcc, 0, v1, vcc
	s_add_i32 s93, s86, 1
	v_add_co_u32_e32 v38, vcc, 8, v32
	s_sub_u32 s94, 0, s64
	v_addc_co_u32_e32 v39, vcc, 0, v33, vcc
	s_mov_b32 s26, s19
	s_mul_hi_i32 s67, s20, s18
	v_mov_b32_e32 v40, 0
	s_subb_u32 s95, 0, s65
	v_cmp_gt_i32_e64 s[0:1], s86, v4
	v_cmp_gt_i32_e64 s[2:3], s19, v4
	s_branch .LBB222_4
.LBB222_2:                              ;   in Loop: Header=BB222_4 Depth=1
	s_or_b64 exec, exec, s[68:69]
.LBB222_3:                              ;   in Loop: Header=BB222_4 Depth=1
	s_add_i32 s7, s7, s24
	s_cmp_ge_u32 s7, s33
	s_cbranch_scc1 .LBB222_98
.LBB222_4:                              ; =>This Loop Header: Depth=1
                                        ;     Child Loop BB222_8 Depth 2
                                        ;       Child Loop BB222_9 Depth 3
                                        ;     Child Loop BB222_16 Depth 2
                                        ;       Child Loop BB222_17 Depth 3
	;; [unrolled: 2-line block ×12, first 2 shown]
	s_mul_i32 s44, s11, s7
	s_mul_hi_u32 s45, s10, s7
	s_add_i32 s84, s45, s44
	s_mul_i32 s44, s15, s7
	s_mul_hi_u32 s45, s14, s7
	s_add_i32 s50, s45, s44
	s_mul_i32 s44, s59, s7
	s_mul_hi_u32 s54, s58, s7
	s_mul_i32 s85, s10, s7
	s_add_i32 s54, s54, s44
	s_add_u32 s68, s8, s85
	s_mul_i32 s51, s14, s7
	s_addc_u32 s69, s9, s84
	s_add_u32 s70, s12, s51
	s_mul_i32 s44, s7, s23
	s_mul_hi_u32 s45, s7, s22
	s_addc_u32 s71, s13, s50
	s_add_i32 s45, s45, s44
	s_mul_i32 s44, s7, s22
	s_lshl_b64 s[44:45], s[44:45], 4
	s_add_u32 s52, s6, s44
	s_mul_i32 s55, s58, s7
	s_addc_u32 s53, s25, s45
	s_andn2_b64 vcc, exec, s[16:17]
	s_mov_b64 s[72:73], -1
	s_cbranch_vccnz .LBB222_11
; %bb.5:                                ;   in Loop: Header=BB222_4 Depth=1
	s_and_saveexec_b64 s[72:73], s[0:1]
	s_cbranch_execz .LBB222_10
; %bb.6:                                ;   in Loop: Header=BB222_4 Depth=1
	s_lshl_b64 s[44:45], s[26:27], 4
	v_mov_b32_e32 v0, s54
	v_add_co_u32_e32 v6, vcc, s55, v18
	s_add_u32 s48, s52, s44
	v_addc_co_u32_e32 v7, vcc, v19, v0, vcc
	s_addc_u32 s49, s53, s45
	s_mov_b64 s[74:75], 0
	v_mov_b32_e32 v5, s53
	v_mov_b32_e32 v12, v4
	s_branch .LBB222_8
.LBB222_7:                              ;   in Loop: Header=BB222_8 Depth=2
	v_mov_b32_e32 v10, s49
	v_add_co_u32_e32 v8, vcc, s48, v8
	v_addc_co_u32_e32 v9, vcc, v10, v9, vcc
	v_add_u32_e32 v12, s4, v12
	v_cmp_le_i32_e32 vcc, s86, v12
	s_waitcnt vmcnt(0)
	global_store_dwordx4 v[8:9], v[0:3], off offset:-16
	s_or_b64 s[74:75], vcc, s[74:75]
	v_mov_b32_e32 v0, s61
	v_add_co_u32_e32 v6, vcc, s60, v6
	v_addc_co_u32_e32 v7, vcc, v7, v0, vcc
	s_andn2_b64 exec, exec, s[74:75]
	s_cbranch_execz .LBB222_10
.LBB222_8:                              ;   Parent Loop BB222_4 Depth=1
                                        ; =>  This Loop Header: Depth=2
                                        ;       Child Loop BB222_9 Depth 3
	v_mad_i64_i32 v[0:1], s[44:45], v12, s20, 0
	v_lshlrev_b64 v[8:9], 4, v[0:1]
	v_add_co_u32_e32 v0, vcc, s52, v8
	v_addc_co_u32_e32 v1, vcc, v5, v9, vcc
	global_load_dwordx4 v[0:3], v[0:1], off
	s_andn2_b64 vcc, exec, s[30:31]
	v_pk_mov_b32 v[10:11], v[6:7], v[6:7] op_sel:[0,1]
	s_mov_b64 s[76:77], s[68:69]
	s_mov_b64 s[78:79], s[70:71]
	s_mov_b32 s44, s56
	s_cbranch_vccnz .LBB222_7
.LBB222_9:                              ;   Parent Loop BB222_4 Depth=1
                                        ;     Parent Loop BB222_8 Depth=2
                                        ; =>    This Inner Loop Header: Depth=3
	global_load_dwordx2 v[46:47], v40, s[78:79]
	global_load_dwordx4 v[14:17], v[10:11], off offset:-8
	global_load_dwordx2 v[48:49], v40, s[76:77]
	s_add_i32 s44, s44, -1
	s_add_u32 s78, s78, 8
	s_addc_u32 s79, s79, 0
	s_add_u32 s76, s76, 8
	s_addc_u32 s77, s77, 0
	s_cmp_eq_u32 s44, 0
	s_waitcnt vmcnt(2)
	v_mul_f64 v[50:51], v[0:1], v[46:47]
	s_waitcnt vmcnt(1)
	v_mul_f64 v[42:43], v[46:47], v[14:15]
	v_mul_f64 v[44:45], v[46:47], v[16:17]
	s_waitcnt vmcnt(0)
	v_fmac_f64_e32 v[42:43], v[0:1], v[48:49]
	v_fmac_f64_e32 v[44:45], v[2:3], v[48:49]
	v_mul_f64 v[46:47], v[2:3], v[46:47]
	global_store_dwordx4 v[10:11], v[42:45], off offset:-24
	v_add_co_u32_e32 v10, vcc, 16, v10
	v_fma_f64 v[0:1], v[48:49], v[14:15], -v[50:51]
	v_fma_f64 v[2:3], v[48:49], v[16:17], -v[46:47]
	v_addc_co_u32_e32 v11, vcc, 0, v11, vcc
	s_cbranch_scc0 .LBB222_9
	s_branch .LBB222_7
.LBB222_10:                             ;   in Loop: Header=BB222_4 Depth=1
	s_or_b64 exec, exec, s[72:73]
	s_mov_b64 s[72:73], 0
.LBB222_11:                             ;   in Loop: Header=BB222_4 Depth=1
	s_andn2_b64 vcc, exec, s[72:73]
	s_cbranch_vccnz .LBB222_3
; %bb.12:                               ;   in Loop: Header=BB222_4 Depth=1
	s_add_u32 s72, s87, s85
	s_addc_u32 s73, s88, s84
	s_add_u32 s74, s89, s51
	s_addc_u32 s75, s90, s50
	s_andn2_b64 vcc, exec, s[28:29]
	s_mov_b64 s[76:77], -1
	s_cbranch_vccnz .LBB222_19
; %bb.13:                               ;   in Loop: Header=BB222_4 Depth=1
	s_and_saveexec_b64 s[76:77], s[0:1]
	s_cbranch_execz .LBB222_18
; %bb.14:                               ;   in Loop: Header=BB222_4 Depth=1
	s_lshl_b64 s[44:45], s[26:27], 4
	v_mov_b32_e32 v0, s54
	v_add_co_u32_e32 v6, vcc, s55, v20
	s_add_u32 s48, s52, s44
	v_addc_co_u32_e32 v7, vcc, v21, v0, vcc
	s_addc_u32 s49, s53, s45
	s_mov_b64 s[78:79], 0
	v_mov_b32_e32 v5, v4
	s_branch .LBB222_16
.LBB222_15:                             ;   in Loop: Header=BB222_16 Depth=2
	v_mov_b32_e32 v10, s53
	v_add_co_u32_e32 v8, vcc, s52, v8
	v_addc_co_u32_e32 v9, vcc, v10, v9, vcc
	v_add_u32_e32 v5, s4, v5
	v_cmp_le_i32_e32 vcc, s86, v5
	s_waitcnt vmcnt(0)
	global_store_dwordx4 v[8:9], v[0:3], off
	s_or_b64 s[78:79], vcc, s[78:79]
	v_mov_b32_e32 v0, s61
	v_add_co_u32_e32 v6, vcc, s60, v6
	v_addc_co_u32_e32 v7, vcc, v7, v0, vcc
	s_andn2_b64 exec, exec, s[78:79]
	s_cbranch_execz .LBB222_18
.LBB222_16:                             ;   Parent Loop BB222_4 Depth=1
                                        ; =>  This Loop Header: Depth=2
                                        ;       Child Loop BB222_17 Depth 3
	v_mad_i64_i32 v[0:1], s[44:45], v5, s20, 0
	v_lshlrev_b64 v[8:9], 4, v[0:1]
	v_mov_b32_e32 v1, s49
	v_add_co_u32_e32 v0, vcc, s48, v8
	v_addc_co_u32_e32 v1, vcc, v1, v9, vcc
	global_load_dwordx4 v[0:3], v[0:1], off offset:-16
	s_andn2_b64 vcc, exec, s[30:31]
	v_pk_mov_b32 v[10:11], v[6:7], v[6:7] op_sel:[0,1]
	s_mov_b64 s[80:81], s[74:75]
	s_mov_b64 s[82:83], s[72:73]
	s_mov_b32 s44, s56
	s_cbranch_vccnz .LBB222_15
.LBB222_17:                             ;   Parent Loop BB222_4 Depth=1
                                        ;     Parent Loop BB222_16 Depth=2
                                        ; =>    This Inner Loop Header: Depth=3
	global_load_dwordx4 v[12:15], v[10:11], off
	global_load_dwordx2 v[16:17], v40, s[80:81]
	global_load_dwordx2 v[42:43], v40, s[82:83]
	s_add_i32 s44, s44, -1
	s_add_u32 s82, s82, -8
	s_waitcnt vmcnt(3)
	v_pk_mov_b32 v[44:45], v[2:3], v[2:3] op_sel:[0,1]
	v_pk_mov_b32 v[46:47], v[0:1], v[0:1] op_sel:[0,1]
	s_addc_u32 s83, s83, -1
	s_add_u32 s80, s80, -8
	s_addc_u32 s81, s81, -1
	s_cmp_eq_u32 s44, 0
	s_waitcnt vmcnt(1)
	v_mul_f64 v[48:49], v[16:17], v[12:13]
	v_mul_f64 v[50:51], v[16:17], v[14:15]
	s_waitcnt vmcnt(0)
	v_mul_f64 v[0:1], v[42:43], v[12:13]
	v_mul_f64 v[2:3], v[42:43], v[14:15]
	v_fma_f64 v[12:13], v[46:47], v[42:43], -v[48:49]
	v_fma_f64 v[14:15], v[44:45], v[42:43], -v[50:51]
	global_store_dwordx4 v[10:11], v[12:15], off offset:16
	v_add_co_u32_e32 v10, vcc, -16, v10
	v_fmac_f64_e32 v[0:1], v[46:47], v[16:17]
	v_fmac_f64_e32 v[2:3], v[44:45], v[16:17]
	v_addc_co_u32_e32 v11, vcc, -1, v11, vcc
	s_cbranch_scc0 .LBB222_17
	s_branch .LBB222_15
.LBB222_18:                             ;   in Loop: Header=BB222_4 Depth=1
	s_or_b64 exec, exec, s[76:77]
	s_mov_b64 s[76:77], 0
.LBB222_19:                             ;   in Loop: Header=BB222_4 Depth=1
	s_andn2_b64 vcc, exec, s[76:77]
	s_cbranch_vccnz .LBB222_3
; %bb.20:                               ;   in Loop: Header=BB222_4 Depth=1
	s_andn2_b64 vcc, exec, s[34:35]
	s_mov_b64 s[76:77], -1
	s_cbranch_vccnz .LBB222_27
; %bb.21:                               ;   in Loop: Header=BB222_4 Depth=1
	s_and_saveexec_b64 s[76:77], s[0:1]
	s_cbranch_execz .LBB222_26
; %bb.22:                               ;   in Loop: Header=BB222_4 Depth=1
	v_mov_b32_e32 v0, s54
	v_add_co_u32_e32 v6, vcc, s55, v22
	v_addc_co_u32_e32 v7, vcc, v23, v0, vcc
	s_mov_b64 s[78:79], 0
	v_mov_b32_e32 v5, v4
	s_branch .LBB222_24
.LBB222_23:                             ;   in Loop: Header=BB222_24 Depth=2
	v_add_u32_e32 v5, s4, v5
	v_cmp_le_i32_e32 vcc, s86, v5
	s_waitcnt vmcnt(0)
	global_store_dwordx4 v[8:9], v[0:3], off
	s_or_b64 s[78:79], vcc, s[78:79]
	v_mov_b32_e32 v0, s61
	v_add_co_u32_e32 v6, vcc, s60, v6
	v_addc_co_u32_e32 v7, vcc, v7, v0, vcc
	s_andn2_b64 exec, exec, s[78:79]
	s_cbranch_execz .LBB222_26
.LBB222_24:                             ;   Parent Loop BB222_4 Depth=1
                                        ; =>  This Loop Header: Depth=2
                                        ;       Child Loop BB222_25 Depth 3
	v_mad_i64_i32 v[0:1], s[44:45], v5, s20, 0
	v_lshlrev_b64 v[0:1], 4, v[0:1]
	v_mov_b32_e32 v2, s53
	v_add_co_u32_e32 v8, vcc, s52, v0
	v_addc_co_u32_e32 v9, vcc, v2, v1, vcc
	global_load_dwordx4 v[0:3], v[8:9], off
	s_andn2_b64 vcc, exec, s[30:31]
	v_pk_mov_b32 v[10:11], v[6:7], v[6:7] op_sel:[0,1]
	s_mov_b32 s48, s56
	s_mov_b64 s[80:81], s[68:69]
	s_mov_b64 s[82:83], s[70:71]
	s_cbranch_vccnz .LBB222_23
.LBB222_25:                             ;   Parent Loop BB222_4 Depth=1
                                        ;     Parent Loop BB222_24 Depth=2
                                        ; =>    This Inner Loop Header: Depth=3
	global_load_dwordx2 v[16:17], v40, s[82:83]
	global_load_dwordx4 v[12:15], v[10:11], off
	global_load_dwordx2 v[42:43], v40, s[80:81]
	s_waitcnt vmcnt(3)
	v_pk_mov_b32 v[44:45], v[2:3], v[2:3] op_sel:[0,1]
	v_pk_mov_b32 v[46:47], v[0:1], v[0:1] op_sel:[0,1]
	s_add_u32 s82, s82, 8
	s_addc_u32 s83, s83, 0
	s_add_u32 s80, s80, 8
	s_addc_u32 s81, s81, 0
	s_add_i32 s48, s48, -1
	s_cmp_eq_u32 s48, 0
	s_waitcnt vmcnt(2)
	v_mul_f64 v[48:49], v[46:47], v[16:17]
	v_mul_f64 v[50:51], v[44:45], v[16:17]
	s_waitcnt vmcnt(1)
	v_mul_f64 v[0:1], v[16:17], v[12:13]
	v_mul_f64 v[2:3], v[16:17], v[14:15]
	s_waitcnt vmcnt(0)
	v_fma_f64 v[12:13], v[42:43], v[12:13], -v[48:49]
	v_fma_f64 v[14:15], v[42:43], v[14:15], -v[50:51]
	global_store_dwordx4 v[10:11], v[12:15], off
	v_add_co_u32_e32 v10, vcc, 16, v10
	v_fmac_f64_e32 v[0:1], v[46:47], v[42:43]
	v_fmac_f64_e32 v[2:3], v[44:45], v[42:43]
	v_addc_co_u32_e32 v11, vcc, 0, v11, vcc
	s_cbranch_scc0 .LBB222_25
	s_branch .LBB222_23
.LBB222_26:                             ;   in Loop: Header=BB222_4 Depth=1
	s_or_b64 exec, exec, s[76:77]
	s_mov_b64 s[76:77], 0
.LBB222_27:                             ;   in Loop: Header=BB222_4 Depth=1
	s_andn2_b64 vcc, exec, s[76:77]
	s_cbranch_vccnz .LBB222_3
; %bb.28:                               ;   in Loop: Header=BB222_4 Depth=1
	s_andn2_b64 vcc, exec, s[36:37]
	s_mov_b64 s[76:77], -1
	s_cbranch_vccnz .LBB222_35
; %bb.29:                               ;   in Loop: Header=BB222_4 Depth=1
	s_and_saveexec_b64 s[76:77], s[0:1]
	s_cbranch_execz .LBB222_34
; %bb.30:                               ;   in Loop: Header=BB222_4 Depth=1
	v_mov_b32_e32 v0, s54
	v_add_co_u32_e32 v6, vcc, s55, v26
	v_addc_co_u32_e32 v7, vcc, v27, v0, vcc
	s_mov_b64 s[78:79], 0
	v_mov_b32_e32 v5, v4
	s_branch .LBB222_32
.LBB222_31:                             ;   in Loop: Header=BB222_32 Depth=2
	v_add_u32_e32 v5, s4, v5
	v_cmp_le_i32_e32 vcc, s86, v5
	s_waitcnt vmcnt(0)
	global_store_dwordx4 v[8:9], v[0:3], off
	s_or_b64 s[78:79], vcc, s[78:79]
	v_mov_b32_e32 v0, s61
	v_add_co_u32_e32 v6, vcc, s60, v6
	v_addc_co_u32_e32 v7, vcc, v7, v0, vcc
	s_andn2_b64 exec, exec, s[78:79]
	s_cbranch_execz .LBB222_34
.LBB222_32:                             ;   Parent Loop BB222_4 Depth=1
                                        ; =>  This Loop Header: Depth=2
                                        ;       Child Loop BB222_33 Depth 3
	v_mad_i64_i32 v[0:1], s[44:45], v5, s20, 0
	v_lshlrev_b64 v[0:1], 4, v[0:1]
	v_mov_b32_e32 v2, s53
	v_add_co_u32_e32 v8, vcc, s52, v0
	v_addc_co_u32_e32 v9, vcc, v2, v1, vcc
	global_load_dwordx4 v[0:3], v[8:9], off
	s_andn2_b64 vcc, exec, s[30:31]
	v_pk_mov_b32 v[10:11], v[6:7], v[6:7] op_sel:[0,1]
	s_mov_b64 s[80:81], s[74:75]
	s_mov_b64 s[82:83], s[72:73]
	s_mov_b32 s44, s91
	s_cbranch_vccnz .LBB222_31
.LBB222_33:                             ;   Parent Loop BB222_4 Depth=1
                                        ;     Parent Loop BB222_32 Depth=2
                                        ; =>    This Inner Loop Header: Depth=3
	global_load_dwordx2 v[16:17], v40, s[80:81]
	global_load_dwordx4 v[12:15], v[10:11], off offset:-8
	global_load_dwordx2 v[42:43], v40, s[82:83]
	s_add_i32 s44, s44, -1
	s_waitcnt vmcnt(3)
	v_pk_mov_b32 v[44:45], v[2:3], v[2:3] op_sel:[0,1]
	v_pk_mov_b32 v[46:47], v[0:1], v[0:1] op_sel:[0,1]
	s_add_u32 s82, s82, -8
	s_addc_u32 s83, s83, -1
	s_add_u32 s80, s80, -8
	s_addc_u32 s81, s81, -1
	s_cmp_lt_u32 s44, 3
	s_waitcnt vmcnt(2)
	v_mul_f64 v[48:49], v[46:47], v[16:17]
	v_mul_f64 v[50:51], v[44:45], v[16:17]
	s_waitcnt vmcnt(1)
	v_mul_f64 v[0:1], v[16:17], v[12:13]
	v_mul_f64 v[2:3], v[16:17], v[14:15]
	s_waitcnt vmcnt(0)
	v_fma_f64 v[12:13], v[42:43], v[12:13], -v[48:49]
	v_fma_f64 v[14:15], v[42:43], v[14:15], -v[50:51]
	global_store_dwordx4 v[10:11], v[12:15], off offset:-8
	v_add_co_u32_e32 v10, vcc, -16, v10
	v_fmac_f64_e32 v[0:1], v[46:47], v[42:43]
	v_fmac_f64_e32 v[2:3], v[44:45], v[42:43]
	v_addc_co_u32_e32 v11, vcc, -1, v11, vcc
	s_cbranch_scc0 .LBB222_33
	s_branch .LBB222_31
.LBB222_34:                             ;   in Loop: Header=BB222_4 Depth=1
	s_or_b64 exec, exec, s[76:77]
	s_mov_b64 s[76:77], 0
.LBB222_35:                             ;   in Loop: Header=BB222_4 Depth=1
	s_andn2_b64 vcc, exec, s[76:77]
	s_cbranch_vccnz .LBB222_3
; %bb.36:                               ;   in Loop: Header=BB222_4 Depth=1
	s_andn2_b64 vcc, exec, s[38:39]
	s_mov_b64 s[76:77], -1
	s_cbranch_vccnz .LBB222_43
; %bb.37:                               ;   in Loop: Header=BB222_4 Depth=1
	s_and_saveexec_b64 s[76:77], s[0:1]
	s_cbranch_execz .LBB222_42
; %bb.38:                               ;   in Loop: Header=BB222_4 Depth=1
	s_lshl_b64 s[44:45], s[26:27], 4
	v_mov_b32_e32 v0, s54
	v_add_co_u32_e32 v6, vcc, s55, v24
	s_add_u32 s48, s52, s44
	v_addc_co_u32_e32 v7, vcc, v25, v0, vcc
	s_addc_u32 s49, s53, s45
	s_mov_b64 s[78:79], 0
	v_mov_b32_e32 v5, v4
	s_branch .LBB222_40
.LBB222_39:                             ;   in Loop: Header=BB222_40 Depth=2
	v_add_u32_e32 v5, s4, v5
	v_cmp_le_i32_e32 vcc, s86, v5
	s_waitcnt vmcnt(0)
	global_store_dwordx4 v[8:9], v[0:3], off offset:-16
	s_or_b64 s[78:79], vcc, s[78:79]
	v_mov_b32_e32 v0, s61
	v_add_co_u32_e32 v6, vcc, s60, v6
	v_addc_co_u32_e32 v7, vcc, v7, v0, vcc
	s_andn2_b64 exec, exec, s[78:79]
	s_cbranch_execz .LBB222_42
.LBB222_40:                             ;   Parent Loop BB222_4 Depth=1
                                        ; =>  This Loop Header: Depth=2
                                        ;       Child Loop BB222_41 Depth 3
	v_mad_i64_i32 v[0:1], s[44:45], v5, s20, 0
	v_lshlrev_b64 v[0:1], 4, v[0:1]
	v_mov_b32_e32 v2, s49
	v_add_co_u32_e32 v8, vcc, s48, v0
	v_addc_co_u32_e32 v9, vcc, v2, v1, vcc
	global_load_dwordx4 v[0:3], v[8:9], off offset:-16
	s_andn2_b64 vcc, exec, s[30:31]
	v_pk_mov_b32 v[10:11], v[6:7], v[6:7] op_sel:[0,1]
	s_mov_b64 s[80:81], s[70:71]
	s_mov_b64 s[82:83], s[68:69]
	s_mov_b32 s44, s56
	s_cbranch_vccnz .LBB222_39
.LBB222_41:                             ;   Parent Loop BB222_4 Depth=1
                                        ;     Parent Loop BB222_40 Depth=2
                                        ; =>    This Inner Loop Header: Depth=3
	global_load_dwordx4 v[12:15], v[10:11], off offset:-8
	global_load_dwordx2 v[16:17], v40, s[82:83]
	global_load_dwordx2 v[46:47], v40, s[80:81]
	s_add_i32 s44, s44, -1
	s_add_u32 s82, s82, 8
	s_addc_u32 s83, s83, 0
	s_add_u32 s80, s80, 8
	s_addc_u32 s81, s81, 0
	s_cmp_eq_u32 s44, 0
	s_waitcnt vmcnt(1)
	v_mul_f64 v[42:43], v[16:17], v[12:13]
	v_mul_f64 v[44:45], v[16:17], v[14:15]
	s_waitcnt vmcnt(0)
	v_fmac_f64_e32 v[42:43], v[0:1], v[46:47]
	v_fmac_f64_e32 v[44:45], v[2:3], v[46:47]
	v_mul_f64 v[12:13], v[46:47], v[12:13]
	v_mul_f64 v[14:15], v[46:47], v[14:15]
	global_store_dwordx4 v[10:11], v[42:45], off offset:-8
	v_add_co_u32_e32 v10, vcc, 16, v10
	v_fma_f64 v[0:1], v[0:1], v[16:17], -v[12:13]
	v_fma_f64 v[2:3], v[2:3], v[16:17], -v[14:15]
	v_addc_co_u32_e32 v11, vcc, 0, v11, vcc
	s_cbranch_scc0 .LBB222_41
	s_branch .LBB222_39
.LBB222_42:                             ;   in Loop: Header=BB222_4 Depth=1
	s_or_b64 exec, exec, s[76:77]
	s_mov_b64 s[76:77], 0
.LBB222_43:                             ;   in Loop: Header=BB222_4 Depth=1
	s_andn2_b64 vcc, exec, s[76:77]
	s_cbranch_vccnz .LBB222_3
; %bb.44:                               ;   in Loop: Header=BB222_4 Depth=1
	s_andn2_b64 vcc, exec, s[40:41]
	s_mov_b64 s[76:77], -1
	s_cbranch_vccnz .LBB222_51
; %bb.45:                               ;   in Loop: Header=BB222_4 Depth=1
	s_and_saveexec_b64 s[76:77], s[0:1]
	s_cbranch_execz .LBB222_50
; %bb.46:                               ;   in Loop: Header=BB222_4 Depth=1
	s_lshl_b64 s[44:45], s[26:27], 4
	v_mov_b32_e32 v0, s54
	v_add_co_u32_e32 v6, vcc, s55, v28
	s_add_u32 s48, s52, s44
	v_addc_co_u32_e32 v7, vcc, v29, v0, vcc
	s_addc_u32 s49, s53, s45
	s_mov_b64 s[78:79], 0
	v_mov_b32_e32 v5, v4
	s_branch .LBB222_48
.LBB222_47:                             ;   in Loop: Header=BB222_48 Depth=2
	v_add_u32_e32 v5, s4, v5
	v_cmp_le_i32_e32 vcc, s86, v5
	s_waitcnt vmcnt(0)
	global_store_dwordx4 v[8:9], v[0:3], off offset:-16
	s_or_b64 s[78:79], vcc, s[78:79]
	v_mov_b32_e32 v0, s61
	v_add_co_u32_e32 v6, vcc, s60, v6
	v_addc_co_u32_e32 v7, vcc, v7, v0, vcc
	s_andn2_b64 exec, exec, s[78:79]
	s_cbranch_execz .LBB222_50
.LBB222_48:                             ;   Parent Loop BB222_4 Depth=1
                                        ; =>  This Loop Header: Depth=2
                                        ;       Child Loop BB222_49 Depth 3
	v_mad_i64_i32 v[0:1], s[44:45], v5, s20, 0
	v_lshlrev_b64 v[0:1], 4, v[0:1]
	v_mov_b32_e32 v2, s49
	v_add_co_u32_e32 v8, vcc, s48, v0
	v_addc_co_u32_e32 v9, vcc, v2, v1, vcc
	global_load_dwordx4 v[0:3], v[8:9], off offset:-16
	s_andn2_b64 vcc, exec, s[30:31]
	v_pk_mov_b32 v[10:11], v[6:7], v[6:7] op_sel:[0,1]
	s_mov_b64 s[80:81], s[74:75]
	s_mov_b64 s[82:83], s[72:73]
	s_mov_b32 s44, s56
	s_cbranch_vccnz .LBB222_47
.LBB222_49:                             ;   Parent Loop BB222_4 Depth=1
                                        ;     Parent Loop BB222_48 Depth=2
                                        ; =>    This Inner Loop Header: Depth=3
	global_load_dwordx4 v[12:15], v[10:11], off offset:-8
	global_load_dwordx2 v[16:17], v40, s[82:83]
	global_load_dwordx2 v[46:47], v40, s[80:81]
	s_add_i32 s44, s44, -1
	s_add_u32 s82, s82, -8
	s_addc_u32 s83, s83, -1
	s_add_u32 s80, s80, -8
	s_addc_u32 s81, s81, -1
	s_cmp_eq_u32 s44, 0
	s_waitcnt vmcnt(1)
	v_mul_f64 v[42:43], v[16:17], v[12:13]
	v_mul_f64 v[44:45], v[16:17], v[14:15]
	s_waitcnt vmcnt(0)
	v_fmac_f64_e32 v[42:43], v[0:1], v[46:47]
	v_fmac_f64_e32 v[44:45], v[2:3], v[46:47]
	v_mul_f64 v[12:13], v[46:47], v[12:13]
	v_mul_f64 v[14:15], v[46:47], v[14:15]
	global_store_dwordx4 v[10:11], v[42:45], off offset:-8
	v_add_co_u32_e32 v10, vcc, -16, v10
	v_fma_f64 v[0:1], v[0:1], v[16:17], -v[12:13]
	v_fma_f64 v[2:3], v[2:3], v[16:17], -v[14:15]
	v_addc_co_u32_e32 v11, vcc, -1, v11, vcc
	s_cbranch_scc0 .LBB222_49
	s_branch .LBB222_47
.LBB222_50:                             ;   in Loop: Header=BB222_4 Depth=1
	s_or_b64 exec, exec, s[76:77]
	s_mov_b64 s[76:77], 0
.LBB222_51:                             ;   in Loop: Header=BB222_4 Depth=1
	s_andn2_b64 vcc, exec, s[76:77]
	s_cbranch_vccnz .LBB222_3
; %bb.52:                               ;   in Loop: Header=BB222_4 Depth=1
	v_mov_b32_e32 v0, s54
	v_add_co_u32_e32 v6, vcc, s55, v30
	v_addc_co_u32_e32 v7, vcc, v31, v0, vcc
	s_andn2_b64 vcc, exec, s[42:43]
	s_mov_b64 s[72:73], -1
	s_cbranch_vccnz .LBB222_59
; %bb.53:                               ;   in Loop: Header=BB222_4 Depth=1
	s_and_saveexec_b64 s[72:73], s[2:3]
	s_cbranch_execz .LBB222_58
; %bb.54:                               ;   in Loop: Header=BB222_4 Depth=1
	s_lshl_b64 s[44:45], s[66:67], 4
	s_add_u32 s48, s52, s44
	s_addc_u32 s49, s53, s45
	s_mov_b64 s[74:75], 0
	v_pk_mov_b32 v[8:9], v[6:7], v[6:7] op_sel:[0,1]
	v_mov_b32_e32 v10, v4
	s_branch .LBB222_56
.LBB222_55:                             ;   in Loop: Header=BB222_56 Depth=2
	v_mov_b32_e32 v5, s49
	v_add_co_u32_e32 v12, vcc, s48, v12
	v_addc_co_u32_e32 v13, vcc, v5, v13, vcc
	v_add_u32_e32 v10, s4, v10
	v_cmp_le_i32_e32 vcc, s19, v10
	s_waitcnt vmcnt(0)
	global_store_dwordx4 v[12:13], v[0:3], off
	s_or_b64 s[74:75], vcc, s[74:75]
	v_mov_b32_e32 v0, s63
	v_add_co_u32_e32 v8, vcc, s62, v8
	v_addc_co_u32_e32 v9, vcc, v9, v0, vcc
	s_andn2_b64 exec, exec, s[74:75]
	s_cbranch_execz .LBB222_58
.LBB222_56:                             ;   Parent Loop BB222_4 Depth=1
                                        ; =>  This Loop Header: Depth=2
                                        ;       Child Loop BB222_57 Depth 3
	v_ashrrev_i32_e32 v11, 31, v10
	v_lshlrev_b64 v[12:13], 4, v[10:11]
	v_mov_b32_e32 v1, s53
	v_add_co_u32_e32 v0, vcc, s52, v12
	v_addc_co_u32_e32 v1, vcc, v1, v13, vcc
	global_load_dwordx4 v[0:3], v[0:1], off
	s_andn2_b64 vcc, exec, s[46:47]
	s_mov_b64 s[76:77], s[70:71]
	s_mov_b64 s[78:79], s[68:69]
	v_pk_mov_b32 v[14:15], v[8:9], v[8:9] op_sel:[0,1]
	s_mov_b32 s44, s18
	s_cbranch_vccnz .LBB222_55
.LBB222_57:                             ;   Parent Loop BB222_4 Depth=1
                                        ;     Parent Loop BB222_56 Depth=2
                                        ; =>    This Inner Loop Header: Depth=3
	v_mov_b32_e32 v5, s65
	v_add_co_u32_e32 v50, vcc, s64, v14
	global_load_dwordx2 v[16:17], v40, s[76:77]
	v_addc_co_u32_e32 v51, vcc, v15, v5, vcc
	global_load_dwordx4 v[42:45], v[50:51], off offset:-8
	global_load_dwordx2 v[52:53], v40, s[78:79]
	s_add_i32 s44, s44, -1
	s_add_u32 s78, s78, 8
	s_addc_u32 s79, s79, 0
	s_add_u32 s76, s76, 8
	s_addc_u32 s77, s77, 0
	s_cmp_eq_u32 s44, 0
	s_waitcnt vmcnt(2)
	v_mul_f64 v[54:55], v[0:1], v[16:17]
	v_mul_f64 v[56:57], v[2:3], v[16:17]
	s_waitcnt vmcnt(1)
	v_mul_f64 v[46:47], v[16:17], v[42:43]
	v_mul_f64 v[48:49], v[16:17], v[44:45]
	s_waitcnt vmcnt(0)
	v_fmac_f64_e32 v[46:47], v[0:1], v[52:53]
	v_fmac_f64_e32 v[48:49], v[2:3], v[52:53]
	v_fma_f64 v[0:1], v[52:53], v[42:43], -v[54:55]
	v_fma_f64 v[2:3], v[52:53], v[44:45], -v[56:57]
	global_store_dwordx4 v[14:15], v[46:49], off offset:-8
	v_pk_mov_b32 v[14:15], v[50:51], v[50:51] op_sel:[0,1]
	s_cbranch_scc0 .LBB222_57
	s_branch .LBB222_55
.LBB222_58:                             ;   in Loop: Header=BB222_4 Depth=1
	s_or_b64 exec, exec, s[72:73]
	s_mov_b64 s[72:73], 0
.LBB222_59:                             ;   in Loop: Header=BB222_4 Depth=1
	s_andn2_b64 vcc, exec, s[72:73]
	s_cbranch_vccnz .LBB222_3
; %bb.60:                               ;   in Loop: Header=BB222_4 Depth=1
	s_add_u32 s72, s5, s85
	s_addc_u32 s73, s21, s84
	v_mov_b32_e32 v0, s54
	v_add_co_u32_e32 v8, vcc, s55, v34
	v_readlane_b32 s44, v41, 0
	s_add_u32 s74, s57, s51
	v_addc_co_u32_e32 v9, vcc, v35, v0, vcc
	v_readlane_b32 s45, v41, 1
	s_addc_u32 s75, s92, s50
	s_andn2_b64 vcc, exec, s[44:45]
	s_mov_b64 s[76:77], -1
	s_cbranch_vccnz .LBB222_68
; %bb.61:                               ;   in Loop: Header=BB222_4 Depth=1
	s_and_saveexec_b64 s[76:77], s[2:3]
	s_cbranch_execz .LBB222_67
; %bb.62:                               ;   in Loop: Header=BB222_4 Depth=1
	s_lshl_b64 s[44:45], s[66:67], 4
	v_mov_b32_e32 v0, s54
	v_add_co_u32_e32 v10, vcc, s55, v32
	s_add_u32 s50, s52, s44
	v_addc_co_u32_e32 v5, vcc, v33, v0, vcc
	s_addc_u32 s51, s53, s45
	s_mov_b64 s[78:79], 0
	v_pk_mov_b32 v[12:13], v[8:9], v[8:9] op_sel:[0,1]
	v_mov_b32_e32 v14, v4
	s_branch .LBB222_64
.LBB222_63:                             ;   in Loop: Header=BB222_64 Depth=2
	v_mov_b32_e32 v11, s53
	v_add_co_u32_e32 v16, vcc, s52, v16
	v_addc_co_u32_e32 v17, vcc, v11, v17, vcc
	s_waitcnt vmcnt(0)
	global_store_dwordx4 v[16:17], v[0:3], off
	v_add_co_u32_e32 v10, vcc, s62, v10
	v_mov_b32_e32 v0, s63
	v_add_u32_e32 v14, s4, v14
	v_addc_co_u32_e32 v5, vcc, v5, v0, vcc
	v_cmp_le_i32_e32 vcc, s19, v14
	s_or_b64 s[78:79], vcc, s[78:79]
	v_add_co_u32_e32 v12, vcc, s62, v12
	v_addc_co_u32_e32 v13, vcc, v13, v0, vcc
	s_andn2_b64 exec, exec, s[78:79]
	s_cbranch_execz .LBB222_67
.LBB222_64:                             ;   Parent Loop BB222_4 Depth=1
                                        ; =>  This Loop Header: Depth=2
                                        ;       Child Loop BB222_66 Depth 3
	v_ashrrev_i32_e32 v15, 31, v14
	v_lshlrev_b64 v[16:17], 4, v[14:15]
	v_mov_b32_e32 v1, s51
	v_add_co_u32_e32 v0, vcc, s50, v16
	v_addc_co_u32_e32 v1, vcc, v1, v17, vcc
	global_load_dwordx4 v[0:3], v[0:1], off
	s_andn2_b64 vcc, exec, s[46:47]
	s_cbranch_vccnz .LBB222_63
; %bb.65:                               ;   in Loop: Header=BB222_64 Depth=2
	s_mov_b64 s[80:81], 0
	s_mov_b64 s[82:83], s[74:75]
	;; [unrolled: 1-line block ×3, first 2 shown]
	s_mov_b32 s48, s18
.LBB222_66:                             ;   Parent Loop BB222_4 Depth=1
                                        ;     Parent Loop BB222_64 Depth=2
                                        ; =>    This Inner Loop Header: Depth=3
	v_mov_b32_e32 v11, s81
	v_add_co_u32_e32 v42, vcc, s80, v10
	v_addc_co_u32_e32 v43, vcc, v5, v11, vcc
	global_load_dwordx2 v[46:47], v40, s[84:85]
	global_load_dwordx2 v[48:49], v40, s[82:83]
	s_add_i32 s48, s48, -1
	global_load_dwordx4 v[42:45], v[42:43], off
	v_add_co_u32_e32 v54, vcc, s80, v12
	s_sub_u32 s80, s80, s64
	s_subb_u32 s81, s81, s65
	s_add_u32 s84, s84, -8
	s_addc_u32 s85, s85, -1
	s_add_u32 s82, s82, -8
	s_waitcnt vmcnt(3)
	v_pk_mov_b32 v[50:51], v[2:3], v[2:3] op_sel:[0,1]
	v_pk_mov_b32 v[52:53], v[0:1], v[0:1] op_sel:[0,1]
	s_addc_u32 s83, s83, -1
	v_addc_co_u32_e32 v55, vcc, v13, v11, vcc
	s_cmp_eq_u32 s48, 0
	s_waitcnt vmcnt(0)
	v_mul_f64 v[56:57], v[48:49], v[42:43]
	v_mul_f64 v[58:59], v[48:49], v[44:45]
	;; [unrolled: 1-line block ×4, first 2 shown]
	v_fma_f64 v[42:43], v[52:53], v[46:47], -v[56:57]
	v_fma_f64 v[44:45], v[50:51], v[46:47], -v[58:59]
	v_fmac_f64_e32 v[0:1], v[52:53], v[48:49]
	v_fmac_f64_e32 v[2:3], v[50:51], v[48:49]
	global_store_dwordx4 v[54:55], v[42:45], off offset:-8
	s_cbranch_scc0 .LBB222_66
	s_branch .LBB222_63
.LBB222_67:                             ;   in Loop: Header=BB222_4 Depth=1
	s_or_b64 exec, exec, s[76:77]
	s_mov_b64 s[76:77], 0
.LBB222_68:                             ;   in Loop: Header=BB222_4 Depth=1
	s_andn2_b64 vcc, exec, s[76:77]
	s_cbranch_vccnz .LBB222_3
; %bb.69:                               ;   in Loop: Header=BB222_4 Depth=1
	v_readlane_b32 s44, v41, 2
	v_readlane_b32 s45, v41, 3
	s_andn2_b64 vcc, exec, s[44:45]
	s_mov_b64 s[76:77], -1
	s_cbranch_vccnz .LBB222_76
; %bb.70:                               ;   in Loop: Header=BB222_4 Depth=1
	s_and_saveexec_b64 s[76:77], s[2:3]
	s_cbranch_execz .LBB222_75
; %bb.71:                               ;   in Loop: Header=BB222_4 Depth=1
	v_mov_b32_e32 v0, s54
	v_add_co_u32_e32 v10, vcc, s55, v36
	v_addc_co_u32_e32 v11, vcc, v37, v0, vcc
	s_mov_b64 s[78:79], 0
	v_mov_b32_e32 v12, v4
	s_branch .LBB222_73
.LBB222_72:                             ;   in Loop: Header=BB222_73 Depth=2
	v_add_u32_e32 v12, s4, v12
	v_cmp_le_i32_e32 vcc, s19, v12
	s_waitcnt vmcnt(0)
	global_store_dwordx4 v[14:15], v[0:3], off
	s_or_b64 s[78:79], vcc, s[78:79]
	v_mov_b32_e32 v0, s63
	v_add_co_u32_e32 v10, vcc, s62, v10
	v_addc_co_u32_e32 v11, vcc, v11, v0, vcc
	s_andn2_b64 exec, exec, s[78:79]
	s_cbranch_execz .LBB222_75
.LBB222_73:                             ;   Parent Loop BB222_4 Depth=1
                                        ; =>  This Loop Header: Depth=2
                                        ;       Child Loop BB222_74 Depth 3
	v_ashrrev_i32_e32 v13, 31, v12
	v_lshlrev_b64 v[0:1], 4, v[12:13]
	v_mov_b32_e32 v2, s53
	v_add_co_u32_e32 v14, vcc, s52, v0
	v_addc_co_u32_e32 v15, vcc, v2, v1, vcc
	global_load_dwordx4 v[0:3], v[14:15], off
	s_andn2_b64 vcc, exec, s[46:47]
	v_pk_mov_b32 v[16:17], v[10:11], v[10:11] op_sel:[0,1]
	s_mov_b32 s48, s18
	s_mov_b64 s[80:81], s[68:69]
	s_mov_b64 s[82:83], s[70:71]
	s_cbranch_vccnz .LBB222_72
.LBB222_74:                             ;   Parent Loop BB222_4 Depth=1
                                        ;     Parent Loop BB222_73 Depth=2
                                        ; =>    This Inner Loop Header: Depth=3
	global_load_dwordx2 v[46:47], v40, s[82:83]
	global_load_dwordx4 v[42:45], v[16:17], off offset:-8
	global_load_dwordx2 v[48:49], v40, s[80:81]
	s_waitcnt vmcnt(3)
	v_pk_mov_b32 v[50:51], v[2:3], v[2:3] op_sel:[0,1]
	v_pk_mov_b32 v[52:53], v[0:1], v[0:1] op_sel:[0,1]
	s_add_u32 s82, s82, 8
	s_addc_u32 s83, s83, 0
	s_add_u32 s80, s80, 8
	v_mov_b32_e32 v5, s65
	s_addc_u32 s81, s81, 0
	s_add_i32 s48, s48, -1
	s_cmp_eq_u32 s48, 0
	s_waitcnt vmcnt(2)
	v_mul_f64 v[54:55], v[52:53], v[46:47]
	v_mul_f64 v[56:57], v[50:51], v[46:47]
	s_waitcnt vmcnt(1)
	v_mul_f64 v[0:1], v[46:47], v[42:43]
	v_mul_f64 v[2:3], v[46:47], v[44:45]
	s_waitcnt vmcnt(0)
	v_fma_f64 v[42:43], v[48:49], v[42:43], -v[54:55]
	v_fma_f64 v[44:45], v[48:49], v[44:45], -v[56:57]
	global_store_dwordx4 v[16:17], v[42:45], off offset:-8
	v_add_co_u32_e32 v16, vcc, s64, v16
	v_fmac_f64_e32 v[0:1], v[52:53], v[48:49]
	v_fmac_f64_e32 v[2:3], v[50:51], v[48:49]
	v_addc_co_u32_e32 v17, vcc, v17, v5, vcc
	s_cbranch_scc0 .LBB222_74
	s_branch .LBB222_72
.LBB222_75:                             ;   in Loop: Header=BB222_4 Depth=1
	s_or_b64 exec, exec, s[76:77]
	s_mov_b64 s[76:77], 0
.LBB222_76:                             ;   in Loop: Header=BB222_4 Depth=1
	s_andn2_b64 vcc, exec, s[76:77]
	s_cbranch_vccnz .LBB222_3
; %bb.77:                               ;   in Loop: Header=BB222_4 Depth=1
	v_readlane_b32 s44, v41, 4
	v_readlane_b32 s45, v41, 5
	s_andn2_b64 vcc, exec, s[44:45]
	s_mov_b64 s[76:77], -1
	s_cbranch_vccnz .LBB222_84
; %bb.78:                               ;   in Loop: Header=BB222_4 Depth=1
	s_and_saveexec_b64 s[76:77], s[2:3]
	s_cbranch_execz .LBB222_83
; %bb.79:                               ;   in Loop: Header=BB222_4 Depth=1
	s_mov_b64 s[78:79], 0
	v_mov_b32_e32 v10, v4
	s_branch .LBB222_81
.LBB222_80:                             ;   in Loop: Header=BB222_81 Depth=2
	v_add_u32_e32 v10, s4, v10
	v_cmp_le_i32_e32 vcc, s19, v10
	s_waitcnt vmcnt(0)
	global_store_dwordx4 v[12:13], v[0:3], off
	s_or_b64 s[78:79], vcc, s[78:79]
	v_mov_b32_e32 v0, s63
	v_add_co_u32_e32 v8, vcc, s62, v8
	v_addc_co_u32_e32 v9, vcc, v9, v0, vcc
	s_andn2_b64 exec, exec, s[78:79]
	s_cbranch_execz .LBB222_83
.LBB222_81:                             ;   Parent Loop BB222_4 Depth=1
                                        ; =>  This Loop Header: Depth=2
                                        ;       Child Loop BB222_82 Depth 3
	v_ashrrev_i32_e32 v11, 31, v10
	v_lshlrev_b64 v[0:1], 4, v[10:11]
	v_mov_b32_e32 v2, s53
	v_add_co_u32_e32 v12, vcc, s52, v0
	v_addc_co_u32_e32 v13, vcc, v2, v1, vcc
	global_load_dwordx4 v[0:3], v[12:13], off
	s_andn2_b64 vcc, exec, s[46:47]
	v_pk_mov_b32 v[14:15], v[8:9], v[8:9] op_sel:[0,1]
	s_mov_b64 s[80:81], s[74:75]
	s_mov_b64 s[82:83], s[72:73]
	s_mov_b32 s48, s93
	s_cbranch_vccnz .LBB222_80
.LBB222_82:                             ;   Parent Loop BB222_4 Depth=1
                                        ;     Parent Loop BB222_81 Depth=2
                                        ; =>    This Inner Loop Header: Depth=3
	global_load_dwordx2 v[16:17], v40, s[80:81]
	global_load_dwordx4 v[42:45], v[14:15], off offset:-8
	global_load_dwordx2 v[46:47], v40, s[82:83]
	s_add_i32 s48, s48, -1
	s_waitcnt vmcnt(3)
	v_pk_mov_b32 v[48:49], v[2:3], v[2:3] op_sel:[0,1]
	v_pk_mov_b32 v[50:51], v[0:1], v[0:1] op_sel:[0,1]
	s_add_u32 s82, s82, -8
	s_addc_u32 s83, s83, -1
	s_add_u32 s80, s80, -8
	v_mov_b32_e32 v5, s95
	s_addc_u32 s81, s81, -1
	s_cmp_lt_u32 s48, 3
	s_waitcnt vmcnt(2)
	v_mul_f64 v[52:53], v[50:51], v[16:17]
	v_mul_f64 v[54:55], v[48:49], v[16:17]
	s_waitcnt vmcnt(1)
	v_mul_f64 v[0:1], v[16:17], v[42:43]
	v_mul_f64 v[2:3], v[16:17], v[44:45]
	s_waitcnt vmcnt(0)
	v_fma_f64 v[42:43], v[46:47], v[42:43], -v[52:53]
	v_fma_f64 v[44:45], v[46:47], v[44:45], -v[54:55]
	global_store_dwordx4 v[14:15], v[42:45], off offset:-8
	v_add_co_u32_e32 v14, vcc, s94, v14
	v_fmac_f64_e32 v[0:1], v[50:51], v[46:47]
	v_fmac_f64_e32 v[2:3], v[48:49], v[46:47]
	v_addc_co_u32_e32 v15, vcc, v15, v5, vcc
	s_cbranch_scc0 .LBB222_82
	s_branch .LBB222_80
.LBB222_83:                             ;   in Loop: Header=BB222_4 Depth=1
	s_or_b64 exec, exec, s[76:77]
	s_mov_b64 s[76:77], 0
.LBB222_84:                             ;   in Loop: Header=BB222_4 Depth=1
	s_andn2_b64 vcc, exec, s[76:77]
	s_cbranch_vccnz .LBB222_3
; %bb.85:                               ;   in Loop: Header=BB222_4 Depth=1
	v_readlane_b32 s44, v41, 6
	v_readlane_b32 s45, v41, 7
	s_andn2_b64 vcc, exec, s[44:45]
	s_mov_b64 s[76:77], -1
	s_cbranch_vccnz .LBB222_92
; %bb.86:                               ;   in Loop: Header=BB222_4 Depth=1
	s_and_saveexec_b64 s[76:77], s[2:3]
	s_cbranch_execz .LBB222_91
; %bb.87:                               ;   in Loop: Header=BB222_4 Depth=1
	s_lshl_b64 s[44:45], s[66:67], 4
	s_add_u32 s48, s52, s44
	s_addc_u32 s49, s53, s45
	s_mov_b64 s[78:79], 0
	v_mov_b32_e32 v8, v4
	s_branch .LBB222_89
.LBB222_88:                             ;   in Loop: Header=BB222_89 Depth=2
	v_add_u32_e32 v8, s4, v8
	v_cmp_le_i32_e32 vcc, s19, v8
	s_waitcnt vmcnt(0)
	global_store_dwordx4 v[10:11], v[0:3], off
	s_or_b64 s[78:79], vcc, s[78:79]
	v_mov_b32_e32 v0, s63
	v_add_co_u32_e32 v6, vcc, s62, v6
	v_addc_co_u32_e32 v7, vcc, v7, v0, vcc
	s_andn2_b64 exec, exec, s[78:79]
	s_cbranch_execz .LBB222_91
.LBB222_89:                             ;   Parent Loop BB222_4 Depth=1
                                        ; =>  This Loop Header: Depth=2
                                        ;       Child Loop BB222_90 Depth 3
	v_ashrrev_i32_e32 v9, 31, v8
	v_lshlrev_b64 v[0:1], 4, v[8:9]
	v_mov_b32_e32 v2, s49
	v_add_co_u32_e32 v10, vcc, s48, v0
	v_addc_co_u32_e32 v11, vcc, v2, v1, vcc
	global_load_dwordx4 v[0:3], v[10:11], off
	s_andn2_b64 vcc, exec, s[46:47]
	v_pk_mov_b32 v[12:13], v[6:7], v[6:7] op_sel:[0,1]
	s_mov_b64 s[80:81], s[70:71]
	s_mov_b64 s[82:83], s[68:69]
	s_mov_b32 s50, s18
	s_cbranch_vccnz .LBB222_88
.LBB222_90:                             ;   Parent Loop BB222_4 Depth=1
                                        ;     Parent Loop BB222_89 Depth=2
                                        ; =>    This Inner Loop Header: Depth=3
	global_load_dwordx4 v[14:17], v[12:13], off offset:-8
	global_load_dwordx2 v[46:47], v40, s[82:83]
	global_load_dwordx2 v[48:49], v40, s[80:81]
	s_add_i32 s50, s50, -1
	s_add_u32 s82, s82, 8
	s_addc_u32 s83, s83, 0
	s_add_u32 s80, s80, 8
	v_mov_b32_e32 v5, s65
	s_addc_u32 s81, s81, 0
	s_cmp_eq_u32 s50, 0
	s_waitcnt vmcnt(1)
	v_mul_f64 v[42:43], v[46:47], v[14:15]
	v_mul_f64 v[44:45], v[46:47], v[16:17]
	s_waitcnt vmcnt(0)
	v_fmac_f64_e32 v[42:43], v[0:1], v[48:49]
	v_fmac_f64_e32 v[44:45], v[2:3], v[48:49]
	v_mul_f64 v[14:15], v[48:49], v[14:15]
	v_mul_f64 v[16:17], v[48:49], v[16:17]
	global_store_dwordx4 v[12:13], v[42:45], off offset:-8
	v_add_co_u32_e32 v12, vcc, s64, v12
	v_fma_f64 v[0:1], v[0:1], v[46:47], -v[14:15]
	v_fma_f64 v[2:3], v[2:3], v[46:47], -v[16:17]
	v_addc_co_u32_e32 v13, vcc, v13, v5, vcc
	s_cbranch_scc0 .LBB222_90
	s_branch .LBB222_88
.LBB222_91:                             ;   in Loop: Header=BB222_4 Depth=1
	s_or_b64 exec, exec, s[76:77]
	s_mov_b64 s[76:77], 0
.LBB222_92:                             ;   in Loop: Header=BB222_4 Depth=1
	s_andn2_b64 vcc, exec, s[76:77]
	s_cbranch_vccnz .LBB222_3
; %bb.93:                               ;   in Loop: Header=BB222_4 Depth=1
	s_mov_b64 s[68:69], exec
	v_readlane_b32 s44, v41, 8
	v_readlane_b32 s45, v41, 9
	s_and_b64 s[44:45], s[68:69], s[44:45]
	s_mov_b64 exec, s[44:45]
	s_cbranch_execz .LBB222_2
; %bb.94:                               ;   in Loop: Header=BB222_4 Depth=1
	s_lshl_b64 s[44:45], s[66:67], 4
	v_mov_b32_e32 v0, s54
	v_add_co_u32_e32 v6, vcc, s55, v38
	s_add_u32 s48, s52, s44
	v_addc_co_u32_e32 v7, vcc, v39, v0, vcc
	s_addc_u32 s49, s53, s45
	s_mov_b64 s[70:71], 0
	v_mov_b32_e32 v8, v4
	s_branch .LBB222_96
.LBB222_95:                             ;   in Loop: Header=BB222_96 Depth=2
	v_add_u32_e32 v8, s4, v8
	v_cmp_le_i32_e32 vcc, s19, v8
	s_waitcnt vmcnt(0)
	global_store_dwordx4 v[10:11], v[0:3], off
	s_or_b64 s[70:71], vcc, s[70:71]
	v_mov_b32_e32 v0, s63
	v_add_co_u32_e32 v6, vcc, s62, v6
	v_addc_co_u32_e32 v7, vcc, v7, v0, vcc
	s_andn2_b64 exec, exec, s[70:71]
	s_cbranch_execz .LBB222_2
.LBB222_96:                             ;   Parent Loop BB222_4 Depth=1
                                        ; =>  This Loop Header: Depth=2
                                        ;       Child Loop BB222_97 Depth 3
	v_ashrrev_i32_e32 v9, 31, v8
	v_lshlrev_b64 v[0:1], 4, v[8:9]
	v_mov_b32_e32 v2, s49
	v_add_co_u32_e32 v10, vcc, s48, v0
	v_addc_co_u32_e32 v11, vcc, v2, v1, vcc
	global_load_dwordx4 v[0:3], v[10:11], off
	s_andn2_b64 vcc, exec, s[46:47]
	v_pk_mov_b32 v[12:13], v[6:7], v[6:7] op_sel:[0,1]
	s_mov_b64 s[76:77], s[74:75]
	s_mov_b64 s[78:79], s[72:73]
	s_mov_b32 s50, s18
	s_cbranch_vccnz .LBB222_95
.LBB222_97:                             ;   Parent Loop BB222_4 Depth=1
                                        ;     Parent Loop BB222_96 Depth=2
                                        ; =>    This Inner Loop Header: Depth=3
	global_load_dwordx4 v[14:17], v[12:13], off offset:-8
	global_load_dwordx2 v[46:47], v40, s[78:79]
	global_load_dwordx2 v[48:49], v40, s[76:77]
	s_add_i32 s50, s50, -1
	s_add_u32 s78, s78, -8
	s_addc_u32 s79, s79, -1
	s_add_u32 s76, s76, -8
	v_mov_b32_e32 v5, s95
	s_addc_u32 s77, s77, -1
	s_cmp_eq_u32 s50, 0
	s_waitcnt vmcnt(1)
	v_mul_f64 v[42:43], v[46:47], v[14:15]
	v_mul_f64 v[44:45], v[46:47], v[16:17]
	s_waitcnt vmcnt(0)
	v_fmac_f64_e32 v[42:43], v[0:1], v[48:49]
	v_fmac_f64_e32 v[44:45], v[2:3], v[48:49]
	v_mul_f64 v[14:15], v[48:49], v[14:15]
	v_mul_f64 v[16:17], v[48:49], v[16:17]
	global_store_dwordx4 v[12:13], v[42:45], off offset:-8
	v_add_co_u32_e32 v12, vcc, s94, v12
	v_fma_f64 v[0:1], v[0:1], v[46:47], -v[14:15]
	v_fma_f64 v[2:3], v[2:3], v[46:47], -v[16:17]
	v_addc_co_u32_e32 v13, vcc, v13, v5, vcc
	s_cbranch_scc0 .LBB222_97
	s_branch .LBB222_95
.LBB222_98:
	s_endpgm
	.section	.rodata,"a",@progbits
	.p2align	6, 0x0
	.amdhsa_kernel _ZN9rocsolver6v33100L11lasr_kernelI19rocblas_complex_numIdEdPS3_iEEv13rocblas_side_14rocblas_pivot_15rocblas_direct_T2_S8_PT0_lSA_lT1_lS8_lS8_
		.amdhsa_group_segment_fixed_size 0
		.amdhsa_private_segment_fixed_size 0
		.amdhsa_kernarg_size 352
		.amdhsa_user_sgpr_count 6
		.amdhsa_user_sgpr_private_segment_buffer 1
		.amdhsa_user_sgpr_dispatch_ptr 0
		.amdhsa_user_sgpr_queue_ptr 0
		.amdhsa_user_sgpr_kernarg_segment_ptr 1
		.amdhsa_user_sgpr_dispatch_id 0
		.amdhsa_user_sgpr_flat_scratch_init 0
		.amdhsa_user_sgpr_kernarg_preload_length 0
		.amdhsa_user_sgpr_kernarg_preload_offset 0
		.amdhsa_user_sgpr_private_segment_size 0
		.amdhsa_uses_dynamic_stack 0
		.amdhsa_system_sgpr_private_segment_wavefront_offset 0
		.amdhsa_system_sgpr_workgroup_id_x 1
		.amdhsa_system_sgpr_workgroup_id_y 0
		.amdhsa_system_sgpr_workgroup_id_z 1
		.amdhsa_system_sgpr_workgroup_info 0
		.amdhsa_system_vgpr_workitem_id 0
		.amdhsa_next_free_vgpr 60
		.amdhsa_next_free_sgpr 96
		.amdhsa_accum_offset 60
		.amdhsa_reserve_vcc 1
		.amdhsa_reserve_flat_scratch 0
		.amdhsa_float_round_mode_32 0
		.amdhsa_float_round_mode_16_64 0
		.amdhsa_float_denorm_mode_32 3
		.amdhsa_float_denorm_mode_16_64 3
		.amdhsa_dx10_clamp 1
		.amdhsa_ieee_mode 1
		.amdhsa_fp16_overflow 0
		.amdhsa_tg_split 0
		.amdhsa_exception_fp_ieee_invalid_op 0
		.amdhsa_exception_fp_denorm_src 0
		.amdhsa_exception_fp_ieee_div_zero 0
		.amdhsa_exception_fp_ieee_overflow 0
		.amdhsa_exception_fp_ieee_underflow 0
		.amdhsa_exception_fp_ieee_inexact 0
		.amdhsa_exception_int_div_zero 0
	.end_amdhsa_kernel
	.section	.text._ZN9rocsolver6v33100L11lasr_kernelI19rocblas_complex_numIdEdPS3_iEEv13rocblas_side_14rocblas_pivot_15rocblas_direct_T2_S8_PT0_lSA_lT1_lS8_lS8_,"axG",@progbits,_ZN9rocsolver6v33100L11lasr_kernelI19rocblas_complex_numIdEdPS3_iEEv13rocblas_side_14rocblas_pivot_15rocblas_direct_T2_S8_PT0_lSA_lT1_lS8_lS8_,comdat
.Lfunc_end222:
	.size	_ZN9rocsolver6v33100L11lasr_kernelI19rocblas_complex_numIdEdPS3_iEEv13rocblas_side_14rocblas_pivot_15rocblas_direct_T2_S8_PT0_lSA_lT1_lS8_lS8_, .Lfunc_end222-_ZN9rocsolver6v33100L11lasr_kernelI19rocblas_complex_numIdEdPS3_iEEv13rocblas_side_14rocblas_pivot_15rocblas_direct_T2_S8_PT0_lSA_lT1_lS8_lS8_
                                        ; -- End function
	.section	.AMDGPU.csdata,"",@progbits
; Kernel info:
; codeLenInByte = 5004
; NumSgprs: 100
; NumVgprs: 60
; NumAgprs: 0
; TotalNumVgprs: 60
; ScratchSize: 0
; MemoryBound: 0
; FloatMode: 240
; IeeeMode: 1
; LDSByteSize: 0 bytes/workgroup (compile time only)
; SGPRBlocks: 12
; VGPRBlocks: 7
; NumSGPRsForWavesPerEU: 100
; NumVGPRsForWavesPerEU: 60
; AccumOffset: 60
; Occupancy: 8
; WaveLimiterHint : 0
; COMPUTE_PGM_RSRC2:SCRATCH_EN: 0
; COMPUTE_PGM_RSRC2:USER_SGPR: 6
; COMPUTE_PGM_RSRC2:TRAP_HANDLER: 0
; COMPUTE_PGM_RSRC2:TGID_X_EN: 1
; COMPUTE_PGM_RSRC2:TGID_Y_EN: 0
; COMPUTE_PGM_RSRC2:TGID_Z_EN: 1
; COMPUTE_PGM_RSRC2:TIDIG_COMP_CNT: 0
; COMPUTE_PGM_RSRC3_GFX90A:ACCUM_OFFSET: 14
; COMPUTE_PGM_RSRC3_GFX90A:TG_SPLIT: 0
	.section	.text._ZN9rocsolver6v33100L11scal_kernelId19rocblas_complex_numIdEiEEvT1_T_PT0_S4_,"axG",@progbits,_ZN9rocsolver6v33100L11scal_kernelId19rocblas_complex_numIdEiEEvT1_T_PT0_S4_,comdat
	.globl	_ZN9rocsolver6v33100L11scal_kernelId19rocblas_complex_numIdEiEEvT1_T_PT0_S4_ ; -- Begin function _ZN9rocsolver6v33100L11scal_kernelId19rocblas_complex_numIdEiEEvT1_T_PT0_S4_
	.p2align	8
	.type	_ZN9rocsolver6v33100L11scal_kernelId19rocblas_complex_numIdEiEEvT1_T_PT0_S4_,@function
_ZN9rocsolver6v33100L11scal_kernelId19rocblas_complex_numIdEiEEvT1_T_PT0_S4_: ; @_ZN9rocsolver6v33100L11scal_kernelId19rocblas_complex_numIdEiEEvT1_T_PT0_S4_
; %bb.0:
	s_load_dword s14, s[4:5], 0x0
	s_waitcnt lgkmcnt(0)
	s_cmp_lt_i32 s14, 1
	s_cbranch_scc1 .LBB223_10
; %bb.1:
	s_load_dword s0, s[4:5], 0x2c
	s_load_dword s1, s[4:5], 0x20
	s_load_dwordx4 s[8:11], s[4:5], 0x8
	s_load_dword s3, s[4:5], 0x18
	s_mov_b64 s[4:5], -1
	s_waitcnt lgkmcnt(0)
	s_and_b32 s0, s0, 0xffff
	s_mul_i32 s6, s6, s0
	v_add_u32_e32 v0, s6, v0
	s_mul_i32 s2, s1, s0
	s_cmp_eq_u32 s3, 1
	v_cmp_gt_i32_e64 s[0:1], s14, v0
	s_cbranch_scc1 .LBB223_6
; %bb.2:
	s_and_saveexec_b64 s[4:5], s[0:1]
	s_cbranch_execz .LBB223_5
; %bb.3:
	v_mad_i64_i32 v[2:3], s[6:7], s3, v0, 0
	v_lshlrev_b64 v[2:3], 4, v[2:3]
	v_mov_b32_e32 v1, s11
	v_add_co_u32_e32 v2, vcc, s10, v2
	v_addc_co_u32_e32 v1, vcc, v3, v1, vcc
	s_mul_hi_i32 s7, s3, s2
	s_mul_i32 s6, s3, s2
	v_add_co_u32_e32 v2, vcc, 8, v2
	s_lshl_b64 s[6:7], s[6:7], 4
	v_addc_co_u32_e32 v3, vcc, 0, v1, vcc
	s_mov_b64 s[12:13], 0
	v_mov_b32_e32 v1, s7
	v_mov_b32_e32 v4, v0
.LBB223_4:                              ; =>This Inner Loop Header: Depth=1
	global_load_dwordx4 v[6:9], v[2:3], off offset:-8
	v_add_u32_e32 v4, s2, v4
	v_cmp_le_i32_e32 vcc, s14, v4
	s_or_b64 s[12:13], vcc, s[12:13]
	s_waitcnt vmcnt(0)
	v_mul_f64 v[6:7], v[6:7], s[8:9]
	v_mul_f64 v[8:9], v[8:9], s[8:9]
	global_store_dwordx4 v[2:3], v[6:9], off offset:-8
	v_add_co_u32_e32 v2, vcc, s6, v2
	v_addc_co_u32_e32 v3, vcc, v3, v1, vcc
	s_andn2_b64 exec, exec, s[12:13]
	s_cbranch_execnz .LBB223_4
.LBB223_5:
	s_or_b64 exec, exec, s[4:5]
	s_mov_b64 s[4:5], 0
.LBB223_6:
	s_andn2_b64 vcc, exec, s[4:5]
	s_cbranch_vccnz .LBB223_10
; %bb.7:
	s_and_saveexec_b64 s[4:5], s[0:1]
	s_cbranch_execz .LBB223_10
; %bb.8:
	v_ashrrev_i32_e32 v1, 31, v0
	v_lshlrev_b64 v[2:3], 4, v[0:1]
	v_mov_b32_e32 v1, s11
	v_add_co_u32_e32 v2, vcc, s10, v2
	v_addc_co_u32_e32 v1, vcc, v3, v1, vcc
	s_ashr_i32 s3, s2, 31
	v_add_co_u32_e32 v2, vcc, 8, v2
	s_lshl_b64 s[0:1], s[2:3], 4
	v_addc_co_u32_e32 v3, vcc, 0, v1, vcc
	s_mov_b64 s[4:5], 0
	v_mov_b32_e32 v1, s1
.LBB223_9:                              ; =>This Inner Loop Header: Depth=1
	global_load_dwordx4 v[4:7], v[2:3], off offset:-8
	v_add_u32_e32 v0, s2, v0
	v_cmp_le_i32_e32 vcc, s14, v0
	s_or_b64 s[4:5], vcc, s[4:5]
	s_waitcnt vmcnt(0)
	v_mul_f64 v[4:5], v[4:5], s[8:9]
	v_mul_f64 v[6:7], v[6:7], s[8:9]
	global_store_dwordx4 v[2:3], v[4:7], off offset:-8
	v_add_co_u32_e32 v2, vcc, s0, v2
	v_addc_co_u32_e32 v3, vcc, v3, v1, vcc
	s_andn2_b64 exec, exec, s[4:5]
	s_cbranch_execnz .LBB223_9
.LBB223_10:
	s_endpgm
	.section	.rodata,"a",@progbits
	.p2align	6, 0x0
	.amdhsa_kernel _ZN9rocsolver6v33100L11scal_kernelId19rocblas_complex_numIdEiEEvT1_T_PT0_S4_
		.amdhsa_group_segment_fixed_size 0
		.amdhsa_private_segment_fixed_size 0
		.amdhsa_kernarg_size 288
		.amdhsa_user_sgpr_count 6
		.amdhsa_user_sgpr_private_segment_buffer 1
		.amdhsa_user_sgpr_dispatch_ptr 0
		.amdhsa_user_sgpr_queue_ptr 0
		.amdhsa_user_sgpr_kernarg_segment_ptr 1
		.amdhsa_user_sgpr_dispatch_id 0
		.amdhsa_user_sgpr_flat_scratch_init 0
		.amdhsa_user_sgpr_kernarg_preload_length 0
		.amdhsa_user_sgpr_kernarg_preload_offset 0
		.amdhsa_user_sgpr_private_segment_size 0
		.amdhsa_uses_dynamic_stack 0
		.amdhsa_system_sgpr_private_segment_wavefront_offset 0
		.amdhsa_system_sgpr_workgroup_id_x 1
		.amdhsa_system_sgpr_workgroup_id_y 0
		.amdhsa_system_sgpr_workgroup_id_z 0
		.amdhsa_system_sgpr_workgroup_info 0
		.amdhsa_system_vgpr_workitem_id 0
		.amdhsa_next_free_vgpr 10
		.amdhsa_next_free_sgpr 15
		.amdhsa_accum_offset 12
		.amdhsa_reserve_vcc 1
		.amdhsa_reserve_flat_scratch 0
		.amdhsa_float_round_mode_32 0
		.amdhsa_float_round_mode_16_64 0
		.amdhsa_float_denorm_mode_32 3
		.amdhsa_float_denorm_mode_16_64 3
		.amdhsa_dx10_clamp 1
		.amdhsa_ieee_mode 1
		.amdhsa_fp16_overflow 0
		.amdhsa_tg_split 0
		.amdhsa_exception_fp_ieee_invalid_op 0
		.amdhsa_exception_fp_denorm_src 0
		.amdhsa_exception_fp_ieee_div_zero 0
		.amdhsa_exception_fp_ieee_overflow 0
		.amdhsa_exception_fp_ieee_underflow 0
		.amdhsa_exception_fp_ieee_inexact 0
		.amdhsa_exception_int_div_zero 0
	.end_amdhsa_kernel
	.section	.text._ZN9rocsolver6v33100L11scal_kernelId19rocblas_complex_numIdEiEEvT1_T_PT0_S4_,"axG",@progbits,_ZN9rocsolver6v33100L11scal_kernelId19rocblas_complex_numIdEiEEvT1_T_PT0_S4_,comdat
.Lfunc_end223:
	.size	_ZN9rocsolver6v33100L11scal_kernelId19rocblas_complex_numIdEiEEvT1_T_PT0_S4_, .Lfunc_end223-_ZN9rocsolver6v33100L11scal_kernelId19rocblas_complex_numIdEiEEvT1_T_PT0_S4_
                                        ; -- End function
	.section	.AMDGPU.csdata,"",@progbits
; Kernel info:
; codeLenInByte = 368
; NumSgprs: 19
; NumVgprs: 10
; NumAgprs: 0
; TotalNumVgprs: 10
; ScratchSize: 0
; MemoryBound: 0
; FloatMode: 240
; IeeeMode: 1
; LDSByteSize: 0 bytes/workgroup (compile time only)
; SGPRBlocks: 2
; VGPRBlocks: 1
; NumSGPRsForWavesPerEU: 19
; NumVGPRsForWavesPerEU: 10
; AccumOffset: 12
; Occupancy: 8
; WaveLimiterHint : 0
; COMPUTE_PGM_RSRC2:SCRATCH_EN: 0
; COMPUTE_PGM_RSRC2:USER_SGPR: 6
; COMPUTE_PGM_RSRC2:TRAP_HANDLER: 0
; COMPUTE_PGM_RSRC2:TGID_X_EN: 1
; COMPUTE_PGM_RSRC2:TGID_Y_EN: 0
; COMPUTE_PGM_RSRC2:TGID_Z_EN: 0
; COMPUTE_PGM_RSRC2:TIDIG_COMP_CNT: 0
; COMPUTE_PGM_RSRC3_GFX90A:ACCUM_OFFSET: 2
; COMPUTE_PGM_RSRC3_GFX90A:TG_SPLIT: 0
	.section	.text._ZN9rocsolver6v33100L17bdsqr_lower2upperI19rocblas_complex_numIdEdPS3_PKS4_EEviiiPT0_lS8_lT1_iilT2_iilPiS8_lSB_,"axG",@progbits,_ZN9rocsolver6v33100L17bdsqr_lower2upperI19rocblas_complex_numIdEdPS3_PKS4_EEviiiPT0_lS8_lT1_iilT2_iilPiS8_lSB_,comdat
	.globl	_ZN9rocsolver6v33100L17bdsqr_lower2upperI19rocblas_complex_numIdEdPS3_PKS4_EEviiiPT0_lS8_lT1_iilT2_iilPiS8_lSB_ ; -- Begin function _ZN9rocsolver6v33100L17bdsqr_lower2upperI19rocblas_complex_numIdEdPS3_PKS4_EEviiiPT0_lS8_lT1_iilT2_iilPiS8_lSB_
	.p2align	8
	.type	_ZN9rocsolver6v33100L17bdsqr_lower2upperI19rocblas_complex_numIdEdPS3_PKS4_EEviiiPT0_lS8_lT1_iilT2_iilPiS8_lSB_,@function
_ZN9rocsolver6v33100L17bdsqr_lower2upperI19rocblas_complex_numIdEdPS3_PKS4_EEviiiPT0_lS8_lT1_iilT2_iilPiS8_lSB_: ; @_ZN9rocsolver6v33100L17bdsqr_lower2upperI19rocblas_complex_numIdEdPS3_PKS4_EEviiiPT0_lS8_lT1_iilT2_iilPiS8_lSB_
; %bb.0:
	s_load_dwordx2 s[0:1], s[4:5], 0x78
	s_mov_b32 s26, s7
	s_ashr_i32 s27, s7, 31
	s_lshl_b64 s[2:3], s[26:27], 2
	s_waitcnt lgkmcnt(0)
	s_add_u32 s0, s0, s2
	s_addc_u32 s1, s1, s3
	s_load_dword s0, s[0:1], 0x8
	s_waitcnt lgkmcnt(0)
	s_cmp_lg_u32 s0, 0
	s_cbranch_scc1 .LBB224_34
; %bb.1:
	s_load_dwordx8 s[8:15], s[4:5], 0x30
	s_load_dwordx4 s[0:3], s[4:5], 0x68
	s_mov_b64 s[6:7], 0
	s_mov_b64 s[24:25], 0
	s_waitcnt lgkmcnt(0)
	s_cmp_eq_u64 s[8:9], 0
	s_cbranch_scc1 .LBB224_3
; %bb.2:
	s_ashr_i32 s17, s10, 31
	s_mov_b32 s16, s10
	s_mul_i32 s10, s26, s13
	s_mul_hi_u32 s13, s26, s12
	s_add_i32 s10, s13, s10
	s_mul_i32 s13, s27, s12
	s_add_i32 s13, s10, s13
	s_mul_i32 s12, s26, s12
	s_lshl_b64 s[12:13], s[12:13], 4
	s_add_u32 s10, s8, s12
	s_addc_u32 s12, s9, s13
	s_lshl_b64 s[8:9], s[16:17], 4
	s_add_u32 s24, s10, s8
	s_addc_u32 s25, s12, s9
.LBB224_3:
	s_load_dwordx2 s[8:9], s[4:5], 0x50
	s_cmp_eq_u64 s[14:15], 0
	s_cbranch_scc1 .LBB224_5
; %bb.4:
	s_lshl_b64 s[6:7], s[26:27], 3
	s_add_u32 s6, s14, s6
	s_addc_u32 s7, s15, s7
	s_load_dwordx2 s[6:7], s[6:7], 0x0
	s_waitcnt lgkmcnt(0)
	s_ashr_i32 s13, s8, 31
	s_mov_b32 s12, s8
	s_lshl_b64 s[12:13], s[12:13], 4
	s_add_u32 s6, s6, s12
	s_addc_u32 s7, s7, s13
.LBB224_5:
	s_mul_i32 s3, s26, s3
	s_waitcnt lgkmcnt(0)
	s_mul_hi_u32 s8, s26, s2
	s_load_dwordx4 s[20:23], s[4:5], 0x0
	s_add_i32 s3, s8, s3
	s_mul_i32 s8, s27, s2
	s_add_i32 s3, s3, s8
	s_mul_i32 s2, s26, s2
	s_lshl_b64 s[2:3], s[2:3], 3
	s_add_u32 s8, s0, s2
	s_waitcnt lgkmcnt(0)
	s_addc_u32 s23, s1, s3
	v_cmp_eq_u32_e32 vcc, 0, v0
	s_and_saveexec_b64 s[0:1], vcc
	s_cbranch_execz .LBB224_22
; %bb.6:
	s_load_dwordx8 s[12:19], s[4:5], 0x10
	s_waitcnt lgkmcnt(0)
	s_mul_i32 s2, s26, s15
	s_mul_hi_u32 s3, s26, s14
	s_mul_i32 s10, s27, s14
	s_add_i32 s2, s3, s2
	s_add_i32 s3, s2, s10
	s_mul_i32 s2, s26, s14
	s_lshl_b64 s[28:29], s[2:3], 3
	s_add_u32 s2, s12, s28
	s_addc_u32 s3, s13, s29
	s_load_dwordx2 s[30:31], s[2:3], 0x0
	s_add_i32 s14, s20, -1
	s_cmp_lt_i32 s20, 2
	s_waitcnt lgkmcnt(0)
	v_pk_mov_b32 v[4:5], s[30:31], s[30:31] op_sel:[0,1]
	s_cbranch_scc1 .LBB224_21
; %bb.7:
	s_mul_i32 s10, s26, s19
	s_mul_hi_u32 s15, s26, s18
	s_add_i32 s10, s15, s10
	s_mul_i32 s15, s27, s18
	s_add_i32 s19, s10, s15
	s_mul_i32 s18, s26, s18
	s_lshl_b64 s[18:19], s[18:19], 3
	s_add_u32 s34, s18, s16
	s_addc_u32 s35, s19, s17
	s_or_b32 s10, s22, s21
	s_cmp_lg_u32 s10, 0
	s_cselect_b64 s[18:19], -1, 0
	s_add_u32 s26, s8, 32
	s_addc_u32 s27, s23, 0
	s_load_dwordx2 s[36:37], s[34:35], 0x0
	s_add_u32 s10, s28, s12
	s_addc_u32 s13, s29, s13
	s_add_u32 s12, s10, 8
	s_addc_u32 s13, s13, 0
	s_add_u32 s28, s34, 8
	v_pk_mov_b32 v[4:5], s[30:31], s[30:31] op_sel:[0,1]
	s_mov_b32 s30, 0
	s_mov_b32 s17, 0
	s_addc_u32 s29, s35, 0
	s_waitcnt lgkmcnt(0)
	v_pk_mov_b32 v[2:3], s[36:37], s[36:37] op_sel:[0,1]
	s_brev_b32 s31, 8
	v_mov_b32_e32 v1, 0x260
	v_mov_b32_e32 v10, 0
	s_mov_b64 s[34:35], s[26:27]
	s_mov_b32 s10, 0
	s_branch .LBB224_9
.LBB224_8:                              ;   in Loop: Header=BB224_9 Depth=1
	s_add_i32 s10, s10, 1
	s_add_u32 s34, s34, 8
	s_addc_u32 s35, s35, 0
	s_add_u32 s12, s12, 8
	s_addc_u32 s13, s13, 0
	;; [unrolled: 2-line block ×3, first 2 shown]
	s_cmp_lg_u32 s14, s10
	s_waitcnt vmcnt(0)
	v_mul_f64 v[4:5], v[6:7], v[4:5]
	s_cbranch_scc0 .LBB224_21
.LBB224_9:                              ; =>This Inner Loop Header: Depth=1
	v_cmp_eq_f64_e32 vcc, 0, v[2:3]
	v_pk_mov_b32 v[8:9], 0, 0
	s_cbranch_vccnz .LBB224_13
; %bb.10:                               ;   in Loop: Header=BB224_9 Depth=1
	v_cmp_neq_f64_e32 vcc, 0, v[4:5]
	s_cbranch_vccz .LBB224_14
; %bb.11:                               ;   in Loop: Header=BB224_9 Depth=1
	v_cmp_ngt_f64_e64 s[36:37], |v[2:3]|, |v[4:5]|
	s_and_b64 vcc, exec, s[36:37]
	s_cbranch_vccz .LBB224_15
; %bb.12:                               ;   in Loop: Header=BB224_9 Depth=1
	v_div_scale_f64 v[6:7], s[36:37], v[4:5], v[4:5], -v[2:3]
	v_rcp_f64_e32 v[8:9], v[6:7]
	v_div_scale_f64 v[12:13], vcc, -v[2:3], v[4:5], -v[2:3]
	v_fma_f64 v[14:15], -v[6:7], v[8:9], 1.0
	v_fmac_f64_e32 v[8:9], v[8:9], v[14:15]
	v_fma_f64 v[14:15], -v[6:7], v[8:9], 1.0
	v_fmac_f64_e32 v[8:9], v[8:9], v[14:15]
	v_mul_f64 v[14:15], v[12:13], v[8:9]
	v_fma_f64 v[6:7], -v[6:7], v[14:15], v[12:13]
	v_div_fmas_f64 v[6:7], v[6:7], v[8:9], v[14:15]
	v_div_fixup_f64 v[8:9], v[6:7], v[4:5], -v[2:3]
	v_fma_f64 v[6:7], v[8:9], v[8:9], 1.0
	v_cmp_gt_f64_e32 vcc, s[30:31], v[6:7]
	v_cndmask_b32_e64 v11, 0, 1, vcc
	v_lshlrev_b32_e32 v11, 8, v11
	v_ldexp_f64 v[6:7], v[6:7], v11
	v_rsq_f64_e32 v[12:13], v[6:7]
	s_and_b64 s[36:37], vcc, exec
	s_cselect_b32 s15, 0xffffff80, 0
	v_cmp_class_f64_e32 vcc, v[6:7], v1
	v_mul_f64 v[14:15], v[6:7], v[12:13]
	v_mul_f64 v[12:13], v[12:13], 0.5
	v_fma_f64 v[16:17], -v[12:13], v[14:15], 0.5
	v_fmac_f64_e32 v[14:15], v[14:15], v[16:17]
	v_fma_f64 v[18:19], -v[14:15], v[14:15], v[6:7]
	v_fmac_f64_e32 v[12:13], v[12:13], v[16:17]
	v_fmac_f64_e32 v[14:15], v[18:19], v[12:13]
	v_fma_f64 v[16:17], -v[14:15], v[14:15], v[6:7]
	v_fmac_f64_e32 v[14:15], v[16:17], v[12:13]
	v_ldexp_f64 v[12:13], v[14:15], s15
	v_cndmask_b32_e32 v7, v13, v7, vcc
	v_cndmask_b32_e32 v6, v12, v6, vcc
	v_div_scale_f64 v[12:13], s[36:37], v[6:7], v[6:7], 1.0
	v_rcp_f64_e32 v[14:15], v[12:13]
	v_fma_f64 v[16:17], -v[12:13], v[14:15], 1.0
	v_fmac_f64_e32 v[14:15], v[14:15], v[16:17]
	v_fma_f64 v[16:17], -v[12:13], v[14:15], 1.0
	v_fmac_f64_e32 v[14:15], v[14:15], v[16:17]
	v_div_scale_f64 v[16:17], vcc, 1.0, v[6:7], 1.0
	v_mul_f64 v[18:19], v[16:17], v[14:15]
	v_fma_f64 v[12:13], -v[12:13], v[18:19], v[16:17]
	s_nop 1
	v_div_fmas_f64 v[12:13], v[12:13], v[14:15], v[18:19]
	v_div_fixup_f64 v[6:7], v[12:13], v[6:7], 1.0
	v_mul_f64 v[8:9], v[8:9], v[6:7]
	s_cbranch_execz .LBB224_16
	s_branch .LBB224_17
.LBB224_13:                             ;   in Loop: Header=BB224_9 Depth=1
	v_mov_b32_e32 v6, 0
	v_mov_b32_e32 v7, 0x3ff00000
	s_branch .LBB224_19
.LBB224_14:                             ;   in Loop: Header=BB224_9 Depth=1
                                        ; implicit-def: $vgpr4_vgpr5
                                        ; implicit-def: $vgpr6_vgpr7
                                        ; implicit-def: $vgpr8_vgpr9
	s_cbranch_execnz .LBB224_18
	s_branch .LBB224_19
.LBB224_15:                             ;   in Loop: Header=BB224_9 Depth=1
                                        ; implicit-def: $vgpr6_vgpr7
                                        ; implicit-def: $vgpr8_vgpr9
.LBB224_16:                             ;   in Loop: Header=BB224_9 Depth=1
	v_div_scale_f64 v[6:7], s[36:37], v[2:3], v[2:3], -v[4:5]
	v_rcp_f64_e32 v[8:9], v[6:7]
	v_div_scale_f64 v[12:13], vcc, -v[4:5], v[2:3], -v[4:5]
	v_fma_f64 v[14:15], -v[6:7], v[8:9], 1.0
	v_fmac_f64_e32 v[8:9], v[8:9], v[14:15]
	v_fma_f64 v[14:15], -v[6:7], v[8:9], 1.0
	v_fmac_f64_e32 v[8:9], v[8:9], v[14:15]
	v_mul_f64 v[14:15], v[12:13], v[8:9]
	v_fma_f64 v[6:7], -v[6:7], v[14:15], v[12:13]
	v_div_fmas_f64 v[6:7], v[6:7], v[8:9], v[14:15]
	v_div_fixup_f64 v[6:7], v[6:7], v[2:3], -v[4:5]
	v_fma_f64 v[8:9], v[6:7], v[6:7], 1.0
	v_cmp_gt_f64_e32 vcc, s[30:31], v[8:9]
	v_cndmask_b32_e64 v11, 0, 1, vcc
	v_lshlrev_b32_e32 v11, 8, v11
	v_ldexp_f64 v[8:9], v[8:9], v11
	v_rsq_f64_e32 v[12:13], v[8:9]
	s_and_b64 s[36:37], vcc, exec
	s_cselect_b32 s15, 0xffffff80, 0
	v_cmp_class_f64_e32 vcc, v[8:9], v1
	v_mul_f64 v[14:15], v[8:9], v[12:13]
	v_mul_f64 v[12:13], v[12:13], 0.5
	v_fma_f64 v[16:17], -v[12:13], v[14:15], 0.5
	v_fmac_f64_e32 v[14:15], v[14:15], v[16:17]
	v_fma_f64 v[18:19], -v[14:15], v[14:15], v[8:9]
	v_fmac_f64_e32 v[12:13], v[12:13], v[16:17]
	v_fmac_f64_e32 v[14:15], v[18:19], v[12:13]
	v_fma_f64 v[16:17], -v[14:15], v[14:15], v[8:9]
	v_fmac_f64_e32 v[14:15], v[16:17], v[12:13]
	v_ldexp_f64 v[12:13], v[14:15], s15
	v_cndmask_b32_e32 v9, v13, v9, vcc
	v_cndmask_b32_e32 v8, v12, v8, vcc
	v_div_scale_f64 v[12:13], s[36:37], v[8:9], v[8:9], 1.0
	v_rcp_f64_e32 v[14:15], v[12:13]
	v_fma_f64 v[16:17], -v[12:13], v[14:15], 1.0
	v_fmac_f64_e32 v[14:15], v[14:15], v[16:17]
	v_fma_f64 v[16:17], -v[12:13], v[14:15], 1.0
	v_fmac_f64_e32 v[14:15], v[14:15], v[16:17]
	v_div_scale_f64 v[16:17], vcc, 1.0, v[8:9], 1.0
	v_mul_f64 v[18:19], v[16:17], v[14:15]
	v_fma_f64 v[12:13], -v[12:13], v[18:19], v[16:17]
	s_nop 1
	v_div_fmas_f64 v[12:13], v[12:13], v[14:15], v[18:19]
	v_div_fixup_f64 v[8:9], v[12:13], v[8:9], 1.0
	v_mul_f64 v[6:7], v[6:7], v[8:9]
.LBB224_17:                             ;   in Loop: Header=BB224_9 Depth=1
	v_mul_f64 v[12:13], v[2:3], v[8:9]
	v_fma_f64 v[4:5], v[4:5], v[6:7], -v[12:13]
	s_branch .LBB224_19
.LBB224_18:                             ;   in Loop: Header=BB224_9 Depth=1
	v_xor_b32_e32 v3, 0x80000000, v3
	v_mov_b32_e32 v8, 0
	v_pk_mov_b32 v[6:7], 0, 0
	v_mov_b32_e32 v9, 0x3ff00000
	v_pk_mov_b32 v[4:5], v[2:3], v[2:3] op_sel:[0,1]
.LBB224_19:                             ;   in Loop: Header=BB224_9 Depth=1
	global_load_dwordx2 v[12:13], v10, s[12:13]
	s_andn2_b64 vcc, exec, s[18:19]
	global_store_dwordx2 v10, v[4:5], s[12:13] offset:-8
	global_load_dwordx2 v[2:3], v10, s[28:29]
	s_waitcnt vmcnt(2)
	v_mul_f64 v[4:5], v[12:13], -v[8:9]
	global_store_dwordx2 v10, v[4:5], s[28:29] offset:-8
	global_load_dwordx2 v[4:5], v10, s[12:13]
	s_cbranch_vccnz .LBB224_8
; %bb.20:                               ;   in Loop: Header=BB224_9 Depth=1
	s_add_i32 s16, s20, s10
	s_lshl_b64 s[36:37], s[16:17], 3
	s_add_u32 s36, s26, s36
	s_addc_u32 s37, s27, s37
	global_store_dwordx2 v10, v[6:7], s[34:35]
	global_store_dwordx2 v10, v[8:9], s[36:37]
	s_branch .LBB224_8
.LBB224_21:
	s_ashr_i32 s15, s14, 31
	s_lshl_b64 s[12:13], s[14:15], 3
	s_add_u32 s2, s2, s12
	s_addc_u32 s3, s3, s13
	v_mov_b32_e32 v1, 0
	global_store_dwordx2 v1, v[4:5], s[2:3]
.LBB224_22:
	s_or_b64 exec, exec, s[0:1]
	v_cmp_gt_i32_e32 vcc, s21, v0
	s_barrier
	s_and_saveexec_b64 s[2:3], vcc
	s_cbranch_execz .LBB224_28
; %bb.23:
	s_load_dword s10, s[4:5], 0x8c
	s_add_i32 s28, s20, -1
	s_cmp_gt_i32 s20, 1
	s_cselect_b64 s[0:1], -1, 0
	s_mul_i32 s18, s28, s11
	s_waitcnt lgkmcnt(0)
	s_and_b32 s29, s10, 0xffff
	s_add_u32 s12, s8, 32
	s_addc_u32 s13, s23, 0
	s_ashr_i32 s19, s18, 31
	s_ashr_i32 s15, s11, 31
	s_mov_b32 s14, s11
	s_lshl_b64 s[10:11], s[14:15], 4
	s_mov_b32 s15, 0
	s_mov_b32 s14, s20
	v_cndmask_b32_e64 v2, 0, 1, s[0:1]
	s_lshl_b64 s[18:19], s[18:19], 4
	s_lshl_b64 s[14:15], s[14:15], 3
	s_mov_b64 s[16:17], 0
	v_mov_b32_e32 v1, s25
	v_cmp_ne_u32_e64 s[0:1], 1, v2
	v_mov_b32_e32 v12, 0
	v_mov_b32_e32 v13, s19
	;; [unrolled: 1-line block ×3, first 2 shown]
	s_branch .LBB224_25
.LBB224_24:                             ;   in Loop: Header=BB224_25 Depth=1
	v_add_co_u32_e32 v8, vcc, s18, v8
	v_addc_co_u32_e32 v9, vcc, v9, v13, vcc
	v_add_u32_e32 v6, s29, v6
	v_cmp_le_i32_e32 vcc, s21, v6
	s_or_b64 s[16:17], vcc, s[16:17]
	s_waitcnt vmcnt(0) lgkmcnt(0)
	flat_store_dwordx4 v[8:9], v[2:5]
	s_andn2_b64 exec, exec, s[16:17]
	s_cbranch_execz .LBB224_28
.LBB224_25:                             ; =>This Loop Header: Depth=1
                                        ;     Child Loop BB224_27 Depth 2
	v_ashrrev_i32_e32 v7, 31, v6
	v_lshlrev_b64 v[2:3], 4, v[6:7]
	v_add_co_u32_e32 v8, vcc, s24, v2
	v_addc_co_u32_e32 v9, vcc, v1, v3, vcc
	flat_load_dwordx4 v[2:5], v[8:9]
	s_and_b64 vcc, exec, s[0:1]
	s_cbranch_vccnz .LBB224_24
; %bb.26:                               ;   in Loop: Header=BB224_25 Depth=1
	s_mov_b32 s19, s28
	s_mov_b64 s[26:27], s[12:13]
	v_pk_mov_b32 v[10:11], v[8:9], v[8:9] op_sel:[0,1]
.LBB224_27:                             ;   Parent Loop BB224_25 Depth=1
                                        ; =>  This Inner Loop Header: Depth=2
	v_mov_b32_e32 v7, s11
	v_add_co_u32_e32 v22, vcc, s10, v10
	v_addc_co_u32_e32 v23, vcc, v11, v7, vcc
	s_add_u32 s30, s26, s14
	flat_load_dwordx4 v[14:17], v[22:23]
	s_addc_u32 s31, s27, s15
	global_load_dwordx2 v[24:25], v12, s[30:31]
	global_load_dwordx2 v[26:27], v12, s[26:27]
	s_add_u32 s26, s26, 8
	s_addc_u32 s27, s27, 0
	s_add_i32 s19, s19, -1
	s_cmp_lg_u32 s19, 0
	s_waitcnt vmcnt(0) lgkmcnt(0)
	v_mul_f64 v[18:19], v[14:15], v[24:25]
	v_mul_f64 v[20:21], v[16:17], v[24:25]
	v_fma_f64 v[18:19], v[2:3], v[26:27], -v[18:19]
	v_fma_f64 v[20:21], v[4:5], v[26:27], -v[20:21]
	v_mul_f64 v[2:3], v[2:3], v[24:25]
	v_mul_f64 v[4:5], v[4:5], v[24:25]
	flat_store_dwordx4 v[10:11], v[18:21]
	v_fmac_f64_e32 v[2:3], v[14:15], v[26:27]
	v_fmac_f64_e32 v[4:5], v[16:17], v[26:27]
	v_pk_mov_b32 v[10:11], v[22:23], v[22:23] op_sel:[0,1]
	s_cbranch_scc1 .LBB224_27
	s_branch .LBB224_24
.LBB224_28:
	s_or_b64 exec, exec, s[2:3]
	v_cmp_gt_i32_e32 vcc, s22, v0
	s_and_saveexec_b64 s[0:1], vcc
	s_cbranch_execz .LBB224_34
; %bb.29:
	s_load_dword s3, s[4:5], 0x8c
	s_add_i32 s2, s20, -1
	s_cmp_gt_i32 s20, 1
	s_cselect_b64 s[0:1], -1, 0
	s_mov_b32 s21, 0
	s_waitcnt lgkmcnt(0)
	s_and_b32 s18, s3, 0xffff
	s_add_u32 s4, s8, 32
	s_addc_u32 s5, s23, 0
	s_ashr_i32 s3, s2, 31
	v_cndmask_b32_e64 v2, 0, 1, s[0:1]
	v_mul_lo_u32 v6, v0, s9
	s_mul_i32 s8, s9, s18
	s_lshl_b64 s[10:11], s[20:21], 3
	s_mov_b64 s[12:13], 0
	v_mov_b32_e32 v1, s7
	v_cmp_ne_u32_e64 s[0:1], 1, v2
	v_mov_b32_e32 v12, 0
	s_lshl_b64 s[14:15], s[2:3], 4
	s_branch .LBB224_31
.LBB224_30:                             ;   in Loop: Header=BB224_31 Depth=1
	v_mov_b32_e32 v7, s15
	v_add_co_u32_e32 v8, vcc, s14, v8
	v_addc_co_u32_e32 v9, vcc, v9, v7, vcc
	v_add_u32_e32 v0, s18, v0
	v_cmp_le_i32_e32 vcc, s22, v0
	s_or_b64 s[12:13], vcc, s[12:13]
	v_add_u32_e32 v6, s8, v6
	s_waitcnt vmcnt(0) lgkmcnt(0)
	flat_store_dwordx4 v[8:9], v[2:5]
	s_andn2_b64 exec, exec, s[12:13]
	s_cbranch_execz .LBB224_34
.LBB224_31:                             ; =>This Loop Header: Depth=1
                                        ;     Child Loop BB224_33 Depth 2
	v_mul_lo_u32 v2, v0, s9
	v_ashrrev_i32_e32 v3, 31, v2
	v_lshlrev_b64 v[2:3], 4, v[2:3]
	v_add_co_u32_e32 v8, vcc, s6, v2
	v_addc_co_u32_e32 v9, vcc, v1, v3, vcc
	flat_load_dwordx4 v[2:5], v[8:9]
	s_and_b64 vcc, exec, s[0:1]
	s_cbranch_vccnz .LBB224_30
; %bb.32:                               ;   in Loop: Header=BB224_31 Depth=1
	v_ashrrev_i32_e32 v7, 31, v6
	v_lshlrev_b64 v[10:11], 4, v[6:7]
	v_add_co_u32_e32 v10, vcc, s6, v10
	v_addc_co_u32_e32 v11, vcc, v1, v11, vcc
	s_mov_b32 s3, s2
	s_mov_b64 s[16:17], s[4:5]
.LBB224_33:                             ;   Parent Loop BB224_31 Depth=1
                                        ; =>  This Inner Loop Header: Depth=2
	s_add_u32 s20, s16, s10
	s_addc_u32 s21, s17, s11
	flat_load_dwordx4 v[14:17], v[10:11] offset:16
	global_load_dwordx2 v[22:23], v12, s[16:17]
	global_load_dwordx2 v[24:25], v12, s[20:21]
	v_add_co_u32_e32 v26, vcc, 16, v10
	s_add_u32 s16, s16, 8
	v_addc_co_u32_e32 v27, vcc, 0, v11, vcc
	s_addc_u32 s17, s17, 0
	s_add_i32 s3, s3, -1
	s_cmp_lg_u32 s3, 0
	s_waitcnt vmcnt(0) lgkmcnt(0)
	v_mul_f64 v[18:19], v[14:15], v[24:25]
	v_mul_f64 v[20:21], v[16:17], v[24:25]
	v_fma_f64 v[18:19], v[2:3], v[22:23], -v[18:19]
	v_fma_f64 v[20:21], v[4:5], v[22:23], -v[20:21]
	v_mul_f64 v[2:3], v[2:3], v[24:25]
	v_mul_f64 v[4:5], v[4:5], v[24:25]
	flat_store_dwordx4 v[10:11], v[18:21]
	v_fmac_f64_e32 v[2:3], v[14:15], v[22:23]
	v_fmac_f64_e32 v[4:5], v[16:17], v[22:23]
	v_pk_mov_b32 v[10:11], v[26:27], v[26:27] op_sel:[0,1]
	s_cbranch_scc1 .LBB224_33
	s_branch .LBB224_30
.LBB224_34:
	s_endpgm
	.section	.rodata,"a",@progbits
	.p2align	6, 0x0
	.amdhsa_kernel _ZN9rocsolver6v33100L17bdsqr_lower2upperI19rocblas_complex_numIdEdPS3_PKS4_EEviiiPT0_lS8_lT1_iilT2_iilPiS8_lSB_
		.amdhsa_group_segment_fixed_size 0
		.amdhsa_private_segment_fixed_size 0
		.amdhsa_kernarg_size 384
		.amdhsa_user_sgpr_count 6
		.amdhsa_user_sgpr_private_segment_buffer 1
		.amdhsa_user_sgpr_dispatch_ptr 0
		.amdhsa_user_sgpr_queue_ptr 0
		.amdhsa_user_sgpr_kernarg_segment_ptr 1
		.amdhsa_user_sgpr_dispatch_id 0
		.amdhsa_user_sgpr_flat_scratch_init 0
		.amdhsa_user_sgpr_kernarg_preload_length 0
		.amdhsa_user_sgpr_kernarg_preload_offset 0
		.amdhsa_user_sgpr_private_segment_size 0
		.amdhsa_uses_dynamic_stack 0
		.amdhsa_system_sgpr_private_segment_wavefront_offset 0
		.amdhsa_system_sgpr_workgroup_id_x 1
		.amdhsa_system_sgpr_workgroup_id_y 1
		.amdhsa_system_sgpr_workgroup_id_z 0
		.amdhsa_system_sgpr_workgroup_info 0
		.amdhsa_system_vgpr_workitem_id 0
		.amdhsa_next_free_vgpr 28
		.amdhsa_next_free_sgpr 38
		.amdhsa_accum_offset 28
		.amdhsa_reserve_vcc 1
		.amdhsa_reserve_flat_scratch 0
		.amdhsa_float_round_mode_32 0
		.amdhsa_float_round_mode_16_64 0
		.amdhsa_float_denorm_mode_32 3
		.amdhsa_float_denorm_mode_16_64 3
		.amdhsa_dx10_clamp 1
		.amdhsa_ieee_mode 1
		.amdhsa_fp16_overflow 0
		.amdhsa_tg_split 0
		.amdhsa_exception_fp_ieee_invalid_op 0
		.amdhsa_exception_fp_denorm_src 0
		.amdhsa_exception_fp_ieee_div_zero 0
		.amdhsa_exception_fp_ieee_overflow 0
		.amdhsa_exception_fp_ieee_underflow 0
		.amdhsa_exception_fp_ieee_inexact 0
		.amdhsa_exception_int_div_zero 0
	.end_amdhsa_kernel
	.section	.text._ZN9rocsolver6v33100L17bdsqr_lower2upperI19rocblas_complex_numIdEdPS3_PKS4_EEviiiPT0_lS8_lT1_iilT2_iilPiS8_lSB_,"axG",@progbits,_ZN9rocsolver6v33100L17bdsqr_lower2upperI19rocblas_complex_numIdEdPS3_PKS4_EEviiiPT0_lS8_lT1_iilT2_iilPiS8_lSB_,comdat
.Lfunc_end224:
	.size	_ZN9rocsolver6v33100L17bdsqr_lower2upperI19rocblas_complex_numIdEdPS3_PKS4_EEviiiPT0_lS8_lT1_iilT2_iilPiS8_lSB_, .Lfunc_end224-_ZN9rocsolver6v33100L17bdsqr_lower2upperI19rocblas_complex_numIdEdPS3_PKS4_EEviiiPT0_lS8_lT1_iilT2_iilPiS8_lSB_
                                        ; -- End function
	.section	.AMDGPU.csdata,"",@progbits
; Kernel info:
; codeLenInByte = 2120
; NumSgprs: 42
; NumVgprs: 28
; NumAgprs: 0
; TotalNumVgprs: 28
; ScratchSize: 0
; MemoryBound: 0
; FloatMode: 240
; IeeeMode: 1
; LDSByteSize: 0 bytes/workgroup (compile time only)
; SGPRBlocks: 5
; VGPRBlocks: 3
; NumSGPRsForWavesPerEU: 42
; NumVGPRsForWavesPerEU: 28
; AccumOffset: 28
; Occupancy: 8
; WaveLimiterHint : 0
; COMPUTE_PGM_RSRC2:SCRATCH_EN: 0
; COMPUTE_PGM_RSRC2:USER_SGPR: 6
; COMPUTE_PGM_RSRC2:TRAP_HANDLER: 0
; COMPUTE_PGM_RSRC2:TGID_X_EN: 1
; COMPUTE_PGM_RSRC2:TGID_Y_EN: 1
; COMPUTE_PGM_RSRC2:TGID_Z_EN: 0
; COMPUTE_PGM_RSRC2:TIDIG_COMP_CNT: 0
; COMPUTE_PGM_RSRC3_GFX90A:ACCUM_OFFSET: 6
; COMPUTE_PGM_RSRC3_GFX90A:TG_SPLIT: 0
	.section	.text._ZN9rocsolver6v33100L13bdsqr_computeILi256E19rocblas_complex_numIdEdPKPS3_S4_S6_EEviiiiPT1_lS8_lT2_iilT3_iilT4_iiliS7_S7_S7_S7_PiS8_ilSC_,"axG",@progbits,_ZN9rocsolver6v33100L13bdsqr_computeILi256E19rocblas_complex_numIdEdPKPS3_S4_S6_EEviiiiPT1_lS8_lT2_iilT3_iilT4_iiliS7_S7_S7_S7_PiS8_ilSC_,comdat
	.globl	_ZN9rocsolver6v33100L13bdsqr_computeILi256E19rocblas_complex_numIdEdPKPS3_S4_S6_EEviiiiPT1_lS8_lT2_iilT3_iilT4_iiliS7_S7_S7_S7_PiS8_ilSC_ ; -- Begin function _ZN9rocsolver6v33100L13bdsqr_computeILi256E19rocblas_complex_numIdEdPKPS3_S4_S6_EEviiiiPT1_lS8_lT2_iilT3_iilT4_iiliS7_S7_S7_S7_PiS8_ilSC_
	.p2align	8
	.type	_ZN9rocsolver6v33100L13bdsqr_computeILi256E19rocblas_complex_numIdEdPKPS3_S4_S6_EEviiiiPT1_lS8_lT2_iilT3_iilT4_iiliS7_S7_S7_S7_PiS8_ilSC_,@function
_ZN9rocsolver6v33100L13bdsqr_computeILi256E19rocblas_complex_numIdEdPKPS3_S4_S6_EEviiiiPT1_lS8_lT2_iilT3_iilT4_iiliS7_S7_S7_S7_PiS8_ilSC_: ; @_ZN9rocsolver6v33100L13bdsqr_computeILi256E19rocblas_complex_numIdEdPKPS3_S4_S6_EEviiiiPT1_lS8_lT2_iilT3_iilT4_iiliS7_S7_S7_S7_PiS8_ilSC_
; %bb.0:
	s_load_dwordx4 s[0:3], s[4:5], 0xb8
	s_ashr_i32 s9, s8, 31
	s_lshl_b64 s[10:11], s[8:9], 2
	s_waitcnt lgkmcnt(0)
	s_add_u32 s2, s2, s10
	s_addc_u32 s3, s3, s11
	s_load_dword s2, s[2:3], 0x8
	s_waitcnt lgkmcnt(0)
	s_cmp_lg_u32 s2, 0
	s_cbranch_scc1 .LBB225_179
; %bb.1:
	s_load_dwordx4 s[44:47], s[4:5], 0x30
	s_mov_b64 s[52:53], 0
	s_mov_b64 s[34:35], 0
	s_waitcnt lgkmcnt(0)
	s_cmp_eq_u64 s[44:45], 0
	s_cbranch_scc1 .LBB225_3
; %bb.2:
	s_lshl_b64 s[2:3], s[8:9], 3
	s_add_u32 s2, s44, s2
	s_addc_u32 s3, s45, s3
	s_load_dwordx2 s[2:3], s[2:3], 0x0
	s_ashr_i32 s11, s46, 31
	s_mov_b32 s10, s46
	s_lshl_b64 s[10:11], s[10:11], 4
	s_waitcnt lgkmcnt(0)
	s_add_u32 s34, s2, s10
	s_addc_u32 s35, s3, s11
.LBB225_3:
	s_load_dwordx8 s[20:27], s[4:5], 0x48
	s_waitcnt lgkmcnt(0)
	s_cmp_eq_u64 s[20:21], 0
	s_cbranch_scc1 .LBB225_5
; %bb.4:
	s_mul_i32 s6, s8, s25
	s_mul_hi_u32 s10, s8, s24
	s_add_i32 s6, s10, s6
	s_mul_i32 s10, s9, s24
	s_add_i32 s11, s6, s10
	s_mul_i32 s10, s8, s24
	s_ashr_i32 s3, s22, 31
	s_lshl_b64 s[10:11], s[10:11], 4
	s_mov_b32 s2, s22
	s_add_u32 s6, s20, s10
	s_addc_u32 s10, s21, s11
	s_lshl_b64 s[2:3], s[2:3], 4
	s_add_u32 s52, s6, s2
	s_addc_u32 s53, s10, s3
.LBB225_5:
	s_load_dwordx2 s[20:21], s[4:5], 0x68
	s_cmp_eq_u64 s[26:27], 0
	s_mov_b64 s[44:45], 0
	s_cbranch_scc1 .LBB225_7
; %bb.6:
	s_lshl_b64 s[2:3], s[8:9], 3
	s_add_u32 s2, s26, s2
	s_addc_u32 s3, s27, s3
	s_load_dwordx2 s[2:3], s[2:3], 0x0
	s_waitcnt lgkmcnt(0)
	s_ashr_i32 s11, s20, 31
	s_mov_b32 s10, s20
	s_lshl_b64 s[10:11], s[10:11], 4
	s_add_u32 s44, s2, s10
	s_addc_u32 s45, s3, s11
.LBB225_7:
	s_load_dwordx8 s[24:31], s[4:5], 0x90
	s_mul_i32 s1, s8, s1
	s_mul_hi_u32 s2, s8, s0
	s_add_i32 s1, s2, s1
	s_mul_i32 s2, s9, s0
	s_add_i32 s1, s1, s2
	s_mul_i32 s0, s8, s0
	s_lshl_b64 s[12:13], s[0:1], 3
	s_waitcnt lgkmcnt(0)
	s_add_u32 s54, s30, s12
	s_addc_u32 s55, s31, s13
	s_load_dwordx2 s[0:1], s[54:55], 0x10
	s_waitcnt lgkmcnt(0)
	v_cvt_i32_f64_e32 v1, s[0:1]
	v_cmp_ge_i32_e32 vcc, s7, v1
	s_cbranch_vccnz .LBB225_179
; %bb.8:
	s_load_dwordx4 s[48:51], s[4:5], 0x0
	s_load_dwordx8 s[36:43], s[4:5], 0x10
                                        ; implicit-def: $vgpr44 : SGPR spill to VGPR lane
	v_lshlrev_b32_e32 v18, 3, v0
	v_mul_lo_u32 v23, v0, s47
	v_mul_lo_u32 v25, v0, s21
	s_waitcnt lgkmcnt(0)
	s_mul_i32 s0, s8, s48
	s_lshl_b32 s0, s0, 1
	s_ashr_i32 s1, s0, 31
	s_lshl_b64 s[0:1], s[0:1], 2
	s_mul_i32 s2, s8, s39
	s_mul_hi_u32 s3, s8, s38
	s_add_u32 s6, s28, s0
	s_addc_u32 s20, s29, s1
	s_add_i32 s0, s3, s2
	s_mul_i32 s1, s9, s38
	s_add_i32 s1, s0, s1
	s_mul_i32 s0, s8, s38
	s_lshl_b64 s[0:1], s[0:1], 3
	s_add_u32 s22, s36, s0
	s_addc_u32 s33, s37, s1
	s_mul_i32 s0, s8, s43
	s_mul_hi_u32 s1, s8, s42
	s_add_i32 s0, s1, s0
	s_mul_i32 s1, s9, s42
	s_add_i32 s1, s0, s1
	s_mul_i32 s0, s8, s42
	v_writelane_b32 v44, s0, 0
	s_lshl_b64 s[8:9], s[0:1], 3
	s_add_u32 s46, s40, s8
	s_addc_u32 s48, s41, s9
	s_cmp_lg_u32 s49, 0
	s_cselect_b64 s[36:37], -1, 0
	s_or_b32 s10, s51, s50
	s_cmp_eq_u32 s10, 0
	s_cselect_b64 s[60:61], -1, 0
	s_cmp_lg_u64 s[34:35], 0
	s_cselect_b64 s[10:11], -1, 0
	v_writelane_b32 v44, s1, 1
	s_and_b64 s[10:11], s[36:37], s[10:11]
	v_writelane_b32 v44, s10, 2
	v_writelane_b32 v44, s11, 3
	v_cmp_gt_i32_e64 s[10:11], s49, v0
	v_writelane_b32 v44, s10, 4
	v_writelane_b32 v44, s11, 5
	s_add_u32 s10, s4, 0xc8
	s_addc_u32 s11, s5, 0
	v_writelane_b32 v44, s10, 6
	s_cmp_lg_u64 s[52:53], 0
	v_writelane_b32 v44, s11, 7
	s_cselect_b64 s[10:11], -1, 0
	s_cmp_lg_u32 s50, 0
	s_cselect_b64 s[14:15], -1, 0
	s_and_b64 s[10:11], s[14:15], s[10:11]
	v_writelane_b32 v44, s10, 8
	v_writelane_b32 v44, s11, 9
	v_cmp_gt_i32_e64 s[10:11], s50, v0
	v_writelane_b32 v44, s10, 10
	s_cmp_lg_u64 s[44:45], 0
	v_writelane_b32 v44, s11, 11
	s_cselect_b64 s[10:11], -1, 0
	s_cmp_lg_u32 s51, 0
	s_cselect_b64 s[14:15], -1, 0
	s_and_b64 s[10:11], s[14:15], s[10:11]
	v_writelane_b32 v44, s10, 12
	v_writelane_b32 v44, s11, 13
	v_cmp_gt_i32_e64 s[10:11], s51, v0
	v_writelane_b32 v44, s10, 14
	v_writelane_b32 v44, s11, 15
	s_add_u32 s10, s22, -8
	v_writelane_b32 v44, s10, 16
	s_addc_u32 s10, s33, -1
	v_writelane_b32 v44, s10, 17
	s_add_u32 s10, s30, s12
	s_addc_u32 s11, s31, s13
	v_writelane_b32 v44, s10, 18
	s_add_u32 s10, s10, 24
	v_writelane_b32 v44, s10, 19
	v_writelane_b32 v44, s11, 20
	s_addc_u32 s10, s11, 0
	v_writelane_b32 v44, s10, 21
	s_load_dword s10, s[4:5], 0x78
	s_load_dwordx2 s[14:15], s[4:5], 0x80
	s_load_dword s11, s[4:5], 0xb0
	s_add_u32 s12, s40, -8
	s_addc_u32 s13, s41, -1
	v_mov_b32_e32 v2, s33
	s_waitcnt lgkmcnt(0)
	v_writelane_b32 v44, s14, 22
	v_writelane_b32 v44, s15, 23
	;; [unrolled: 1-line block ×3, first 2 shown]
	s_load_dword s11, s[4:5], 0xcc
	v_add_co_u32_e32 v19, vcc, s22, v18
	v_addc_co_u32_e32 v20, vcc, 0, v2, vcc
	v_writelane_b32 v44, s12, 25
	s_add_u32 s4, s12, s8
	s_movk_i32 s0, 0x80
	v_mov_b32_e32 v2, s48
	v_add_co_u32_e32 v21, vcc, s46, v18
	v_writelane_b32 v44, s4, 26
	s_mov_b32 s40, 0
	v_cmp_gt_u32_e64 s[0:1], s0, v0
	v_cmp_gt_u32_e64 s[2:3], 64, v0
	v_cmp_eq_u32_e64 s[16:17], 0, v0
	v_mov_b32_e32 v6, 0
	v_addc_co_u32_e32 v22, vcc, 0, v2, vcc
	v_writelane_b32 v44, s13, 27
	s_addc_u32 s4, s13, s9
	v_add_u32_e32 v24, -1, v23
	v_add_u32_e32 v26, -1, v25
	s_brev_b32 s41, 8
	v_mov_b32_e32 v27, 0x260
	v_mov_b32_e32 v28, 1
	v_writelane_b32 v44, s4, 28
	s_branch .LBB225_11
.LBB225_9:                              ;   in Loop: Header=BB225_11 Depth=1
	s_or_b64 exec, exec, s[12:13]
.LBB225_10:                             ;   in Loop: Header=BB225_11 Depth=1
	s_waitcnt lgkmcnt(0)
	s_add_i32 s7, s11, s7
	v_cmp_lt_i32_e32 vcc, s7, v1
	s_cbranch_vccz .LBB225_179
.LBB225_11:                             ; =>This Loop Header: Depth=1
                                        ;     Child Loop BB225_15 Depth 2
                                        ;     Child Loop BB225_40 Depth 2
	;; [unrolled: 1-line block ×5, first 2 shown]
                                        ;       Child Loop BB225_162 Depth 3
                                        ;     Child Loop BB225_168 Depth 2
                                        ;       Child Loop BB225_170 Depth 3
                                        ;     Child Loop BB225_176 Depth 2
                                        ;       Child Loop BB225_178 Depth 3
	s_lshl_b32 s4, s7, 2
	s_ashr_i32 s5, s4, 31
	s_lshl_b64 s[4:5], s[4:5], 2
	s_add_u32 s12, s6, s4
	s_addc_u32 s13, s20, s5
	global_load_dwordx2 v[2:3], v6, s[12:13] offset:4
	s_waitcnt vmcnt(0)
	v_readfirstlane_b32 s66, v2
	v_readfirstlane_b32 s64, v3
	s_cmp_le_i32 s64, s66
	s_cbranch_scc1 .LBB225_10
; %bb.12:                               ;   in Loop: Header=BB225_11 Depth=1
	global_load_dword v2, v6, s[12:13] offset:12
	s_waitcnt vmcnt(0)
	v_cmp_le_i32_e32 vcc, s10, v2
	s_cbranch_vccnz .LBB225_10
; %bb.13:                               ;   in Loop: Header=BB225_11 Depth=1
	s_sub_i32 s62, s64, s66
	s_ashr_i32 s67, s66, 31
	v_cmp_ge_i32_e32 vcc, s62, v0
	v_pk_mov_b32 v[2:3], 0, 0
	s_and_saveexec_b64 s[4:5], vcc
	s_cbranch_execz .LBB225_17
; %bb.14:                               ;   in Loop: Header=BB225_11 Depth=1
	s_lshl_b64 s[8:9], s[66:67], 3
	v_mov_b32_e32 v2, s9
	v_add_co_u32_e32 v4, vcc, s8, v19
	v_addc_co_u32_e32 v5, vcc, v20, v2, vcc
	s_mov_b64 s[14:15], 0
	v_pk_mov_b32 v[2:3], 0, 0
	v_mov_b32_e32 v7, v0
.LBB225_15:                             ;   Parent Loop BB225_11 Depth=1
                                        ; =>  This Inner Loop Header: Depth=2
	global_load_dwordx2 v[8:9], v[4:5], off
	v_add_co_u32_e32 v4, vcc, 0x800, v4
	v_add_u32_e32 v7, 0x100, v7
	v_addc_co_u32_e32 v5, vcc, 0, v5, vcc
	v_cmp_lt_i32_e32 vcc, s62, v7
	s_or_b64 s[14:15], vcc, s[14:15]
	s_waitcnt vmcnt(0)
	v_and_b32_e32 v10, 0x7fffffff, v9
	v_cmp_lt_f64_e64 vcc, v[2:3], |v[8:9]|
	v_cndmask_b32_e32 v3, v3, v10, vcc
	v_cndmask_b32_e32 v2, v2, v8, vcc
	s_andn2_b64 exec, exec, s[14:15]
	s_cbranch_execnz .LBB225_15
; %bb.16:                               ;   in Loop: Header=BB225_11 Depth=1
	s_or_b64 exec, exec, s[14:15]
.LBB225_17:                             ;   in Loop: Header=BB225_11 Depth=1
	s_or_b64 exec, exec, s[4:5]
	s_cmp_lt_i32 s62, 1
	ds_write_b64 v18, v[2:3]
	s_waitcnt lgkmcnt(0)
	s_barrier
	s_cbranch_scc1 .LBB225_38
; %bb.18:                               ;   in Loop: Header=BB225_11 Depth=1
	s_and_saveexec_b64 s[4:5], s[0:1]
	s_cbranch_execz .LBB225_22
; %bb.19:                               ;   in Loop: Header=BB225_11 Depth=1
	ds_read_b64 v[4:5], v18 offset:1024
	s_waitcnt lgkmcnt(0)
	v_cmp_lt_f64_e32 vcc, v[2:3], v[4:5]
	s_and_saveexec_b64 s[14:15], vcc
	s_cbranch_execz .LBB225_21
; %bb.20:                               ;   in Loop: Header=BB225_11 Depth=1
	v_pk_mov_b32 v[2:3], v[4:5], v[4:5] op_sel:[0,1]
	ds_write_b64 v18, v[4:5]
.LBB225_21:                             ;   in Loop: Header=BB225_11 Depth=1
	s_or_b64 exec, exec, s[14:15]
.LBB225_22:                             ;   in Loop: Header=BB225_11 Depth=1
	s_or_b64 exec, exec, s[4:5]
	s_waitcnt lgkmcnt(0)
	s_barrier
	s_and_saveexec_b64 s[4:5], s[2:3]
	s_cbranch_execz .LBB225_37
; %bb.23:                               ;   in Loop: Header=BB225_11 Depth=1
	ds_read_b64 v[4:5], v18 offset:512
	s_waitcnt lgkmcnt(0)
	v_cmp_lt_f64_e32 vcc, v[2:3], v[4:5]
	s_and_saveexec_b64 s[14:15], vcc
	s_cbranch_execz .LBB225_25
; %bb.24:                               ;   in Loop: Header=BB225_11 Depth=1
	v_pk_mov_b32 v[2:3], v[4:5], v[4:5] op_sel:[0,1]
	ds_write_b64 v18, v[4:5]
.LBB225_25:                             ;   in Loop: Header=BB225_11 Depth=1
	s_or_b64 exec, exec, s[14:15]
	ds_read_b64 v[4:5], v18 offset:256
	s_waitcnt lgkmcnt(0)
	v_cmp_lt_f64_e32 vcc, v[2:3], v[4:5]
	s_and_saveexec_b64 s[14:15], vcc
	s_cbranch_execz .LBB225_27
; %bb.26:                               ;   in Loop: Header=BB225_11 Depth=1
	v_pk_mov_b32 v[2:3], v[4:5], v[4:5] op_sel:[0,1]
	ds_write_b64 v18, v[4:5]
.LBB225_27:                             ;   in Loop: Header=BB225_11 Depth=1
	s_or_b64 exec, exec, s[14:15]
	;; [unrolled: 10-line block ×6, first 2 shown]
	ds_read_b64 v[4:5], v18 offset:8
	s_waitcnt lgkmcnt(0)
	v_cmp_lt_f64_e32 vcc, v[2:3], v[4:5]
	s_and_b64 exec, exec, vcc
	s_cbranch_execz .LBB225_37
; %bb.36:                               ;   in Loop: Header=BB225_11 Depth=1
	ds_write_b64 v18, v[4:5]
.LBB225_37:                             ;   in Loop: Header=BB225_11 Depth=1
	s_or_b64 exec, exec, s[4:5]
.LBB225_38:                             ;   in Loop: Header=BB225_11 Depth=1
	v_cmp_gt_i32_e32 vcc, s62, v0
	v_pk_mov_b32 v[2:3], 0, 0
	s_waitcnt lgkmcnt(0)
	s_barrier
	s_and_saveexec_b64 s[4:5], vcc
	s_cbranch_execz .LBB225_42
; %bb.39:                               ;   in Loop: Header=BB225_11 Depth=1
	s_lshl_b64 s[8:9], s[66:67], 3
	v_mov_b32_e32 v2, s9
	v_add_co_u32_e32 v4, vcc, s8, v21
	v_addc_co_u32_e32 v5, vcc, v22, v2, vcc
	s_mov_b64 s[14:15], 0
	v_pk_mov_b32 v[2:3], 0, 0
	v_mov_b32_e32 v7, v0
.LBB225_40:                             ;   Parent Loop BB225_11 Depth=1
                                        ; =>  This Inner Loop Header: Depth=2
	global_load_dwordx2 v[8:9], v[4:5], off
	v_add_co_u32_e32 v4, vcc, 0x800, v4
	v_add_u32_e32 v7, 0x100, v7
	v_addc_co_u32_e32 v5, vcc, 0, v5, vcc
	v_cmp_le_i32_e32 vcc, s62, v7
	s_or_b64 s[14:15], vcc, s[14:15]
	s_waitcnt vmcnt(0)
	v_and_b32_e32 v10, 0x7fffffff, v9
	v_cmp_lt_f64_e64 vcc, v[2:3], |v[8:9]|
	v_cndmask_b32_e32 v3, v3, v10, vcc
	v_cndmask_b32_e32 v2, v2, v8, vcc
	s_andn2_b64 exec, exec, s[14:15]
	s_cbranch_execnz .LBB225_40
; %bb.41:                               ;   in Loop: Header=BB225_11 Depth=1
	s_or_b64 exec, exec, s[14:15]
.LBB225_42:                             ;   in Loop: Header=BB225_11 Depth=1
	s_or_b64 exec, exec, s[4:5]
	s_cmp_lt_i32 s62, 2
	ds_write_b64 v18, v[2:3] offset:8
	s_waitcnt lgkmcnt(0)
	s_barrier
	s_cbranch_scc1 .LBB225_63
; %bb.43:                               ;   in Loop: Header=BB225_11 Depth=1
	s_and_saveexec_b64 s[4:5], s[0:1]
	s_cbranch_execz .LBB225_47
; %bb.44:                               ;   in Loop: Header=BB225_11 Depth=1
	ds_read_b64 v[4:5], v18 offset:1032
	s_waitcnt lgkmcnt(0)
	v_cmp_lt_f64_e32 vcc, v[2:3], v[4:5]
	s_and_saveexec_b64 s[14:15], vcc
	s_cbranch_execz .LBB225_46
; %bb.45:                               ;   in Loop: Header=BB225_11 Depth=1
	v_pk_mov_b32 v[2:3], v[4:5], v[4:5] op_sel:[0,1]
	ds_write_b64 v18, v[4:5] offset:8
.LBB225_46:                             ;   in Loop: Header=BB225_11 Depth=1
	s_or_b64 exec, exec, s[14:15]
.LBB225_47:                             ;   in Loop: Header=BB225_11 Depth=1
	s_or_b64 exec, exec, s[4:5]
	s_waitcnt lgkmcnt(0)
	s_barrier
	s_and_saveexec_b64 s[4:5], s[2:3]
	s_cbranch_execz .LBB225_62
; %bb.48:                               ;   in Loop: Header=BB225_11 Depth=1
	ds_read_b64 v[4:5], v18 offset:520
	s_waitcnt lgkmcnt(0)
	v_cmp_lt_f64_e32 vcc, v[2:3], v[4:5]
	s_and_saveexec_b64 s[14:15], vcc
	s_cbranch_execz .LBB225_50
; %bb.49:                               ;   in Loop: Header=BB225_11 Depth=1
	v_pk_mov_b32 v[2:3], v[4:5], v[4:5] op_sel:[0,1]
	ds_write_b64 v18, v[4:5] offset:8
.LBB225_50:                             ;   in Loop: Header=BB225_11 Depth=1
	s_or_b64 exec, exec, s[14:15]
	ds_read_b64 v[4:5], v18 offset:264
	s_waitcnt lgkmcnt(0)
	v_cmp_lt_f64_e32 vcc, v[2:3], v[4:5]
	s_and_saveexec_b64 s[14:15], vcc
	s_cbranch_execz .LBB225_52
; %bb.51:                               ;   in Loop: Header=BB225_11 Depth=1
	v_pk_mov_b32 v[2:3], v[4:5], v[4:5] op_sel:[0,1]
	ds_write_b64 v18, v[4:5] offset:8
.LBB225_52:                             ;   in Loop: Header=BB225_11 Depth=1
	s_or_b64 exec, exec, s[14:15]
	;; [unrolled: 10-line block ×6, first 2 shown]
	ds_read_b64 v[4:5], v18 offset:16
	s_waitcnt lgkmcnt(0)
	v_cmp_lt_f64_e32 vcc, v[2:3], v[4:5]
	s_and_b64 exec, exec, vcc
	s_cbranch_execz .LBB225_62
; %bb.61:                               ;   in Loop: Header=BB225_11 Depth=1
	ds_write_b64 v18, v[4:5] offset:8
.LBB225_62:                             ;   in Loop: Header=BB225_11 Depth=1
	s_or_b64 exec, exec, s[4:5]
.LBB225_63:                             ;   in Loop: Header=BB225_11 Depth=1
	s_lshl_b64 s[68:69], s[66:67], 3
	s_add_u32 s8, s46, s68
	s_addc_u32 s9, s48, s69
	s_add_u32 s14, s22, s68
	s_addc_u32 s15, s33, s69
	s_waitcnt lgkmcnt(0)
	s_barrier
	s_and_saveexec_b64 s[70:71], s[16:17]
	s_cbranch_execz .LBB225_78
; %bb.64:                               ;   in Loop: Header=BB225_11 Depth=1
	s_ashr_i32 s65, s64, 31
	s_lshl_b64 s[4:5], s[64:65], 3
	s_add_u32 s4, s22, s4
	s_addc_u32 s5, s33, s5
	global_load_dwordx2 v[2:3], v6, s[14:15]
	global_load_dwordx2 v[4:5], v6, s[4:5]
	s_ashr_i32 s63, s62, 31
	s_lshl_b64 s[4:5], s[62:63], 3
	s_add_u32 s28, s14, s4
	s_addc_u32 s29, s15, s5
	s_waitcnt vmcnt(0)
	v_cmp_ge_f64_e64 s[4:5], |v[2:3]|, |v[4:5]|
	s_and_b64 s[18:19], s[4:5], exec
	s_cselect_b32 s19, s15, s29
	s_cselect_b32 s18, s14, s28
	global_load_dwordx2 v[8:9], v6, s[18:19]
	v_cndmask_b32_e64 v7, 0, 1, s[4:5]
	s_cmp_lt_i32 s62, 1
	ds_write_b32 v6, v7 offset:2064
	s_waitcnt vmcnt(0)
	v_and_b32_e32 v9, 0x7fffffff, v9
	s_cbranch_scc1 .LBB225_71
; %bb.65:                               ;   in Loop: Header=BB225_11 Depth=1
	s_not_b32 s18, s66
	s_add_i32 s18, s18, s64
	s_mov_b32 s19, 0
	v_pk_mov_b32 v[10:11], v[8:9], v[8:9] op_sel:[0,1]
	s_branch .LBB225_67
.LBB225_66:                             ;   in Loop: Header=BB225_67 Depth=2
	s_add_i32 s19, s19, 1
	s_and_b64 s[28:29], s[4:5], exec
	s_cselect_b32 s28, s19, s18
	s_ashr_i32 s29, s28, 31
	s_lshl_b64 s[28:29], s[28:29], 3
	s_add_u32 s28, s14, s28
	s_addc_u32 s29, s15, s29
	global_load_dwordx2 v[14:15], v6, s[28:29]
	v_add_f64 v[12:13], v[10:11], |v[12:13]|
	v_div_scale_f64 v[16:17], s[28:29], v[12:13], v[12:13], v[10:11]
	v_rcp_f64_e32 v[30:31], v[16:17]
	v_div_scale_f64 v[32:33], vcc, v[10:11], v[12:13], v[10:11]
	s_add_i32 s18, s18, -1
	v_fma_f64 v[34:35], -v[16:17], v[30:31], 1.0
	v_fmac_f64_e32 v[30:31], v[30:31], v[34:35]
	v_fma_f64 v[34:35], -v[16:17], v[30:31], 1.0
	v_fmac_f64_e32 v[30:31], v[30:31], v[34:35]
	v_mul_f64 v[34:35], v[32:33], v[30:31]
	v_fma_f64 v[16:17], -v[16:17], v[34:35], v[32:33]
	v_div_fmas_f64 v[16:17], v[16:17], v[30:31], v[34:35]
	v_div_fixup_f64 v[10:11], v[16:17], v[12:13], v[10:11]
	s_cmp_eq_u32 s18, -1
	s_mov_b64 s[38:39], 0
	s_cselect_b64 s[72:73], -1, 0
	s_waitcnt vmcnt(0)
	v_mul_f64 v[10:11], v[10:11], |v[14:15]|
	v_cmp_lt_f64_e32 vcc, v[10:11], v[8:9]
	v_cndmask_b32_e32 v9, v9, v11, vcc
	v_cndmask_b32_e32 v8, v8, v10, vcc
	s_andn2_b64 vcc, exec, s[72:73]
	s_cbranch_vccz .LBB225_69
.LBB225_67:                             ;   Parent Loop BB225_11 Depth=1
                                        ; =>  This Inner Loop Header: Depth=2
	s_and_b64 s[28:29], s[4:5], exec
	s_cselect_b32 s28, s19, s18
	s_ashr_i32 s29, s28, 31
	s_lshl_b64 s[28:29], s[28:29], 3
	s_add_u32 s30, s8, s28
	s_addc_u32 s31, s9, s29
	global_load_dwordx2 v[12:13], v6, s[30:31]
	v_mul_f64 v[14:15], v[10:11], s[24:25]
	s_waitcnt vmcnt(0)
	v_cmp_nle_f64_e64 s[28:29], |v[12:13]|, v[14:15]
	s_and_b64 vcc, exec, s[28:29]
	s_cbranch_vccnz .LBB225_66
; %bb.68:                               ;   in Loop: Header=BB225_11 Depth=1
	s_mov_b64 s[38:39], -1
                                        ; implicit-def: $vgpr10_vgpr11
                                        ; implicit-def: $sgpr18
                                        ; implicit-def: $sgpr19
                                        ; implicit-def: $vgpr8_vgpr9
.LBB225_69:                             ;   in Loop: Header=BB225_11 Depth=1
	s_and_b64 vcc, exec, s[38:39]
	s_cbranch_vccz .LBB225_71
; %bb.70:                               ;   in Loop: Header=BB225_11 Depth=1
	v_mov_b32_e32 v8, 0
	v_mov_b32_e32 v7, v6
	;; [unrolled: 1-line block ×3, first 2 shown]
	global_store_dwordx2 v6, v[6:7], s[30:31]
.LBB225_71:                             ;   in Loop: Header=BB225_11 Depth=1
	v_cmp_nle_f64_e32 vcc, 0, v[8:9]
	v_and_b32_e32 v3, 0x7fffffff, v3
	v_and_b32_e32 v5, 0x7fffffff, v5
	ds_write_b64 v6, v[8:9] offset:2056
	ds_write_b8 v6, v6 offset:2068
	s_cbranch_vccnz .LBB225_78
; %bb.72:                               ;   in Loop: Header=BB225_11 Depth=1
	ds_read_b128 v[10:13], v6
	s_mov_b64 s[30:31], -1
	s_waitcnt lgkmcnt(0)
	v_cmp_lt_f64_e32 vcc, v[10:11], v[12:13]
	v_cndmask_b32_e32 v11, v11, v13, vcc
	v_cndmask_b32_e32 v10, v10, v12, vcc
	v_div_scale_f64 v[12:13], s[18:19], v[10:11], v[10:11], v[8:9]
	v_rcp_f64_e32 v[14:15], v[12:13]
	v_div_scale_f64 v[16:17], vcc, v[8:9], v[10:11], v[8:9]
	v_fma_f64 v[30:31], -v[12:13], v[14:15], 1.0
	v_fmac_f64_e32 v[14:15], v[14:15], v[30:31]
	v_fma_f64 v[30:31], -v[12:13], v[14:15], 1.0
	v_fmac_f64_e32 v[14:15], v[14:15], v[30:31]
	v_mul_f64 v[30:31], v[16:17], v[14:15]
	v_fma_f64 v[12:13], -v[12:13], v[30:31], v[16:17]
	v_div_fmas_f64 v[12:13], v[12:13], v[14:15], v[30:31]
	v_div_fixup_f64 v[10:11], v[12:13], v[10:11], v[8:9]
	v_cmp_ge_f64_e32 vcc, s[26:27], v[10:11]
	s_cbranch_vccnz .LBB225_75
; %bb.73:                               ;   in Loop: Header=BB225_11 Depth=1
	v_cndmask_b32_e64 v3, v5, v3, s[4:5]
	v_cndmask_b32_e64 v2, v4, v2, s[4:5]
	v_cmp_lt_f64_e32 vcc, 0, v[2:3]
	s_mov_b64 s[30:31], 0
	s_cbranch_vccz .LBB225_75
; %bb.74:                               ;   in Loop: Header=BB225_11 Depth=1
	v_mul_f64 v[4:5], v[8:9], v[8:9]
	v_div_scale_f64 v[8:9], s[4:5], v[2:3], v[2:3], v[4:5]
	v_rcp_f64_e32 v[10:11], v[8:9]
	v_div_scale_f64 v[12:13], vcc, v[4:5], v[2:3], v[4:5]
	v_fma_f64 v[14:15], -v[8:9], v[10:11], 1.0
	v_fmac_f64_e32 v[10:11], v[10:11], v[14:15]
	v_fma_f64 v[14:15], -v[8:9], v[10:11], 1.0
	v_fmac_f64_e32 v[10:11], v[10:11], v[14:15]
	v_mul_f64 v[14:15], v[12:13], v[10:11]
	v_fma_f64 v[8:9], -v[8:9], v[14:15], v[12:13]
	v_div_fmas_f64 v[8:9], v[8:9], v[10:11], v[14:15]
	v_div_fixup_f64 v[4:5], v[8:9], v[2:3], v[4:5]
	v_div_scale_f64 v[8:9], s[4:5], v[2:3], v[2:3], v[4:5]
	v_rcp_f64_e32 v[10:11], v[8:9]
	v_readlane_b32 s4, v44, 22
	v_readlane_b32 s5, v44, 23
	v_fma_f64 v[12:13], -v[8:9], v[10:11], 1.0
	v_fmac_f64_e32 v[10:11], v[10:11], v[12:13]
	v_fma_f64 v[12:13], -v[8:9], v[10:11], 1.0
	v_fmac_f64_e32 v[10:11], v[10:11], v[12:13]
	v_div_scale_f64 v[12:13], vcc, v[4:5], v[2:3], v[4:5]
	v_mul_f64 v[14:15], v[12:13], v[10:11]
	v_fma_f64 v[8:9], -v[8:9], v[14:15], v[12:13]
	s_nop 1
	v_div_fmas_f64 v[8:9], v[8:9], v[10:11], v[14:15]
	v_div_fixup_f64 v[2:3], v[8:9], v[2:3], v[4:5]
	v_cmp_gt_f64_e64 s[30:31], s[4:5], v[2:3]
.LBB225_75:                             ;   in Loop: Header=BB225_11 Depth=1
	s_and_b64 vcc, exec, s[30:31]
	s_cbranch_vccz .LBB225_77
; %bb.76:                               ;   in Loop: Header=BB225_11 Depth=1
	v_mov_b32_e32 v7, v6
	ds_write_b64 v6, v[6:7] offset:2056
.LBB225_77:                             ;   in Loop: Header=BB225_11 Depth=1
	ds_write_b8 v6, v28 offset:2068
.LBB225_78:                             ;   in Loop: Header=BB225_11 Depth=1
	s_or_b64 exec, exec, s[70:71]
	s_waitcnt lgkmcnt(0)
	s_barrier
	ds_read_u8 v2, v6 offset:2068
	s_mov_b64 s[4:5], -1
	s_waitcnt lgkmcnt(0)
	v_cmp_eq_u32_e32 vcc, 0, v2
	s_cbranch_vccz .LBB225_82
; %bb.79:                               ;   in Loop: Header=BB225_11 Depth=1
	s_and_saveexec_b64 s[4:5], s[16:17]
	s_cbranch_execz .LBB225_81
; %bb.80:                               ;   in Loop: Header=BB225_11 Depth=1
	global_store_dword v6, v6, s[12:13]
.LBB225_81:                             ;   in Loop: Header=BB225_11 Depth=1
	s_or_b64 exec, exec, s[4:5]
	s_mov_b64 s[4:5], 0
.LBB225_82:                             ;   in Loop: Header=BB225_11 Depth=1
	s_andn2_b64 vcc, exec, s[4:5]
	s_cbranch_vccnz .LBB225_10
; %bb.83:                               ;   in Loop: Header=BB225_11 Depth=1
	ds_read_b32 v2, v6 offset:2064
	s_waitcnt lgkmcnt(0)
	v_readfirstlane_b32 s70, v2
	s_and_saveexec_b64 s[4:5], s[16:17]
	s_cbranch_execz .LBB225_85
; %bb.84:                               ;   in Loop: Header=BB225_11 Depth=1
	s_cmp_eq_u32 s70, 0
	s_cselect_b32 s18, -1, 1
	v_mov_b32_e32 v2, s18
	global_store_dword v6, v2, s[12:13]
.LBB225_85:                             ;   in Loop: Header=BB225_11 Depth=1
	s_or_b64 exec, exec, s[4:5]
	v_readlane_b32 s4, v44, 24
	s_add_i32 s80, s62, 1
	s_mul_i32 s72, s66, s4
	s_sub_i32 s78, 1, s70
	s_ashr_i32 s73, s72, 31
	s_sub_i32 s74, s70, s78
	s_lshl_b32 s12, s80, 1
	s_and_b64 s[4:5], s[36:37], exec
	s_cselect_b32 s63, s12, 0
	s_and_saveexec_b64 s[4:5], s[16:17]
	s_cbranch_execz .LBB225_156
; %bb.86:                               ;   in Loop: Header=BB225_11 Depth=1
	s_cmp_lg_u32 s70, 0
	s_cselect_b64 s[76:77], -1, 0
	s_and_b64 s[12:13], s[76:77], exec
	s_cselect_b32 s86, 0, s62
	s_ashr_i32 s87, s86, 31
	s_lshl_b64 s[12:13], s[86:87], 3
	s_add_u32 s14, s14, s12
	s_addc_u32 s15, s15, s13
	global_load_dwordx2 v[2:3], v6, s[14:15]
	v_pk_mov_b32 v[4:5], 0, 0
	s_waitcnt vmcnt(0)
	v_cmp_eq_f64_e32 vcc, 0, v[2:3]
	s_cbranch_vccnz .LBB225_88
; %bb.87:                               ;   in Loop: Header=BB225_11 Depth=1
	ds_read_b64 v[4:5], v6 offset:2056
	v_cmp_lt_f64_e32 vcc, 0, v[2:3]
	v_cndmask_b32_e64 v7, 0, 1, vcc
	v_cmp_gt_f64_e32 vcc, 0, v[2:3]
	v_subbrev_co_u32_e32 v7, vcc, 0, v7, vcc
	s_waitcnt lgkmcnt(0)
	v_div_scale_f64 v[8:9], s[12:13], v[2:3], v[2:3], v[4:5]
	v_rcp_f64_e32 v[10:11], v[8:9]
	v_add_f64 v[12:13], |v[2:3]|, -v[4:5]
	v_cvt_f64_i32_e32 v[14:15], v7
	v_fma_f64 v[16:17], -v[8:9], v[10:11], 1.0
	v_fmac_f64_e32 v[10:11], v[10:11], v[16:17]
	v_fma_f64 v[16:17], -v[8:9], v[10:11], 1.0
	v_fmac_f64_e32 v[10:11], v[10:11], v[16:17]
	v_div_scale_f64 v[16:17], vcc, v[4:5], v[2:3], v[4:5]
	v_mul_f64 v[30:31], v[16:17], v[10:11]
	v_fma_f64 v[8:9], -v[8:9], v[30:31], v[16:17]
	s_nop 1
	v_div_fmas_f64 v[8:9], v[8:9], v[10:11], v[30:31]
	v_div_fixup_f64 v[4:5], v[8:9], v[2:3], v[4:5]
	v_add_f64 v[4:5], v[4:5], v[14:15]
	v_mul_f64 v[4:5], v[12:13], v[4:5]
.LBB225_88:                             ;   in Loop: Header=BB225_11 Depth=1
	s_cmp_gt_i32 s62, 0
	s_cbranch_scc1 .LBB225_90
; %bb.89:                               ;   in Loop: Header=BB225_11 Depth=1
	s_add_i32 s65, s62, -1
	s_cbranch_execz .LBB225_91
	s_branch .LBB225_155
.LBB225_90:                             ;   in Loop: Header=BB225_11 Depth=1
                                        ; implicit-def: $sgpr65
.LBB225_91:                             ;   in Loop: Header=BB225_11 Depth=1
	s_ashr_i32 s71, s70, 31
	s_sub_u32 s28, 0, s70
	s_subb_u32 s29, 0, s71
	s_add_u32 s82, s86, s70
	s_addc_u32 s83, s87, s71
	s_lshl_b64 s[84:85], s[82:83], 3
	s_add_u32 s88, s8, s84
	s_addc_u32 s89, s9, s85
	global_load_dwordx2 v[8:9], v6, s[88:89] offset:-8
	v_pk_mov_b32 v[12:13], 0, 0
	s_waitcnt vmcnt(0)
	v_cmp_eq_f64_e32 vcc, 0, v[8:9]
	s_cbranch_vccnz .LBB225_95
; %bb.92:                               ;   in Loop: Header=BB225_11 Depth=1
	v_cmp_eq_f64_e32 vcc, 0, v[4:5]
	v_pk_mov_b32 v[10:11], 0, 0
	s_cbranch_vccnz .LBB225_96
; %bb.93:                               ;   in Loop: Header=BB225_11 Depth=1
	v_cmp_gt_f64_e64 s[12:13], |v[8:9]|, |v[4:5]|
	s_and_b64 vcc, exec, s[12:13]
	s_cbranch_vccnz .LBB225_97
; %bb.94:                               ;   in Loop: Header=BB225_11 Depth=1
	v_div_scale_f64 v[10:11], s[12:13], v[4:5], v[4:5], -v[8:9]
	v_rcp_f64_e32 v[12:13], v[10:11]
	v_div_scale_f64 v[14:15], vcc, -v[8:9], v[4:5], -v[8:9]
	v_fma_f64 v[16:17], -v[10:11], v[12:13], 1.0
	v_fmac_f64_e32 v[12:13], v[12:13], v[16:17]
	v_fma_f64 v[16:17], -v[10:11], v[12:13], 1.0
	v_fmac_f64_e32 v[12:13], v[12:13], v[16:17]
	v_mul_f64 v[16:17], v[14:15], v[12:13]
	v_fma_f64 v[10:11], -v[10:11], v[16:17], v[14:15]
	v_div_fmas_f64 v[10:11], v[10:11], v[12:13], v[16:17]
	v_div_fixup_f64 v[12:13], v[10:11], v[4:5], -v[8:9]
	v_fma_f64 v[10:11], v[12:13], v[12:13], 1.0
	v_cmp_gt_f64_e32 vcc, s[40:41], v[10:11]
	v_cndmask_b32_e64 v7, 0, 1, vcc
	v_lshlrev_b32_e32 v7, 8, v7
	v_ldexp_f64 v[10:11], v[10:11], v7
	v_rsq_f64_e32 v[14:15], v[10:11]
	s_and_b64 s[12:13], vcc, exec
	s_cselect_b32 s12, 0xffffff80, 0
	v_cmp_class_f64_e32 vcc, v[10:11], v27
	v_mul_f64 v[16:17], v[10:11], v[14:15]
	v_mul_f64 v[14:15], v[14:15], 0.5
	v_fma_f64 v[30:31], -v[14:15], v[16:17], 0.5
	v_fmac_f64_e32 v[16:17], v[16:17], v[30:31]
	v_fmac_f64_e32 v[14:15], v[14:15], v[30:31]
	v_fma_f64 v[30:31], -v[16:17], v[16:17], v[10:11]
	v_fmac_f64_e32 v[16:17], v[30:31], v[14:15]
	v_fma_f64 v[30:31], -v[16:17], v[16:17], v[10:11]
	v_fmac_f64_e32 v[16:17], v[30:31], v[14:15]
	v_ldexp_f64 v[14:15], v[16:17], s12
	v_cndmask_b32_e32 v11, v15, v11, vcc
	v_cndmask_b32_e32 v10, v14, v10, vcc
	v_div_scale_f64 v[14:15], s[12:13], v[10:11], v[10:11], 1.0
	v_rcp_f64_e32 v[16:17], v[14:15]
	s_mov_b64 s[12:13], 0
	v_fma_f64 v[30:31], -v[14:15], v[16:17], 1.0
	v_fmac_f64_e32 v[16:17], v[16:17], v[30:31]
	v_fma_f64 v[30:31], -v[14:15], v[16:17], 1.0
	v_fmac_f64_e32 v[16:17], v[16:17], v[30:31]
	v_div_scale_f64 v[30:31], vcc, 1.0, v[10:11], 1.0
	v_mul_f64 v[32:33], v[30:31], v[16:17]
	v_fma_f64 v[14:15], -v[14:15], v[32:33], v[30:31]
	s_nop 1
	v_div_fmas_f64 v[14:15], v[14:15], v[16:17], v[32:33]
	v_div_fixup_f64 v[10:11], v[14:15], v[10:11], 1.0
	v_mul_f64 v[12:13], v[12:13], v[10:11]
	s_branch .LBB225_98
.LBB225_95:                             ;   in Loop: Header=BB225_11 Depth=1
	v_mov_b32_e32 v10, 0
	v_mov_b32_e32 v11, 0x3ff00000
	s_branch .LBB225_100
.LBB225_96:                             ;   in Loop: Header=BB225_11 Depth=1
	v_mov_b32_e32 v12, 0
	v_mov_b32_e32 v13, 0x3ff00000
	s_branch .LBB225_100
.LBB225_97:                             ;   in Loop: Header=BB225_11 Depth=1
	s_mov_b64 s[12:13], -1
                                        ; implicit-def: $vgpr10_vgpr11
                                        ; implicit-def: $vgpr12_vgpr13
.LBB225_98:                             ;   in Loop: Header=BB225_11 Depth=1
	s_andn2_b64 vcc, exec, s[12:13]
	s_cbranch_vccnz .LBB225_100
; %bb.99:                               ;   in Loop: Header=BB225_11 Depth=1
	v_div_scale_f64 v[10:11], s[12:13], v[8:9], v[8:9], -v[4:5]
	v_rcp_f64_e32 v[12:13], v[10:11]
	v_div_scale_f64 v[14:15], vcc, -v[4:5], v[8:9], -v[4:5]
	v_fma_f64 v[16:17], -v[10:11], v[12:13], 1.0
	v_fmac_f64_e32 v[12:13], v[12:13], v[16:17]
	v_fma_f64 v[16:17], -v[10:11], v[12:13], 1.0
	v_fmac_f64_e32 v[12:13], v[12:13], v[16:17]
	v_mul_f64 v[16:17], v[14:15], v[12:13]
	v_fma_f64 v[10:11], -v[10:11], v[16:17], v[14:15]
	v_div_fmas_f64 v[10:11], v[10:11], v[12:13], v[16:17]
	v_div_fixup_f64 v[4:5], v[10:11], v[8:9], -v[4:5]
	v_fma_f64 v[10:11], v[4:5], v[4:5], 1.0
	v_cmp_gt_f64_e32 vcc, s[40:41], v[10:11]
	v_cndmask_b32_e64 v7, 0, 1, vcc
	v_lshlrev_b32_e32 v7, 8, v7
	v_ldexp_f64 v[10:11], v[10:11], v7
	v_rsq_f64_e32 v[12:13], v[10:11]
	s_and_b64 s[12:13], vcc, exec
	s_cselect_b32 s12, 0xffffff80, 0
	v_cmp_class_f64_e32 vcc, v[10:11], v27
	v_mul_f64 v[14:15], v[10:11], v[12:13]
	v_mul_f64 v[12:13], v[12:13], 0.5
	v_fma_f64 v[16:17], -v[12:13], v[14:15], 0.5
	v_fmac_f64_e32 v[14:15], v[14:15], v[16:17]
	v_fmac_f64_e32 v[12:13], v[12:13], v[16:17]
	v_fma_f64 v[16:17], -v[14:15], v[14:15], v[10:11]
	v_fmac_f64_e32 v[14:15], v[16:17], v[12:13]
	v_fma_f64 v[16:17], -v[14:15], v[14:15], v[10:11]
	v_fmac_f64_e32 v[14:15], v[16:17], v[12:13]
	v_ldexp_f64 v[12:13], v[14:15], s12
	v_cndmask_b32_e32 v11, v13, v11, vcc
	v_cndmask_b32_e32 v10, v12, v10, vcc
	v_div_scale_f64 v[12:13], s[12:13], v[10:11], v[10:11], 1.0
	v_rcp_f64_e32 v[14:15], v[12:13]
	v_fma_f64 v[16:17], -v[12:13], v[14:15], 1.0
	v_fmac_f64_e32 v[14:15], v[14:15], v[16:17]
	v_fma_f64 v[16:17], -v[12:13], v[14:15], 1.0
	v_fmac_f64_e32 v[14:15], v[14:15], v[16:17]
	v_div_scale_f64 v[16:17], vcc, 1.0, v[10:11], 1.0
	v_mul_f64 v[30:31], v[16:17], v[14:15]
	v_fma_f64 v[12:13], -v[12:13], v[30:31], v[16:17]
	s_nop 1
	v_div_fmas_f64 v[12:13], v[12:13], v[14:15], v[30:31]
	v_div_fixup_f64 v[12:13], v[12:13], v[10:11], 1.0
	v_mul_f64 v[10:11], v[4:5], v[12:13]
.LBB225_100:                            ;   in Loop: Header=BB225_11 Depth=1
	s_lshl_b64 s[90:91], s[72:73], 3
	s_and_b64 s[38:39], s[36:37], s[76:77]
	s_add_u32 s12, s54, s90
	s_addc_u32 s13, s55, s91
	s_add_u32 s18, s12, 32
	s_addc_u32 s19, s13, 0
	s_sub_u32 s92, s70, s28
	s_subb_u32 s93, s71, s29
	v_mul_f64 v[4:5], v[8:9], v[10:11]
	s_lshl_b64 s[12:13], s[92:93], 3
	v_fmac_f64_e32 v[4:5], v[2:3], v[12:13]
	s_add_u32 s30, s14, s12
	global_store_dwordx2 v6, v[4:5], s[88:89] offset:-8
	s_addc_u32 s31, s15, s13
	global_load_dwordx2 v[14:15], v6, s[30:31] offset:-8
	v_cndmask_b32_e64 v4, 0, 1, s[38:39]
	v_cmp_ne_u32_e64 s[12:13], 1, v4
	s_andn2_b64 vcc, exec, s[38:39]
	s_waitcnt vmcnt(0)
	v_mul_f64 v[4:5], v[10:11], v[14:15]
	global_store_dwordx2 v6, v[4:5], s[30:31] offset:-8
	s_cbranch_vccnz .LBB225_102
; %bb.101:                              ;   in Loop: Header=BB225_11 Depth=1
	s_add_u32 s28, s18, s84
	s_addc_u32 s29, s19, s85
	s_ashr_i32 s81, s80, 31
	s_lshl_b64 s[38:39], s[80:81], 3
	s_add_u32 s38, s28, s38
	s_addc_u32 s39, s29, s39
	global_store_dwordx2 v6, v[10:11], s[28:29] offset:-8
	global_store_dwordx2 v6, v[12:13], s[38:39] offset:-8
.LBB225_102:                            ;   in Loop: Header=BB225_11 Depth=1
	s_cmp_lg_u32 s70, 1
	s_cselect_b64 s[38:39], -1, 0
	s_cmp_eq_u32 s70, 1
	s_cselect_b64 s[28:29], -1, 0
	s_or_b64 s[94:95], s[60:61], s[28:29]
	s_and_b64 vcc, exec, s[94:95]
	s_cbranch_vccnz .LBB225_104
; %bb.103:                              ;   in Loop: Header=BB225_11 Depth=1
	s_ashr_i32 s29, s63, 31
	s_add_u32 s28, s82, s63
	s_addc_u32 s29, s83, s29
	s_lshl_b64 s[28:29], s[28:29], 3
	s_add_u32 s28, s18, s28
	s_addc_u32 s29, s19, s29
	s_ashr_i32 s81, s80, 31
	s_lshl_b64 s[42:43], s[80:81], 3
	s_add_u32 s42, s28, s42
	s_addc_u32 s43, s29, s43
	global_store_dwordx2 v6, v[10:11], s[28:29] offset:-8
	global_store_dwordx2 v6, v[12:13], s[42:43] offset:-8
.LBB225_104:                            ;   in Loop: Header=BB225_11 Depth=1
	v_mul_f64 v[4:5], v[8:9], v[12:13]
	v_fma_f64 v[4:5], v[2:3], v[10:11], -v[4:5]
	v_mul_f64 v[2:3], v[14:15], -v[12:13]
	v_cmp_eq_f64_e32 vcc, 0, v[2:3]
	v_pk_mov_b32 v[10:11], 0, 0
	s_cbranch_vccnz .LBB225_108
; %bb.105:                              ;   in Loop: Header=BB225_11 Depth=1
	v_cmp_eq_f64_e32 vcc, 0, v[4:5]
	s_cbranch_vccnz .LBB225_109
; %bb.106:                              ;   in Loop: Header=BB225_11 Depth=1
	v_cmp_gt_f64_e64 s[28:29], |v[2:3]|, |v[4:5]|
	s_and_b64 vcc, exec, s[28:29]
	s_cbranch_vccnz .LBB225_110
; %bb.107:                              ;   in Loop: Header=BB225_11 Depth=1
	v_div_scale_f64 v[8:9], s[28:29], v[4:5], v[4:5], -v[2:3]
	v_rcp_f64_e32 v[10:11], v[8:9]
	v_div_scale_f64 v[12:13], vcc, -v[2:3], v[4:5], -v[2:3]
	v_fma_f64 v[14:15], -v[8:9], v[10:11], 1.0
	v_fmac_f64_e32 v[10:11], v[10:11], v[14:15]
	v_fma_f64 v[14:15], -v[8:9], v[10:11], 1.0
	v_fmac_f64_e32 v[10:11], v[10:11], v[14:15]
	v_mul_f64 v[14:15], v[12:13], v[10:11]
	v_fma_f64 v[8:9], -v[8:9], v[14:15], v[12:13]
	v_div_fmas_f64 v[8:9], v[8:9], v[10:11], v[14:15]
	v_div_fixup_f64 v[10:11], v[8:9], v[4:5], -v[2:3]
	v_fma_f64 v[8:9], v[10:11], v[10:11], 1.0
	v_cmp_gt_f64_e32 vcc, s[40:41], v[8:9]
	v_cndmask_b32_e64 v7, 0, 1, vcc
	v_lshlrev_b32_e32 v7, 8, v7
	v_ldexp_f64 v[8:9], v[8:9], v7
	v_rsq_f64_e32 v[12:13], v[8:9]
	s_and_b64 s[28:29], vcc, exec
	s_cselect_b32 s28, 0xffffff80, 0
	v_cmp_class_f64_e32 vcc, v[8:9], v27
	v_mul_f64 v[14:15], v[8:9], v[12:13]
	v_mul_f64 v[12:13], v[12:13], 0.5
	v_fma_f64 v[16:17], -v[12:13], v[14:15], 0.5
	v_fmac_f64_e32 v[14:15], v[14:15], v[16:17]
	v_fmac_f64_e32 v[12:13], v[12:13], v[16:17]
	v_fma_f64 v[16:17], -v[14:15], v[14:15], v[8:9]
	v_fmac_f64_e32 v[14:15], v[16:17], v[12:13]
	v_fma_f64 v[16:17], -v[14:15], v[14:15], v[8:9]
	v_fmac_f64_e32 v[14:15], v[16:17], v[12:13]
	v_ldexp_f64 v[12:13], v[14:15], s28
	v_cndmask_b32_e32 v9, v13, v9, vcc
	v_cndmask_b32_e32 v8, v12, v8, vcc
	v_div_scale_f64 v[12:13], s[28:29], v[8:9], v[8:9], 1.0
	v_rcp_f64_e32 v[14:15], v[12:13]
	v_fma_f64 v[16:17], -v[12:13], v[14:15], 1.0
	v_fmac_f64_e32 v[14:15], v[14:15], v[16:17]
	v_fma_f64 v[16:17], -v[12:13], v[14:15], 1.0
	v_fmac_f64_e32 v[14:15], v[14:15], v[16:17]
	v_div_scale_f64 v[16:17], vcc, 1.0, v[8:9], 1.0
	v_mul_f64 v[30:31], v[16:17], v[14:15]
	v_fma_f64 v[12:13], -v[12:13], v[30:31], v[16:17]
	s_nop 1
	v_div_fmas_f64 v[12:13], v[12:13], v[14:15], v[30:31]
	v_div_fixup_f64 v[8:9], v[12:13], v[8:9], 1.0
	v_mul_f64 v[10:11], v[10:11], v[8:9]
	s_mov_b64 vcc, 0
	s_branch .LBB225_111
.LBB225_108:                            ;   in Loop: Header=BB225_11 Depth=1
	v_mov_b32_e32 v8, 0
	v_mov_b32_e32 v9, 0x3ff00000
	s_branch .LBB225_115
.LBB225_109:                            ;   in Loop: Header=BB225_11 Depth=1
                                        ; implicit-def: $vgpr4_vgpr5
                                        ; implicit-def: $vgpr8_vgpr9
                                        ; implicit-def: $vgpr10_vgpr11
	s_cbranch_execnz .LBB225_114
	s_branch .LBB225_115
.LBB225_110:                            ;   in Loop: Header=BB225_11 Depth=1
	s_mov_b64 vcc, -1
                                        ; implicit-def: $vgpr8_vgpr9
                                        ; implicit-def: $vgpr10_vgpr11
.LBB225_111:                            ;   in Loop: Header=BB225_11 Depth=1
	s_andn2_b64 vcc, exec, vcc
	s_cbranch_vccnz .LBB225_113
; %bb.112:                              ;   in Loop: Header=BB225_11 Depth=1
	v_div_scale_f64 v[8:9], s[28:29], v[2:3], v[2:3], -v[4:5]
	v_rcp_f64_e32 v[10:11], v[8:9]
	v_div_scale_f64 v[12:13], vcc, -v[4:5], v[2:3], -v[4:5]
	v_fma_f64 v[14:15], -v[8:9], v[10:11], 1.0
	v_fmac_f64_e32 v[10:11], v[10:11], v[14:15]
	v_fma_f64 v[14:15], -v[8:9], v[10:11], 1.0
	v_fmac_f64_e32 v[10:11], v[10:11], v[14:15]
	v_mul_f64 v[14:15], v[12:13], v[10:11]
	v_fma_f64 v[8:9], -v[8:9], v[14:15], v[12:13]
	v_div_fmas_f64 v[8:9], v[8:9], v[10:11], v[14:15]
	v_div_fixup_f64 v[8:9], v[8:9], v[2:3], -v[4:5]
	v_fma_f64 v[10:11], v[8:9], v[8:9], 1.0
	v_cmp_gt_f64_e32 vcc, s[40:41], v[10:11]
	v_cndmask_b32_e64 v7, 0, 1, vcc
	v_lshlrev_b32_e32 v7, 8, v7
	v_ldexp_f64 v[10:11], v[10:11], v7
	v_rsq_f64_e32 v[12:13], v[10:11]
	s_and_b64 s[28:29], vcc, exec
	s_cselect_b32 s28, 0xffffff80, 0
	v_cmp_class_f64_e32 vcc, v[10:11], v27
	v_mul_f64 v[14:15], v[10:11], v[12:13]
	v_mul_f64 v[12:13], v[12:13], 0.5
	v_fma_f64 v[16:17], -v[12:13], v[14:15], 0.5
	v_fmac_f64_e32 v[14:15], v[14:15], v[16:17]
	v_fmac_f64_e32 v[12:13], v[12:13], v[16:17]
	v_fma_f64 v[16:17], -v[14:15], v[14:15], v[10:11]
	v_fmac_f64_e32 v[14:15], v[16:17], v[12:13]
	v_fma_f64 v[16:17], -v[14:15], v[14:15], v[10:11]
	v_fmac_f64_e32 v[14:15], v[16:17], v[12:13]
	v_ldexp_f64 v[12:13], v[14:15], s28
	v_cndmask_b32_e32 v11, v13, v11, vcc
	v_cndmask_b32_e32 v10, v12, v10, vcc
	v_div_scale_f64 v[12:13], s[28:29], v[10:11], v[10:11], 1.0
	v_rcp_f64_e32 v[14:15], v[12:13]
	v_fma_f64 v[16:17], -v[12:13], v[14:15], 1.0
	v_fmac_f64_e32 v[14:15], v[14:15], v[16:17]
	v_fma_f64 v[16:17], -v[12:13], v[14:15], 1.0
	v_fmac_f64_e32 v[14:15], v[14:15], v[16:17]
	v_div_scale_f64 v[16:17], vcc, 1.0, v[10:11], 1.0
	v_mul_f64 v[30:31], v[16:17], v[14:15]
	v_fma_f64 v[12:13], -v[12:13], v[30:31], v[16:17]
	s_nop 1
	v_div_fmas_f64 v[12:13], v[12:13], v[14:15], v[30:31]
	v_div_fixup_f64 v[10:11], v[12:13], v[10:11], 1.0
	v_mul_f64 v[8:9], v[8:9], v[10:11]
.LBB225_113:                            ;   in Loop: Header=BB225_11 Depth=1
	v_mul_f64 v[12:13], v[2:3], v[10:11]
	v_fma_f64 v[4:5], v[4:5], v[8:9], -v[12:13]
	s_branch .LBB225_115
.LBB225_114:                            ;   in Loop: Header=BB225_11 Depth=1
	v_mov_b32_e32 v10, 0
	v_xor_b32_e32 v5, 0x80000000, v3
	v_mov_b32_e32 v4, v2
	v_pk_mov_b32 v[8:9], 0, 0
	v_mov_b32_e32 v11, 0x3ff00000
.LBB225_115:                            ;   in Loop: Header=BB225_11 Depth=1
	global_store_dwordx2 v6, v[4:5], s[14:15]
	global_load_dwordx2 v[12:13], v6, s[30:31] offset:-8
	s_nop 0
	global_load_dwordx2 v[4:5], v6, s[88:89] offset:-8
	s_cmp_eq_u32 s80, 2
	s_waitcnt vmcnt(1)
	v_mul_f64 v[14:15], v[8:9], v[12:13]
	s_waitcnt vmcnt(0)
	v_fmac_f64_e32 v[14:15], v[10:11], v[4:5]
	global_store_dwordx2 v6, v[14:15], s[30:31] offset:-8
	s_cbranch_scc1 .LBB225_117
; %bb.116:                              ;   in Loop: Header=BB225_11 Depth=1
	s_ashr_i32 s75, s74, 31
	s_lshl_b64 s[14:15], s[74:75], 3
	s_add_u32 s14, s88, s14
	s_addc_u32 s15, s89, s15
	global_load_dwordx2 v[14:15], v6, s[14:15] offset:-8
	s_waitcnt vmcnt(0)
	v_mul_f64 v[2:3], v[14:15], -v[10:11]
	v_mul_f64 v[14:15], v[8:9], v[14:15]
	global_store_dwordx2 v6, v[14:15], s[14:15] offset:-8
.LBB225_117:                            ;   in Loop: Header=BB225_11 Depth=1
	s_and_b64 s[28:29], s[36:37], s[38:39]
	v_cndmask_b32_e64 v7, 0, 1, s[28:29]
	v_cmp_ne_u32_e64 s[14:15], 1, v7
	s_andn2_b64 vcc, exec, s[28:29]
	s_cbranch_vccnz .LBB225_119
; %bb.118:                              ;   in Loop: Header=BB225_11 Depth=1
	s_add_u32 s28, s18, s84
	s_addc_u32 s29, s19, s85
	s_ashr_i32 s81, s80, 31
	s_lshl_b64 s[30:31], s[80:81], 3
	s_add_u32 s30, s28, s30
	s_addc_u32 s31, s29, s31
	global_store_dwordx2 v6, v[8:9], s[28:29] offset:-8
	global_store_dwordx2 v6, v[10:11], s[30:31] offset:-8
.LBB225_119:                            ;   in Loop: Header=BB225_11 Depth=1
	s_xor_b64 s[28:29], s[76:77], -1
	s_or_b64 s[30:31], s[60:61], s[28:29]
	s_and_b64 vcc, exec, s[30:31]
	s_cbranch_vccnz .LBB225_121
; %bb.120:                              ;   in Loop: Header=BB225_11 Depth=1
	s_ashr_i32 s29, s63, 31
	s_add_u32 s28, s82, s63
	s_addc_u32 s29, s83, s29
	s_lshl_b64 s[28:29], s[28:29], 3
	s_add_u32 s18, s18, s28
	s_addc_u32 s19, s19, s29
	s_ashr_i32 s81, s80, 31
	s_lshl_b64 s[28:29], s[80:81], 3
	s_add_u32 s28, s18, s28
	s_addc_u32 s29, s19, s29
	global_store_dwordx2 v6, v[8:9], s[18:19] offset:-8
	global_store_dwordx2 v6, v[10:11], s[28:29] offset:-8
.LBB225_121:                            ;   in Loop: Header=BB225_11 Depth=1
	v_mul_f64 v[10:11], v[10:11], v[12:13]
	v_fma_f64 v[4:5], v[8:9], v[4:5], -v[10:11]
	s_cmp_eq_u32 s62, 1
	s_mov_b32 s65, 0
	s_cbranch_scc1 .LBB225_155
; %bb.122:                              ;   in Loop: Header=BB225_11 Depth=1
	s_xor_b64 s[82:83], s[94:95], -1
	s_xor_b64 s[84:85], s[30:31], -1
	s_add_i32 s18, s86, s74
	s_add_i32 s65, s62, -1
	s_sub_i32 s30, s86, s78
	s_ashr_i32 s31, s63, 31
	s_ashr_i32 s81, s80, 31
	s_lshl_b64 s[38:39], s[70:71], 4
	s_add_u32 s56, s38, s68
	s_addc_u32 s57, s39, s69
	s_ashr_i32 s19, s18, 31
	v_writelane_b32 v44, s60, 29
	s_lshl_b64 s[18:19], s[18:19], 3
	v_writelane_b32 v44, s61, 30
	s_add_u32 s28, s56, s18
	s_addc_u32 s29, s57, s19
	v_readlane_b32 s42, v44, 16
	s_add_u32 s71, s42, s28
	v_readlane_b32 s28, v44, 17
	s_addc_u32 s75, s28, s29
	s_lshl_b32 s28, s70, 1
	s_add_i32 s28, s28, -2
	s_ashr_i32 s29, s28, 31
	s_lshl_b64 s[86:87], s[28:29], 3
	s_or_b32 s86, s86, 8
	s_add_u32 s18, s68, s18
	s_addc_u32 s19, s69, s19
	s_add_u32 s95, s22, s18
	s_addc_u32 s28, s33, s19
	;; [unrolled: 2-line block ×3, first 2 shown]
	s_ashr_i32 s31, s30, 31
	s_add_u32 s18, s18, s30
	s_addc_u32 s19, s19, s31
	s_lshl_b64 s[18:19], s[18:19], 3
	s_add_u32 s42, s18, s90
	s_addc_u32 s43, s19, s91
	s_lshl_b64 s[18:19], s[80:81], 3
	s_add_u32 s29, s42, s18
	s_addc_u32 s58, s43, s19
	v_readlane_b32 s60, v44, 19
	s_add_u32 s29, s60, s29
	v_readlane_b32 s61, v44, 21
	s_addc_u32 s92, s61, s58
	s_add_u32 s93, s60, s42
	s_addc_u32 s42, s61, s43
	s_add_u32 s43, s38, s90
	s_addc_u32 s58, s39, s91
	s_lshl_b64 s[38:39], s[30:31], 3
	s_add_u32 s59, s43, s38
	s_addc_u32 s58, s58, s39
	s_add_u32 s18, s59, s18
	s_addc_u32 s19, s58, s19
	;; [unrolled: 2-line block ×4, first 2 shown]
	v_readlane_b32 s18, v44, 0
	v_readlane_b32 s19, v44, 1
	s_add_u32 s18, s18, s66
	s_addc_u32 s19, s19, s67
	s_add_u32 s18, s18, s30
	s_addc_u32 s19, s19, s31
	s_mul_i32 s60, s70, 24
	s_lshl_b64 s[18:19], s[18:19], 3
	s_mul_hi_i32 s59, s70, 24
	s_add_u32 s30, s60, s18
	s_addc_u32 s31, s59, s19
	s_ashr_i32 s79, s78, 31
	s_lshl_b64 s[18:19], s[78:79], 3
	s_sub_u32 s18, s30, s18
	s_subb_u32 s19, s31, s19
	v_readlane_b32 s30, v44, 25
	s_add_u32 s59, s30, s18
	v_readlane_b32 s18, v44, 27
	s_addc_u32 s60, s18, s19
	s_add_u32 s18, s56, s38
	s_addc_u32 s19, s57, s39
	v_readlane_b32 s30, v44, 26
	s_add_u32 s61, s30, s18
	v_readlane_b32 s18, v44, 28
	s_addc_u32 s18, s18, s19
	s_add_u32 s19, s68, s38
	s_addc_u32 s30, s69, s39
	s_add_u32 s19, s46, s19
	s_mov_b32 s94, 1
	s_addc_u32 s56, s48, s30
	s_mov_b64 s[78:79], 0
	s_branch .LBB225_124
.LBB225_123:                            ;   in Loop: Header=BB225_124 Depth=2
	s_add_i32 s94, s94, 1
	s_add_u32 s78, s78, s86
	v_mul_f64 v[10:11], v[10:11], v[12:13]
	s_addc_u32 s79, s79, s87
	s_cmp_eq_u32 s62, s94
	v_fma_f64 v[4:5], v[8:9], v[4:5], -v[10:11]
	s_cbranch_scc1 .LBB225_154
.LBB225_124:                            ;   Parent Loop BB225_11 Depth=1
                                        ; =>  This Inner Loop Header: Depth=2
	v_cmp_eq_f64_e32 vcc, 0, v[2:3]
	v_pk_mov_b32 v[8:9], 0, 0
	s_cbranch_vccnz .LBB225_128
; %bb.125:                              ;   in Loop: Header=BB225_124 Depth=2
	v_cmp_neq_f64_e32 vcc, 0, v[4:5]
	s_cbranch_vccz .LBB225_129
; %bb.126:                              ;   in Loop: Header=BB225_124 Depth=2
	v_cmp_ngt_f64_e64 s[30:31], |v[2:3]|, |v[4:5]|
	s_and_b64 vcc, exec, s[30:31]
	s_cbranch_vccz .LBB225_130
; %bb.127:                              ;   in Loop: Header=BB225_124 Depth=2
	v_div_scale_f64 v[8:9], s[30:31], v[4:5], v[4:5], -v[2:3]
	v_rcp_f64_e32 v[10:11], v[8:9]
	v_div_scale_f64 v[12:13], vcc, -v[2:3], v[4:5], -v[2:3]
	v_fma_f64 v[14:15], -v[8:9], v[10:11], 1.0
	v_fmac_f64_e32 v[10:11], v[10:11], v[14:15]
	v_fma_f64 v[14:15], -v[8:9], v[10:11], 1.0
	v_fmac_f64_e32 v[10:11], v[10:11], v[14:15]
	v_mul_f64 v[14:15], v[12:13], v[10:11]
	v_fma_f64 v[8:9], -v[8:9], v[14:15], v[12:13]
	v_div_fmas_f64 v[8:9], v[8:9], v[10:11], v[14:15]
	v_div_fixup_f64 v[8:9], v[8:9], v[4:5], -v[2:3]
	v_fma_f64 v[10:11], v[8:9], v[8:9], 1.0
	v_cmp_gt_f64_e32 vcc, s[40:41], v[10:11]
	v_cndmask_b32_e64 v7, 0, 1, vcc
	v_lshlrev_b32_e32 v7, 8, v7
	v_ldexp_f64 v[10:11], v[10:11], v7
	v_rsq_f64_e32 v[12:13], v[10:11]
	s_and_b64 s[30:31], vcc, exec
	s_cselect_b32 s30, 0xffffff80, 0
	v_cmp_class_f64_e32 vcc, v[10:11], v27
	v_mul_f64 v[14:15], v[10:11], v[12:13]
	v_mul_f64 v[12:13], v[12:13], 0.5
	v_fma_f64 v[16:17], -v[12:13], v[14:15], 0.5
	v_fmac_f64_e32 v[14:15], v[14:15], v[16:17]
	v_fmac_f64_e32 v[12:13], v[12:13], v[16:17]
	v_fma_f64 v[16:17], -v[14:15], v[14:15], v[10:11]
	v_fmac_f64_e32 v[14:15], v[16:17], v[12:13]
	v_fma_f64 v[16:17], -v[14:15], v[14:15], v[10:11]
	v_fmac_f64_e32 v[14:15], v[16:17], v[12:13]
	v_ldexp_f64 v[12:13], v[14:15], s30
	v_cndmask_b32_e32 v11, v13, v11, vcc
	v_cndmask_b32_e32 v10, v12, v10, vcc
	v_div_scale_f64 v[12:13], s[30:31], v[10:11], v[10:11], 1.0
	v_rcp_f64_e32 v[14:15], v[12:13]
	v_fma_f64 v[16:17], -v[12:13], v[14:15], 1.0
	v_fmac_f64_e32 v[14:15], v[14:15], v[16:17]
	v_fma_f64 v[16:17], -v[12:13], v[14:15], 1.0
	v_fmac_f64_e32 v[14:15], v[14:15], v[16:17]
	v_div_scale_f64 v[16:17], vcc, 1.0, v[10:11], 1.0
	v_mul_f64 v[30:31], v[16:17], v[14:15]
	v_fma_f64 v[12:13], -v[12:13], v[30:31], v[16:17]
	s_nop 1
	v_div_fmas_f64 v[12:13], v[12:13], v[14:15], v[30:31]
	v_div_fixup_f64 v[10:11], v[12:13], v[10:11], 1.0
	v_mul_f64 v[8:9], v[8:9], v[10:11]
	s_cbranch_execz .LBB225_131
	s_branch .LBB225_132
.LBB225_128:                            ;   in Loop: Header=BB225_124 Depth=2
	v_mov_b32_e32 v10, 0
	v_mov_b32_e32 v11, 0x3ff00000
	s_branch .LBB225_134
.LBB225_129:                            ;   in Loop: Header=BB225_124 Depth=2
                                        ; implicit-def: $vgpr4_vgpr5
                                        ; implicit-def: $vgpr10_vgpr11
                                        ; implicit-def: $vgpr8_vgpr9
	s_cbranch_execnz .LBB225_133
	s_branch .LBB225_134
.LBB225_130:                            ;   in Loop: Header=BB225_124 Depth=2
                                        ; implicit-def: $vgpr10_vgpr11
                                        ; implicit-def: $vgpr8_vgpr9
.LBB225_131:                            ;   in Loop: Header=BB225_124 Depth=2
	v_div_scale_f64 v[8:9], s[30:31], v[2:3], v[2:3], -v[4:5]
	v_rcp_f64_e32 v[10:11], v[8:9]
	v_div_scale_f64 v[12:13], vcc, -v[4:5], v[2:3], -v[4:5]
	v_fma_f64 v[14:15], -v[8:9], v[10:11], 1.0
	v_fmac_f64_e32 v[10:11], v[10:11], v[14:15]
	v_fma_f64 v[14:15], -v[8:9], v[10:11], 1.0
	v_fmac_f64_e32 v[10:11], v[10:11], v[14:15]
	v_mul_f64 v[14:15], v[12:13], v[10:11]
	v_fma_f64 v[8:9], -v[8:9], v[14:15], v[12:13]
	v_div_fmas_f64 v[8:9], v[8:9], v[10:11], v[14:15]
	v_div_fixup_f64 v[10:11], v[8:9], v[2:3], -v[4:5]
	v_fma_f64 v[8:9], v[10:11], v[10:11], 1.0
	v_cmp_gt_f64_e32 vcc, s[40:41], v[8:9]
	v_cndmask_b32_e64 v7, 0, 1, vcc
	v_lshlrev_b32_e32 v7, 8, v7
	v_ldexp_f64 v[8:9], v[8:9], v7
	v_rsq_f64_e32 v[12:13], v[8:9]
	s_and_b64 s[30:31], vcc, exec
	s_cselect_b32 s30, 0xffffff80, 0
	v_cmp_class_f64_e32 vcc, v[8:9], v27
	v_mul_f64 v[14:15], v[8:9], v[12:13]
	v_mul_f64 v[12:13], v[12:13], 0.5
	v_fma_f64 v[16:17], -v[12:13], v[14:15], 0.5
	v_fmac_f64_e32 v[14:15], v[14:15], v[16:17]
	v_fmac_f64_e32 v[12:13], v[12:13], v[16:17]
	v_fma_f64 v[16:17], -v[14:15], v[14:15], v[8:9]
	v_fmac_f64_e32 v[14:15], v[16:17], v[12:13]
	v_fma_f64 v[16:17], -v[14:15], v[14:15], v[8:9]
	v_fmac_f64_e32 v[14:15], v[16:17], v[12:13]
	v_ldexp_f64 v[12:13], v[14:15], s30
	v_cndmask_b32_e32 v9, v13, v9, vcc
	v_cndmask_b32_e32 v8, v12, v8, vcc
	v_div_scale_f64 v[12:13], s[30:31], v[8:9], v[8:9], 1.0
	v_rcp_f64_e32 v[14:15], v[12:13]
	v_fma_f64 v[16:17], -v[12:13], v[14:15], 1.0
	v_fmac_f64_e32 v[14:15], v[14:15], v[16:17]
	v_fma_f64 v[16:17], -v[12:13], v[14:15], 1.0
	v_fmac_f64_e32 v[14:15], v[14:15], v[16:17]
	v_div_scale_f64 v[16:17], vcc, 1.0, v[8:9], 1.0
	v_mul_f64 v[30:31], v[16:17], v[14:15]
	v_fma_f64 v[12:13], -v[12:13], v[30:31], v[16:17]
	s_nop 1
	v_div_fmas_f64 v[12:13], v[12:13], v[14:15], v[30:31]
	v_div_fixup_f64 v[8:9], v[12:13], v[8:9], 1.0
	v_mul_f64 v[10:11], v[10:11], v[8:9]
.LBB225_132:                            ;   in Loop: Header=BB225_124 Depth=2
	v_mul_f64 v[12:13], v[2:3], v[8:9]
	v_fma_f64 v[4:5], v[4:5], v[10:11], -v[12:13]
	s_branch .LBB225_134
.LBB225_133:                            ;   in Loop: Header=BB225_124 Depth=2
	v_xor_b32_e32 v3, 0x80000000, v3
	v_mov_b32_e32 v8, 0
	v_pk_mov_b32 v[10:11], 0, 0
	v_mov_b32_e32 v9, 0x3ff00000
	v_pk_mov_b32 v[4:5], v[2:3], v[2:3] op_sel:[0,1]
.LBB225_134:                            ;   in Loop: Header=BB225_124 Depth=2
	s_add_u32 s30, s19, s78
	s_addc_u32 s31, s56, s79
	global_store_dwordx2 v6, v[4:5], s[30:31]
	s_add_u32 s30, s95, s78
	s_addc_u32 s31, s28, s79
	s_add_u32 s38, s61, s78
	s_addc_u32 s39, s18, s79
	global_load_dwordx2 v[4:5], v6, s[38:39]
	global_load_dwordx2 v[2:3], v6, s[30:31]
	s_add_u32 s80, s71, s78
	s_addc_u32 s81, s75, s79
	s_and_b64 vcc, exec, s[12:13]
	s_waitcnt vmcnt(1)
	v_mul_f64 v[12:13], v[10:11], v[4:5]
	s_waitcnt vmcnt(0)
	v_fmac_f64_e32 v[12:13], v[8:9], v[2:3]
	global_store_dwordx2 v6, v[12:13], s[38:39]
	global_load_dwordx2 v[12:13], v6, s[80:81]
	s_waitcnt vmcnt(0)
	v_mul_f64 v[14:15], v[10:11], v[12:13]
	global_store_dwordx2 v6, v[14:15], s[80:81]
	s_cbranch_vccnz .LBB225_136
; %bb.135:                              ;   in Loop: Header=BB225_124 Depth=2
	s_add_u32 s88, s91, s78
	s_addc_u32 s89, s58, s79
	s_add_u32 vcc_lo, s43, s78
	s_addc_u32 vcc_hi, s90, s79
	global_store_dwordx2 v6, v[10:11], s[88:89]
	global_store_dwordx2 v6, v[8:9], vcc
.LBB225_136:                            ;   in Loop: Header=BB225_124 Depth=2
	s_andn2_b64 vcc, exec, s[82:83]
	s_cbranch_vccnz .LBB225_138
; %bb.137:                              ;   in Loop: Header=BB225_124 Depth=2
	s_add_u32 s88, s93, s78
	s_addc_u32 s89, s42, s79
	s_add_u32 vcc_lo, s29, s78
	s_addc_u32 vcc_hi, s92, s79
	global_store_dwordx2 v6, v[10:11], s[88:89]
	global_store_dwordx2 v6, v[8:9], vcc
.LBB225_138:                            ;   in Loop: Header=BB225_124 Depth=2
	v_mul_f64 v[4:5], v[8:9], v[4:5]
	v_fma_f64 v[4:5], v[10:11], v[2:3], -v[4:5]
	v_mul_f64 v[2:3], v[12:13], -v[8:9]
	v_cmp_eq_f64_e32 vcc, 0, v[2:3]
	v_pk_mov_b32 v[10:11], 0, 0
	s_cbranch_vccnz .LBB225_142
; %bb.139:                              ;   in Loop: Header=BB225_124 Depth=2
	v_cmp_neq_f64_e32 vcc, 0, v[4:5]
	s_cbranch_vccz .LBB225_143
; %bb.140:                              ;   in Loop: Header=BB225_124 Depth=2
	v_cmp_ngt_f64_e64 s[88:89], |v[2:3]|, |v[4:5]|
	s_and_b64 vcc, exec, s[88:89]
	s_cbranch_vccz .LBB225_144
; %bb.141:                              ;   in Loop: Header=BB225_124 Depth=2
	v_div_scale_f64 v[8:9], s[88:89], v[4:5], v[4:5], -v[2:3]
	v_rcp_f64_e32 v[10:11], v[8:9]
	v_div_scale_f64 v[12:13], vcc, -v[2:3], v[4:5], -v[2:3]
	v_fma_f64 v[14:15], -v[8:9], v[10:11], 1.0
	v_fmac_f64_e32 v[10:11], v[10:11], v[14:15]
	v_fma_f64 v[14:15], -v[8:9], v[10:11], 1.0
	v_fmac_f64_e32 v[10:11], v[10:11], v[14:15]
	v_mul_f64 v[14:15], v[12:13], v[10:11]
	v_fma_f64 v[8:9], -v[8:9], v[14:15], v[12:13]
	v_div_fmas_f64 v[8:9], v[8:9], v[10:11], v[14:15]
	v_div_fixup_f64 v[10:11], v[8:9], v[4:5], -v[2:3]
	v_fma_f64 v[8:9], v[10:11], v[10:11], 1.0
	v_cmp_gt_f64_e32 vcc, s[40:41], v[8:9]
	v_cndmask_b32_e64 v7, 0, 1, vcc
	v_lshlrev_b32_e32 v7, 8, v7
	v_ldexp_f64 v[8:9], v[8:9], v7
	v_rsq_f64_e32 v[12:13], v[8:9]
	s_and_b64 s[88:89], vcc, exec
	s_cselect_b32 s57, 0xffffff80, 0
	v_cmp_class_f64_e32 vcc, v[8:9], v27
	v_mul_f64 v[14:15], v[8:9], v[12:13]
	v_mul_f64 v[12:13], v[12:13], 0.5
	v_fma_f64 v[16:17], -v[12:13], v[14:15], 0.5
	v_fmac_f64_e32 v[14:15], v[14:15], v[16:17]
	v_fmac_f64_e32 v[12:13], v[12:13], v[16:17]
	v_fma_f64 v[16:17], -v[14:15], v[14:15], v[8:9]
	v_fmac_f64_e32 v[14:15], v[16:17], v[12:13]
	v_fma_f64 v[16:17], -v[14:15], v[14:15], v[8:9]
	v_fmac_f64_e32 v[14:15], v[16:17], v[12:13]
	v_ldexp_f64 v[12:13], v[14:15], s57
	v_cndmask_b32_e32 v9, v13, v9, vcc
	v_cndmask_b32_e32 v8, v12, v8, vcc
	v_div_scale_f64 v[12:13], s[88:89], v[8:9], v[8:9], 1.0
	v_rcp_f64_e32 v[14:15], v[12:13]
	v_fma_f64 v[16:17], -v[12:13], v[14:15], 1.0
	v_fmac_f64_e32 v[14:15], v[14:15], v[16:17]
	v_fma_f64 v[16:17], -v[12:13], v[14:15], 1.0
	v_fmac_f64_e32 v[14:15], v[14:15], v[16:17]
	v_div_scale_f64 v[16:17], vcc, 1.0, v[8:9], 1.0
	v_mul_f64 v[30:31], v[16:17], v[14:15]
	v_fma_f64 v[12:13], -v[12:13], v[30:31], v[16:17]
	s_nop 1
	v_div_fmas_f64 v[12:13], v[12:13], v[14:15], v[30:31]
	v_div_fixup_f64 v[8:9], v[12:13], v[8:9], 1.0
	v_mul_f64 v[10:11], v[10:11], v[8:9]
	s_cbranch_execz .LBB225_145
	s_branch .LBB225_146
.LBB225_142:                            ;   in Loop: Header=BB225_124 Depth=2
	v_mov_b32_e32 v8, 0
	v_mov_b32_e32 v9, 0x3ff00000
	s_branch .LBB225_148
.LBB225_143:                            ;   in Loop: Header=BB225_124 Depth=2
                                        ; implicit-def: $vgpr4_vgpr5
                                        ; implicit-def: $vgpr8_vgpr9
                                        ; implicit-def: $vgpr10_vgpr11
	s_cbranch_execnz .LBB225_147
	s_branch .LBB225_148
.LBB225_144:                            ;   in Loop: Header=BB225_124 Depth=2
                                        ; implicit-def: $vgpr8_vgpr9
                                        ; implicit-def: $vgpr10_vgpr11
.LBB225_145:                            ;   in Loop: Header=BB225_124 Depth=2
	v_div_scale_f64 v[8:9], s[88:89], v[2:3], v[2:3], -v[4:5]
	v_rcp_f64_e32 v[10:11], v[8:9]
	v_div_scale_f64 v[12:13], vcc, -v[4:5], v[2:3], -v[4:5]
	v_fma_f64 v[14:15], -v[8:9], v[10:11], 1.0
	v_fmac_f64_e32 v[10:11], v[10:11], v[14:15]
	v_fma_f64 v[14:15], -v[8:9], v[10:11], 1.0
	v_fmac_f64_e32 v[10:11], v[10:11], v[14:15]
	v_mul_f64 v[14:15], v[12:13], v[10:11]
	v_fma_f64 v[8:9], -v[8:9], v[14:15], v[12:13]
	v_div_fmas_f64 v[8:9], v[8:9], v[10:11], v[14:15]
	v_div_fixup_f64 v[8:9], v[8:9], v[2:3], -v[4:5]
	v_fma_f64 v[10:11], v[8:9], v[8:9], 1.0
	v_cmp_gt_f64_e32 vcc, s[40:41], v[10:11]
	v_cndmask_b32_e64 v7, 0, 1, vcc
	v_lshlrev_b32_e32 v7, 8, v7
	v_ldexp_f64 v[10:11], v[10:11], v7
	v_rsq_f64_e32 v[12:13], v[10:11]
	s_and_b64 s[88:89], vcc, exec
	s_cselect_b32 s57, 0xffffff80, 0
	v_cmp_class_f64_e32 vcc, v[10:11], v27
	v_mul_f64 v[14:15], v[10:11], v[12:13]
	v_mul_f64 v[12:13], v[12:13], 0.5
	v_fma_f64 v[16:17], -v[12:13], v[14:15], 0.5
	v_fmac_f64_e32 v[14:15], v[14:15], v[16:17]
	v_fmac_f64_e32 v[12:13], v[12:13], v[16:17]
	v_fma_f64 v[16:17], -v[14:15], v[14:15], v[10:11]
	v_fmac_f64_e32 v[14:15], v[16:17], v[12:13]
	v_fma_f64 v[16:17], -v[14:15], v[14:15], v[10:11]
	v_fmac_f64_e32 v[14:15], v[16:17], v[12:13]
	v_ldexp_f64 v[12:13], v[14:15], s57
	v_cndmask_b32_e32 v11, v13, v11, vcc
	v_cndmask_b32_e32 v10, v12, v10, vcc
	v_div_scale_f64 v[12:13], s[88:89], v[10:11], v[10:11], 1.0
	v_rcp_f64_e32 v[14:15], v[12:13]
	v_fma_f64 v[16:17], -v[12:13], v[14:15], 1.0
	v_fmac_f64_e32 v[14:15], v[14:15], v[16:17]
	v_fma_f64 v[16:17], -v[12:13], v[14:15], 1.0
	v_fmac_f64_e32 v[14:15], v[14:15], v[16:17]
	v_div_scale_f64 v[16:17], vcc, 1.0, v[10:11], 1.0
	v_mul_f64 v[30:31], v[16:17], v[14:15]
	v_fma_f64 v[12:13], -v[12:13], v[30:31], v[16:17]
	s_nop 1
	v_div_fmas_f64 v[12:13], v[12:13], v[14:15], v[30:31]
	v_div_fixup_f64 v[10:11], v[12:13], v[10:11], 1.0
	v_mul_f64 v[8:9], v[8:9], v[10:11]
.LBB225_146:                            ;   in Loop: Header=BB225_124 Depth=2
	v_mul_f64 v[12:13], v[2:3], v[10:11]
	v_fma_f64 v[4:5], v[4:5], v[8:9], -v[12:13]
	s_branch .LBB225_148
.LBB225_147:                            ;   in Loop: Header=BB225_124 Depth=2
	v_mov_b32_e32 v10, 0
	v_xor_b32_e32 v5, 0x80000000, v3
	v_mov_b32_e32 v4, v2
	v_pk_mov_b32 v[8:9], 0, 0
	v_mov_b32_e32 v11, 0x3ff00000
.LBB225_148:                            ;   in Loop: Header=BB225_124 Depth=2
	global_store_dwordx2 v6, v[4:5], s[30:31]
	global_load_dwordx2 v[12:13], v6, s[80:81]
	s_nop 0
	global_load_dwordx2 v[4:5], v6, s[38:39]
	s_cmp_ge_i32 s94, s65
	s_waitcnt vmcnt(1)
	v_mul_f64 v[14:15], v[8:9], v[12:13]
	s_waitcnt vmcnt(0)
	v_fmac_f64_e32 v[14:15], v[10:11], v[4:5]
	global_store_dwordx2 v6, v[14:15], s[80:81]
	s_cbranch_scc0 .LBB225_151
; %bb.149:                              ;   in Loop: Header=BB225_124 Depth=2
	s_and_b64 vcc, exec, s[14:15]
	s_cbranch_vccz .LBB225_152
.LBB225_150:                            ;   in Loop: Header=BB225_124 Depth=2
	s_andn2_b64 vcc, exec, s[84:85]
	s_cbranch_vccnz .LBB225_123
	s_branch .LBB225_153
.LBB225_151:                            ;   in Loop: Header=BB225_124 Depth=2
	s_add_u32 s30, s59, s78
	s_addc_u32 s31, s60, s79
	global_load_dwordx2 v[14:15], v6, s[30:31]
	s_waitcnt vmcnt(0)
	v_mul_f64 v[2:3], v[14:15], -v[10:11]
	v_mul_f64 v[14:15], v[8:9], v[14:15]
	global_store_dwordx2 v6, v[14:15], s[30:31]
	s_and_b64 vcc, exec, s[14:15]
	s_cbranch_vccnz .LBB225_150
.LBB225_152:                            ;   in Loop: Header=BB225_124 Depth=2
	s_add_u32 s30, s91, s78
	s_addc_u32 s31, s58, s79
	s_add_u32 s38, s43, s78
	s_addc_u32 s39, s90, s79
	global_store_dwordx2 v6, v[8:9], s[30:31]
	global_store_dwordx2 v6, v[10:11], s[38:39]
	s_andn2_b64 vcc, exec, s[84:85]
	s_cbranch_vccnz .LBB225_123
.LBB225_153:                            ;   in Loop: Header=BB225_124 Depth=2
	s_add_u32 s30, s93, s78
	s_addc_u32 s31, s42, s79
	s_add_u32 s38, s29, s78
	s_addc_u32 s39, s92, s79
	global_store_dwordx2 v6, v[8:9], s[30:31]
	global_store_dwordx2 v6, v[10:11], s[38:39]
	s_branch .LBB225_123
.LBB225_154:                            ;   in Loop: Header=BB225_11 Depth=1
	v_readlane_b32 s60, v44, 29
	v_readlane_b32 s61, v44, 30
.LBB225_155:                            ;   in Loop: Header=BB225_11 Depth=1
	s_and_b64 s[12:13], s[76:77], exec
	s_cselect_b32 s12, s65, 0
	s_ashr_i32 s13, s12, 31
	s_lshl_b64 s[12:13], s[12:13], 3
	s_add_u32 s8, s8, s12
	s_addc_u32 s9, s9, s13
	global_store_dwordx2 v6, v[4:5], s[8:9]
.LBB225_156:                            ;   in Loop: Header=BB225_11 Depth=1
	s_or_b64 exec, exec, s[4:5]
	v_readlane_b32 s4, v44, 2
	v_readlane_b32 s5, v44, 3
	s_andn2_b64 vcc, exec, s[4:5]
	s_barrier
	s_cbranch_vccnz .LBB225_164
; %bb.157:                              ;   in Loop: Header=BB225_11 Depth=1
	s_mov_b64 s[12:13], exec
	v_readlane_b32 s4, v44, 4
	v_readlane_b32 s5, v44, 5
	s_and_b64 s[4:5], s[12:13], s[4:5]
	s_mov_b64 exec, s[4:5]
	s_cbranch_execz .LBB225_163
; %bb.158:                              ;   in Loop: Header=BB225_11 Depth=1
	s_lshl_b64 s[4:5], s[66:67], 4
	v_readlane_b32 s8, v44, 6
	s_add_u32 s14, s34, s4
	v_readlane_b32 s9, v44, 7
	s_addc_u32 s15, s35, s5
	s_load_dword s5, s[8:9], 0xc
	s_add_i32 s4, s62, -1
	s_cmp_eq_u32 s70, 0
	s_cselect_b32 s8, s62, 0
	s_cselect_b32 s4, s4, 0
	s_cmp_gt_i32 s62, 0
	s_cselect_b64 s[30:31], -1, 0
	s_waitcnt lgkmcnt(0)
	s_and_b32 s9, s5, 0xffff
	s_lshl_b32 s5, s70, 1
	s_add_i32 s56, s5, -2
	s_ashr_i32 s57, s56, 31
	s_lshl_b64 s[38:39], s[56:57], 4
	s_ashr_i32 s65, s64, 31
	s_or_b32 s38, s38, 16
	s_not_b64 s[76:77], s[56:57]
	s_add_i32 s5, s5, s8
	s_or_b32 s19, s56, 1
	s_lshl_b64 s[42:43], s[64:65], 3
	v_add_u32_e32 v10, s5, v24
	s_sub_u32 s5, s42, s68
	s_subb_u32 s42, s43, s69
	s_add_u32 s29, s5, 40
	s_addc_u32 s42, s42, 0
	s_ashr_i32 s5, s4, 31
	s_lshl_b64 s[4:5], s[4:5], 3
	s_lshl_b64 s[58:59], s[72:73], 3
	s_add_u32 s4, s4, s58
	s_addc_u32 s5, s5, s59
	v_readlane_b32 s43, v44, 18
	s_add_u32 s78, s43, s4
	v_readlane_b32 s4, v44, 20
	s_addc_u32 s79, s4, s5
	s_lshl_b64 s[80:81], s[56:57], 3
	v_add_u32_e32 v8, s8, v23
	s_mul_i32 s18, s47, s9
	s_mov_b32 s28, s57
	s_or_b32 s80, s80, 8
	s_mov_b64 s[82:83], 0
	v_mov_b32_e32 v7, v0
	s_branch .LBB225_160
.LBB225_159:                            ;   in Loop: Header=BB225_160 Depth=2
	v_lshlrev_b64 v[12:13], 4, v[12:13]
	v_mov_b32_e32 v9, s15
	v_add_co_u32_e32 v12, vcc, s14, v12
	v_addc_co_u32_e32 v13, vcc, v9, v13, vcc
	v_add_u32_e32 v7, s9, v7
	v_cmp_le_i32_e32 vcc, s49, v7
	v_add_u32_e32 v8, s18, v8
	s_or_b64 s[82:83], vcc, s[82:83]
	v_add_u32_e32 v10, s18, v10
	s_waitcnt vmcnt(0) lgkmcnt(0)
	flat_store_dwordx4 v[12:13], v[2:5]
	s_andn2_b64 exec, exec, s[82:83]
	s_cbranch_execz .LBB225_163
.LBB225_160:                            ;   Parent Loop BB225_11 Depth=1
                                        ; =>  This Loop Header: Depth=2
                                        ;       Child Loop BB225_162 Depth 3
	v_mul_lo_u32 v2, v7, s47
	v_add_u32_e32 v12, s8, v2
	v_ashrrev_i32_e32 v13, 31, v12
	v_lshlrev_b64 v[2:3], 4, v[12:13]
	v_mov_b32_e32 v4, s15
	v_add_co_u32_e32 v2, vcc, s14, v2
	v_addc_co_u32_e32 v3, vcc, v4, v3, vcc
	flat_load_dwordx4 v[2:5], v[2:3]
	s_andn2_b64 vcc, exec, s[30:31]
	s_cbranch_vccnz .LBB225_159
; %bb.161:                              ;   in Loop: Header=BB225_160 Depth=2
	v_ashrrev_i32_e32 v9, 31, v8
	v_lshlrev_b64 v[14:15], 4, v[8:9]
	v_ashrrev_i32_e32 v11, 31, v10
	v_mov_b32_e32 v9, s77
	v_add_co_u32_e32 v12, vcc, s76, v10
	v_addc_co_u32_e32 v13, vcc, v9, v11, vcc
	v_lshlrev_b64 v[16:17], 4, v[10:11]
	s_mov_b64 s[84:85], s[78:79]
	s_mov_b64 s[86:87], s[14:15]
	s_mov_b32 s43, s62
.LBB225_162:                            ;   Parent Loop BB225_11 Depth=1
                                        ;     Parent Loop BB225_160 Depth=2
                                        ; =>    This Inner Loop Header: Depth=3
	v_mov_b32_e32 v9, s87
	v_add_co_u32_e32 v30, vcc, s86, v16
	s_add_u32 s4, s84, s29
	v_addc_co_u32_e32 v31, vcc, v9, v17, vcc
	s_addc_u32 s5, s85, s42
	flat_load_dwordx4 v[30:33], v[30:31]
	s_nop 0
	global_load_dwordx2 v[38:39], v6, s[4:5]
	global_load_dwordx2 v[40:41], v6, s[84:85] offset:32
	s_add_i32 s43, s43, -1
	v_add_co_u32_e64 v42, s[4:5], s86, v14
	s_add_u32 s86, s86, s38
	s_addc_u32 s87, s87, s39
	s_add_u32 s84, s84, s80
	v_mov_b32_e32 v11, s28
	v_add_co_u32_e32 v12, vcc, s19, v12
	s_addc_u32 s85, s85, s81
	v_addc_co_u32_e64 v43, s[4:5], v9, v15, s[4:5]
	v_addc_co_u32_e32 v13, vcc, v13, v11, vcc
	s_cmp_eq_u32 s43, 0
	s_waitcnt vmcnt(0) lgkmcnt(0)
	v_mul_f64 v[34:35], v[30:31], v[38:39]
	v_mul_f64 v[36:37], v[32:33], v[38:39]
	v_fma_f64 v[34:35], v[2:3], v[40:41], -v[34:35]
	v_fma_f64 v[36:37], v[4:5], v[40:41], -v[36:37]
	v_mul_f64 v[2:3], v[2:3], v[38:39]
	v_mul_f64 v[4:5], v[4:5], v[38:39]
	v_fmac_f64_e32 v[2:3], v[30:31], v[40:41]
	v_fmac_f64_e32 v[4:5], v[32:33], v[40:41]
	flat_store_dwordx4 v[42:43], v[34:37]
	s_cbranch_scc0 .LBB225_162
	s_branch .LBB225_159
.LBB225_163:                            ;   in Loop: Header=BB225_11 Depth=1
	s_or_b64 exec, exec, s[12:13]
.LBB225_164:                            ;   in Loop: Header=BB225_11 Depth=1
	v_readlane_b32 s4, v44, 8
	v_readlane_b32 s5, v44, 9
	s_andn2_b64 vcc, exec, s[4:5]
	s_cbranch_vccnz .LBB225_172
; %bb.165:                              ;   in Loop: Header=BB225_11 Depth=1
	s_mov_b64 s[4:5], exec
	v_readlane_b32 s8, v44, 10
	v_readlane_b32 s9, v44, 11
	s_and_b64 s[8:9], s[4:5], s[8:9]
	s_mov_b64 exec, s[8:9]
	s_cbranch_execz .LBB225_171
; %bb.166:                              ;   in Loop: Header=BB225_11 Depth=1
	s_mul_i32 s8, s66, s23
	s_ashr_i32 s9, s8, 31
	s_lshl_b64 s[8:9], s[8:9], 4
	v_readlane_b32 s14, v44, 6
	s_add_u32 s8, s52, s8
	v_readlane_b32 s15, v44, 7
	s_addc_u32 s9, s53, s9
	s_add_i32 s12, s62, -1
	s_load_dword s15, s[14:15], 0xc
	s_cmp_eq_u32 s70, 0
	s_cselect_b32 s12, s12, 0
	s_cselect_b32 s38, s62, 0
	s_add_i32 s14, s12, s63
	s_cmp_gt_i32 s62, 0
	s_cselect_b64 s[12:13], -1, 0
	s_waitcnt lgkmcnt(0)
	s_and_b32 s19, s15, 0xffff
	s_ashr_i32 s15, s14, 31
	s_lshl_b64 s[28:29], s[72:73], 3
	s_lshl_b64 s[14:15], s[14:15], 3
	s_add_u32 s14, s28, s14
	s_addc_u32 s15, s29, s15
	v_readlane_b32 s28, v44, 18
	s_add_u32 s14, s28, s14
	v_readlane_b32 s28, v44, 20
	s_addc_u32 s15, s28, s15
	s_lshl_b32 s39, s70, 1
	s_add_i32 s28, s39, -2
	s_ashr_i32 s29, s28, 31
	s_lshl_b64 s[30:31], s[28:29], 3
	s_ashr_i32 s65, s64, 31
	s_or_b32 s30, s30, 8
	s_lshl_b64 s[28:29], s[64:65], 3
	s_sub_u32 s28, s28, s68
	s_subb_u32 s29, s29, s69
	s_add_u32 s28, s28, 40
	s_mul_i32 s18, s38, s23
	s_addc_u32 s29, s29, 0
	s_add_i32 s38, s38, s39
	s_add_i32 s38, s38, -1
	s_mul_i32 s38, s23, s38
	v_add_u32_e32 v7, s18, v0
	s_mul_i32 s42, s23, s74
	v_add_u32_e32 v10, s38, v0
	s_mov_b64 s[38:39], 0
	v_mov_b32_e32 v11, v0
	s_branch .LBB225_168
.LBB225_167:                            ;   in Loop: Header=BB225_168 Depth=2
	v_lshlrev_b64 v[8:9], 4, v[8:9]
	v_mov_b32_e32 v12, s9
	v_add_co_u32_e32 v8, vcc, s8, v8
	v_addc_co_u32_e32 v9, vcc, v12, v9, vcc
	v_add_u32_e32 v11, s19, v11
	v_cmp_le_i32_e32 vcc, s50, v11
	v_add_u32_e32 v7, s19, v7
	s_or_b64 s[38:39], vcc, s[38:39]
	v_add_u32_e32 v10, s19, v10
	s_waitcnt vmcnt(0) lgkmcnt(0)
	flat_store_dwordx4 v[8:9], v[2:5]
	s_andn2_b64 exec, exec, s[38:39]
	s_cbranch_execz .LBB225_171
.LBB225_168:                            ;   Parent Loop BB225_11 Depth=1
                                        ; =>  This Loop Header: Depth=2
                                        ;       Child Loop BB225_170 Depth 3
	v_add_u32_e32 v8, s18, v11
	v_ashrrev_i32_e32 v9, 31, v8
	v_lshlrev_b64 v[2:3], 4, v[8:9]
	v_mov_b32_e32 v4, s9
	v_add_co_u32_e32 v2, vcc, s8, v2
	v_addc_co_u32_e32 v3, vcc, v4, v3, vcc
	flat_load_dwordx4 v[2:5], v[2:3]
	s_andn2_b64 vcc, exec, s[12:13]
	s_cbranch_vccnz .LBB225_167
; %bb.169:                              ;   in Loop: Header=BB225_168 Depth=2
	s_mov_b32 s43, 0
	s_mov_b64 s[74:75], s[14:15]
	s_mov_b32 s56, s62
.LBB225_170:                            ;   Parent Loop BB225_11 Depth=1
                                        ;     Parent Loop BB225_168 Depth=2
                                        ; =>    This Inner Loop Header: Depth=3
	v_add_u32_e32 v8, s43, v10
	v_ashrrev_i32_e32 v9, 31, v8
	s_add_u32 s58, s74, s28
	v_lshlrev_b64 v[12:13], 4, v[8:9]
	v_mov_b32_e32 v29, s9
	s_addc_u32 s59, s75, s29
	v_add_co_u32_e32 v12, vcc, s8, v12
	global_load_dwordx2 v[16:17], v6, s[58:59]
	v_addc_co_u32_e32 v13, vcc, v29, v13, vcc
	flat_load_dwordx4 v[12:15], v[12:13]
	s_nop 0
	global_load_dwordx2 v[34:35], v6, s[74:75] offset:32
	v_add_u32_e32 v30, s43, v7
	v_ashrrev_i32_e32 v31, 31, v30
	v_lshlrev_b64 v[30:31], 4, v[30:31]
	s_add_i32 s56, s56, -1
	v_add_co_u32_e32 v36, vcc, s8, v30
	s_add_u32 s74, s74, s30
	v_addc_co_u32_e32 v37, vcc, v29, v31, vcc
	s_addc_u32 s75, s75, s31
	s_add_i32 s43, s43, s42
	s_cmp_eq_u32 s56, 0
	s_waitcnt vmcnt(0) lgkmcnt(0)
	v_mul_f64 v[30:31], v[12:13], v[16:17]
	v_mul_f64 v[32:33], v[14:15], v[16:17]
	v_fma_f64 v[30:31], v[2:3], v[34:35], -v[30:31]
	v_fma_f64 v[32:33], v[4:5], v[34:35], -v[32:33]
	v_mul_f64 v[2:3], v[2:3], v[16:17]
	v_mul_f64 v[4:5], v[4:5], v[16:17]
	v_fmac_f64_e32 v[2:3], v[12:13], v[34:35]
	v_fmac_f64_e32 v[4:5], v[14:15], v[34:35]
	flat_store_dwordx4 v[36:37], v[30:33]
	s_cbranch_scc0 .LBB225_170
	s_branch .LBB225_167
.LBB225_171:                            ;   in Loop: Header=BB225_11 Depth=1
	s_or_b64 exec, exec, s[4:5]
.LBB225_172:                            ;   in Loop: Header=BB225_11 Depth=1
	v_readlane_b32 s4, v44, 12
	v_readlane_b32 s5, v44, 13
	s_andn2_b64 vcc, exec, s[4:5]
	s_cbranch_vccnz .LBB225_10
; %bb.173:                              ;   in Loop: Header=BB225_11 Depth=1
	s_mov_b64 s[12:13], exec
	v_readlane_b32 s4, v44, 14
	v_readlane_b32 s5, v44, 15
	s_and_b64 s[4:5], s[12:13], s[4:5]
	s_mov_b64 exec, s[4:5]
	s_cbranch_execz .LBB225_9
; %bb.174:                              ;   in Loop: Header=BB225_11 Depth=1
	s_lshl_b64 s[4:5], s[66:67], 4
	v_readlane_b32 s18, v44, 6
	s_add_u32 s14, s44, s4
	v_readlane_b32 s19, v44, 7
	s_addc_u32 s15, s45, s5
	s_add_i32 s4, s62, -1
	s_load_dword s5, s[18:19], 0xc
	s_cmp_eq_u32 s70, 0
	s_cselect_b32 s4, s4, 0
	s_cselect_b32 s8, s62, 0
	s_add_i32 s4, s4, s63
	s_cmp_gt_i32 s62, 0
	s_cselect_b64 s[30:31], -1, 0
	s_waitcnt lgkmcnt(0)
	s_and_b32 s9, s5, 0xffff
	s_ashr_i32 s5, s4, 31
	s_lshl_b64 s[18:19], s[72:73], 3
	s_lshl_b64 s[4:5], s[4:5], 3
	s_add_u32 s4, s18, s4
	s_addc_u32 s5, s19, s5
	v_readlane_b32 s18, v44, 18
	s_add_u32 s38, s18, s4
	v_readlane_b32 s4, v44, 20
	s_addc_u32 s39, s4, s5
	s_lshl_b32 s28, s70, 1
	s_add_i32 s66, s28, -2
	s_ashr_i32 s67, s66, 31
	s_lshl_b64 s[70:71], s[66:67], 3
	s_ashr_i32 s65, s64, 31
	s_or_b32 s70, s70, 8
	s_lshl_b64 s[4:5], s[64:65], 3
	s_sub_u32 s4, s4, s68
	s_subb_u32 s5, s5, s69
	s_add_u32 s18, s4, 40
	s_addc_u32 s19, s5, 0
	s_add_i32 s28, s28, s8
	s_lshl_b64 s[64:65], s[66:67], 4
	v_add_u32_e32 v8, s28, v26
	s_mul_i32 s28, s21, s9
	s_or_b32 s64, s64, 16
	v_add_u32_e32 v10, s8, v25
	s_not_b64 s[68:69], s[66:67]
	s_or_b32 s66, s66, 1
	s_mov_b64 s[72:73], 0
	v_mov_b32_e32 v7, v0
	s_branch .LBB225_176
.LBB225_175:                            ;   in Loop: Header=BB225_176 Depth=2
	v_lshlrev_b64 v[12:13], 4, v[12:13]
	v_mov_b32_e32 v9, s15
	v_add_co_u32_e32 v12, vcc, s14, v12
	v_addc_co_u32_e32 v13, vcc, v9, v13, vcc
	v_add_u32_e32 v7, s9, v7
	v_cmp_le_i32_e32 vcc, s51, v7
	v_add_u32_e32 v8, s28, v8
	s_or_b64 s[72:73], vcc, s[72:73]
	v_add_u32_e32 v10, s28, v10
	s_waitcnt vmcnt(0) lgkmcnt(0)
	flat_store_dwordx4 v[12:13], v[2:5]
	s_andn2_b64 exec, exec, s[72:73]
	s_cbranch_execz .LBB225_9
.LBB225_176:                            ;   Parent Loop BB225_11 Depth=1
                                        ; =>  This Loop Header: Depth=2
                                        ;       Child Loop BB225_178 Depth 3
	v_mul_lo_u32 v2, v7, s21
	v_add_u32_e32 v12, s8, v2
	v_ashrrev_i32_e32 v13, 31, v12
	v_lshlrev_b64 v[2:3], 4, v[12:13]
	v_mov_b32_e32 v4, s15
	v_add_co_u32_e32 v2, vcc, s14, v2
	v_addc_co_u32_e32 v3, vcc, v4, v3, vcc
	flat_load_dwordx4 v[2:5], v[2:3]
	s_andn2_b64 vcc, exec, s[30:31]
	s_cbranch_vccnz .LBB225_175
; %bb.177:                              ;   in Loop: Header=BB225_176 Depth=2
	v_ashrrev_i32_e32 v11, 31, v10
	v_ashrrev_i32_e32 v9, 31, v8
	v_lshlrev_b64 v[16:17], 4, v[10:11]
	v_mov_b32_e32 v11, s69
	v_add_co_u32_e32 v12, vcc, s68, v8
	v_lshlrev_b64 v[14:15], 4, v[8:9]
	v_addc_co_u32_e32 v13, vcc, v11, v9, vcc
	s_mov_b64 s[74:75], s[14:15]
	s_mov_b64 s[76:77], s[38:39]
	s_mov_b32 s29, s62
.LBB225_178:                            ;   Parent Loop BB225_11 Depth=1
                                        ;     Parent Loop BB225_176 Depth=2
                                        ; =>    This Inner Loop Header: Depth=3
	v_mov_b32_e32 v9, s75
	v_add_co_u32_e32 v30, vcc, s74, v14
	s_add_u32 s4, s76, s18
	v_addc_co_u32_e32 v31, vcc, v9, v15, vcc
	s_addc_u32 s5, s77, s19
	flat_load_dwordx4 v[30:33], v[30:31]
	s_nop 0
	global_load_dwordx2 v[38:39], v6, s[4:5]
	global_load_dwordx2 v[40:41], v6, s[76:77] offset:32
	s_add_i32 s29, s29, -1
	s_add_u32 s76, s76, s70
	s_addc_u32 s77, s77, s71
	v_add_co_u32_e64 v42, s[4:5], s74, v16
	s_add_u32 s74, s74, s64
	v_mov_b32_e32 v11, s67
	v_add_co_u32_e32 v12, vcc, s66, v12
	s_addc_u32 s75, s75, s65
	v_addc_co_u32_e64 v43, s[4:5], v9, v17, s[4:5]
	v_addc_co_u32_e32 v13, vcc, v13, v11, vcc
	s_cmp_eq_u32 s29, 0
	s_waitcnt vmcnt(0) lgkmcnt(0)
	v_mul_f64 v[34:35], v[30:31], v[38:39]
	v_mul_f64 v[36:37], v[32:33], v[38:39]
	v_fma_f64 v[34:35], v[2:3], v[40:41], -v[34:35]
	v_fma_f64 v[36:37], v[4:5], v[40:41], -v[36:37]
	v_mul_f64 v[2:3], v[2:3], v[38:39]
	v_mul_f64 v[4:5], v[4:5], v[38:39]
	v_fmac_f64_e32 v[2:3], v[30:31], v[40:41]
	v_fmac_f64_e32 v[4:5], v[32:33], v[40:41]
	flat_store_dwordx4 v[42:43], v[34:37]
	s_cbranch_scc0 .LBB225_178
	s_branch .LBB225_175
.LBB225_179:
	s_endpgm
	.section	.rodata,"a",@progbits
	.p2align	6, 0x0
	.amdhsa_kernel _ZN9rocsolver6v33100L13bdsqr_computeILi256E19rocblas_complex_numIdEdPKPS3_S4_S6_EEviiiiPT1_lS8_lT2_iilT3_iilT4_iiliS7_S7_S7_S7_PiS8_ilSC_
		.amdhsa_group_segment_fixed_size 2072
		.amdhsa_private_segment_fixed_size 0
		.amdhsa_kernarg_size 456
		.amdhsa_user_sgpr_count 6
		.amdhsa_user_sgpr_private_segment_buffer 1
		.amdhsa_user_sgpr_dispatch_ptr 0
		.amdhsa_user_sgpr_queue_ptr 0
		.amdhsa_user_sgpr_kernarg_segment_ptr 1
		.amdhsa_user_sgpr_dispatch_id 0
		.amdhsa_user_sgpr_flat_scratch_init 0
		.amdhsa_user_sgpr_kernarg_preload_length 0
		.amdhsa_user_sgpr_kernarg_preload_offset 0
		.amdhsa_user_sgpr_private_segment_size 0
		.amdhsa_uses_dynamic_stack 0
		.amdhsa_system_sgpr_private_segment_wavefront_offset 0
		.amdhsa_system_sgpr_workgroup_id_x 1
		.amdhsa_system_sgpr_workgroup_id_y 1
		.amdhsa_system_sgpr_workgroup_id_z 1
		.amdhsa_system_sgpr_workgroup_info 0
		.amdhsa_system_vgpr_workitem_id 0
		.amdhsa_next_free_vgpr 45
		.amdhsa_next_free_sgpr 96
		.amdhsa_accum_offset 48
		.amdhsa_reserve_vcc 1
		.amdhsa_reserve_flat_scratch 0
		.amdhsa_float_round_mode_32 0
		.amdhsa_float_round_mode_16_64 0
		.amdhsa_float_denorm_mode_32 3
		.amdhsa_float_denorm_mode_16_64 3
		.amdhsa_dx10_clamp 1
		.amdhsa_ieee_mode 1
		.amdhsa_fp16_overflow 0
		.amdhsa_tg_split 0
		.amdhsa_exception_fp_ieee_invalid_op 0
		.amdhsa_exception_fp_denorm_src 0
		.amdhsa_exception_fp_ieee_div_zero 0
		.amdhsa_exception_fp_ieee_overflow 0
		.amdhsa_exception_fp_ieee_underflow 0
		.amdhsa_exception_fp_ieee_inexact 0
		.amdhsa_exception_int_div_zero 0
	.end_amdhsa_kernel
	.section	.text._ZN9rocsolver6v33100L13bdsqr_computeILi256E19rocblas_complex_numIdEdPKPS3_S4_S6_EEviiiiPT1_lS8_lT2_iilT3_iilT4_iiliS7_S7_S7_S7_PiS8_ilSC_,"axG",@progbits,_ZN9rocsolver6v33100L13bdsqr_computeILi256E19rocblas_complex_numIdEdPKPS3_S4_S6_EEviiiiPT1_lS8_lT2_iilT3_iilT4_iiliS7_S7_S7_S7_PiS8_ilSC_,comdat
.Lfunc_end225:
	.size	_ZN9rocsolver6v33100L13bdsqr_computeILi256E19rocblas_complex_numIdEdPKPS3_S4_S6_EEviiiiPT1_lS8_lT2_iilT3_iilT4_iiliS7_S7_S7_S7_PiS8_ilSC_, .Lfunc_end225-_ZN9rocsolver6v33100L13bdsqr_computeILi256E19rocblas_complex_numIdEdPKPS3_S4_S6_EEviiiiPT1_lS8_lT2_iilT3_iilT4_iiliS7_S7_S7_S7_PiS8_ilSC_
                                        ; -- End function
	.section	.AMDGPU.csdata,"",@progbits
; Kernel info:
; codeLenInByte = 9440
; NumSgprs: 100
; NumVgprs: 45
; NumAgprs: 0
; TotalNumVgprs: 45
; ScratchSize: 0
; MemoryBound: 0
; FloatMode: 240
; IeeeMode: 1
; LDSByteSize: 2072 bytes/workgroup (compile time only)
; SGPRBlocks: 12
; VGPRBlocks: 5
; NumSGPRsForWavesPerEU: 100
; NumVGPRsForWavesPerEU: 45
; AccumOffset: 48
; Occupancy: 8
; WaveLimiterHint : 1
; COMPUTE_PGM_RSRC2:SCRATCH_EN: 0
; COMPUTE_PGM_RSRC2:USER_SGPR: 6
; COMPUTE_PGM_RSRC2:TRAP_HANDLER: 0
; COMPUTE_PGM_RSRC2:TGID_X_EN: 1
; COMPUTE_PGM_RSRC2:TGID_Y_EN: 1
; COMPUTE_PGM_RSRC2:TGID_Z_EN: 1
; COMPUTE_PGM_RSRC2:TIDIG_COMP_CNT: 0
; COMPUTE_PGM_RSRC3_GFX90A:ACCUM_OFFSET: 11
; COMPUTE_PGM_RSRC3_GFX90A:TG_SPLIT: 0
	.section	.text._ZN9rocsolver6v33100L12bdsqr_rotateI19rocblas_complex_numIdEdPKPS3_S4_S6_EEviiiiT1_iilT2_iilT3_iiliPiPT0_ilSA_,"axG",@progbits,_ZN9rocsolver6v33100L12bdsqr_rotateI19rocblas_complex_numIdEdPKPS3_S4_S6_EEviiiiT1_iilT2_iilT3_iiliPiPT0_ilSA_,comdat
	.globl	_ZN9rocsolver6v33100L12bdsqr_rotateI19rocblas_complex_numIdEdPKPS3_S4_S6_EEviiiiT1_iilT2_iilT3_iiliPiPT0_ilSA_ ; -- Begin function _ZN9rocsolver6v33100L12bdsqr_rotateI19rocblas_complex_numIdEdPKPS3_S4_S6_EEviiiiT1_iilT2_iilT3_iiliPiPT0_ilSA_
	.p2align	8
	.type	_ZN9rocsolver6v33100L12bdsqr_rotateI19rocblas_complex_numIdEdPKPS3_S4_S6_EEviiiiT1_iilT2_iilT3_iiliPiPT0_ilSA_,@function
_ZN9rocsolver6v33100L12bdsqr_rotateI19rocblas_complex_numIdEdPKPS3_S4_S6_EEviiiiT1_iilT2_iilT3_iiliPiPT0_ilSA_: ; @_ZN9rocsolver6v33100L12bdsqr_rotateI19rocblas_complex_numIdEdPKPS3_S4_S6_EEviiiiT1_iilT2_iilT3_iiliPiPT0_ilSA_
; %bb.0:
	s_load_dwordx4 s[20:23], s[4:5], 0x78
	s_ashr_i32 s9, s8, 31
	s_lshl_b64 s[0:1], s[8:9], 2
	s_waitcnt lgkmcnt(0)
	s_add_u32 s0, s22, s0
	s_addc_u32 s1, s23, s1
	s_load_dword s0, s[0:1], 0x8
	s_waitcnt lgkmcnt(0)
	s_cmp_lg_u32 s0, 0
	s_cbranch_scc1 .LBB226_25
; %bb.1:
	s_load_dwordx4 s[0:3], s[4:5], 0x10
	s_add_u32 s24, s4, 0x88
	s_addc_u32 s25, s5, 0
	s_mov_b64 s[22:23], 0
	s_mov_b64 s[10:11], 0
	s_waitcnt lgkmcnt(0)
	s_cmp_eq_u64 s[0:1], 0
	s_cbranch_scc1 .LBB226_3
; %bb.2:
	s_lshl_b64 s[10:11], s[8:9], 3
	s_add_u32 s0, s0, s10
	s_addc_u32 s1, s1, s11
	s_load_dwordx2 s[0:1], s[0:1], 0x0
	s_ashr_i32 s11, s2, 31
	s_mov_b32 s10, s2
	s_lshl_b64 s[10:11], s[10:11], 4
	s_waitcnt lgkmcnt(0)
	s_add_u32 s10, s0, s10
	s_addc_u32 s11, s1, s11
.LBB226_3:
	s_load_dwordx8 s[12:19], s[4:5], 0x28
	s_waitcnt lgkmcnt(0)
	s_cmp_eq_u64 s[12:13], 0
	s_cbranch_scc1 .LBB226_5
; %bb.4:
	s_ashr_i32 s1, s14, 31
	s_mov_b32 s0, s14
	s_mul_i32 s2, s8, s17
	s_mul_hi_u32 s14, s8, s16
	s_add_i32 s2, s14, s2
	s_mul_i32 s14, s9, s16
	s_add_i32 s17, s2, s14
	s_mul_i32 s16, s8, s16
	s_lshl_b64 s[16:17], s[16:17], 4
	s_add_u32 s2, s12, s16
	s_addc_u32 s12, s13, s17
	s_lshl_b64 s[0:1], s[0:1], 4
	s_add_u32 s22, s2, s0
	s_addc_u32 s23, s12, s1
.LBB226_5:
	s_load_dwordx2 s[26:27], s[4:5], 0x48
	s_cmp_eq_u64 s[18:19], 0
	s_mov_b64 s[0:1], 0
	s_cbranch_scc1 .LBB226_7
; %bb.6:
	s_lshl_b64 s[0:1], s[8:9], 3
	s_add_u32 s0, s18, s0
	s_addc_u32 s1, s19, s1
	s_load_dwordx2 s[0:1], s[0:1], 0x0
	s_waitcnt lgkmcnt(0)
	s_ashr_i32 s13, s26, 31
	s_mov_b32 s12, s26
	s_lshl_b64 s[12:13], s[12:13], 4
	s_add_u32 s0, s0, s12
	s_addc_u32 s1, s1, s13
.LBB226_7:
	s_load_dwordx4 s[16:19], s[4:5], 0x60
	s_mul_i32 s2, s8, s21
	s_mul_hi_u32 s12, s8, s20
	s_add_i32 s2, s12, s2
	s_mul_i32 s9, s9, s20
	s_add_i32 s13, s2, s9
	s_mul_i32 s12, s8, s20
	s_lshl_b64 s[20:21], s[12:13], 3
	s_waitcnt lgkmcnt(0)
	s_add_u32 s12, s18, s20
	s_addc_u32 s13, s19, s21
	s_load_dwordx2 s[12:13], s[12:13], 0x10
	s_waitcnt lgkmcnt(0)
	v_cvt_i32_f64_e32 v8, s[12:13]
	v_cmp_ge_i32_e32 vcc, s7, v8
	s_cbranch_vccnz .LBB226_25
; %bb.8:
	s_load_dwordx4 s[28:31], s[4:5], 0x0
	s_load_dword s14, s[4:5], 0x58
	s_load_dword s2, s[4:5], 0x94
	;; [unrolled: 1-line block ×3, first 2 shown]
	v_mov_b32_e32 v12, 0
	s_waitcnt lgkmcnt(0)
	s_mul_i32 s4, s8, s28
	s_lshl_b32 s4, s4, 1
	s_ashr_i32 s5, s4, 31
	s_lshl_b64 s[4:5], s[4:5], 2
	s_add_u32 s40, s16, s4
	s_addc_u32 s41, s17, s5
	s_and_b32 s2, 0xffff, s2
	s_mul_i32 s6, s6, s2
	s_cmp_eq_u32 s29, 0
	v_add_u32_e32 v9, s6, v0
	s_cselect_b64 s[4:5], -1, 0
	s_cmp_lg_u64 s[10:11], 0
	s_cselect_b64 s[8:9], -1, 0
	v_cmp_gt_i32_e32 vcc, s29, v9
	s_and_b64 s[8:9], vcc, s[8:9]
	s_cmp_lg_u64 s[22:23], 0
	v_mul_lo_u32 v10, v9, s3
	s_cselect_b64 s[2:3], -1, 0
	v_cmp_gt_i32_e32 vcc, s30, v9
	s_and_b64 s[2:3], vcc, s[2:3]
	s_cmp_lg_u64 s[0:1], 0
	s_load_dword s6, s[24:25], 0x4
	s_cselect_b64 s[12:13], -1, 0
	v_cmp_gt_i32_e32 vcc, s31, v9
	s_and_b64 s[12:13], vcc, s[12:13]
	s_add_u32 s42, s18, s20
	v_mul_lo_u32 v11, v9, s27
	s_addc_u32 s43, s19, s21
	s_branch .LBB226_12
.LBB226_9:                              ;   in Loop: Header=BB226_12 Depth=1
	v_mov_b32_e32 v4, s27
	v_subrev_co_u32_e32 v5, vcc, s26, v6
	v_subb_co_u32_e32 v6, vcc, v7, v4, vcc
	v_mov_b32_e32 v7, s19
	v_add_co_u32_e32 v4, vcc, s18, v5
	v_addc_co_u32_e32 v5, vcc, v7, v6, vcc
	flat_store_dwordx4 v[4:5], v[0:3]
.LBB226_10:                             ;   in Loop: Header=BB226_12 Depth=1
	s_or_b64 exec, exec, s[28:29]
.LBB226_11:                             ;   in Loop: Header=BB226_12 Depth=1
	s_add_i32 s7, s6, s7
	v_cmp_lt_i32_e32 vcc, s7, v8
	s_cbranch_vccz .LBB226_25
.LBB226_12:                             ; =>This Loop Header: Depth=1
                                        ;     Child Loop BB226_16 Depth 2
                                        ;     Child Loop BB226_20 Depth 2
	;; [unrolled: 1-line block ×3, first 2 shown]
	s_lshl_b32 s16, s7, 2
	s_ashr_i32 s17, s16, 31
	s_lshl_b64 s[16:17], s[16:17], 2
	s_add_u32 s16, s40, s16
	s_addc_u32 s17, s41, s17
	s_load_dwordx2 s[18:19], s[16:17], 0x0
	s_load_dword s26, s[16:17], 0x8
	s_waitcnt lgkmcnt(0)
	s_cmp_le_i32 s26, s19
	s_cbranch_scc1 .LBB226_11
; %bb.13:                               ;   in Loop: Header=BB226_12 Depth=1
	s_load_dword s16, s[16:17], 0xc
	s_waitcnt lgkmcnt(0)
	s_cmp_lt_i32 s16, s14
	s_cselect_b64 s[16:17], -1, 0
	s_cmp_lg_u32 s18, 0
	s_cselect_b64 s[20:21], -1, 0
	s_and_b64 s[16:17], s[16:17], s[20:21]
	s_andn2_b64 vcc, exec, s[16:17]
	s_cbranch_vccnz .LBB226_11
; %bb.14:                               ;   in Loop: Header=BB226_12 Depth=1
	s_mul_i32 s20, s19, s33
	s_ashr_i32 s21, s20, 31
	s_cmp_gt_i32 s18, 0
	s_cselect_b64 s[24:25], -1, 0
	s_sub_i32 s16, s26, s19
	s_and_saveexec_b64 s[28:29], s[8:9]
	s_cbranch_execz .LBB226_18
; %bb.15:                               ;   in Loop: Header=BB226_12 Depth=1
	s_and_b64 s[30:31], s[24:25], exec
	s_cselect_b32 s17, s19, s26
	v_add_u32_e32 v6, s17, v10
	v_ashrrev_i32_e32 v7, 31, v6
	v_lshlrev_b64 v[4:5], 4, v[6:7]
	v_mov_b32_e32 v1, s11
	v_add_co_u32_e32 v0, vcc, s10, v4
	v_addc_co_u32_e32 v1, vcc, v1, v5, vcc
	flat_load_dwordx4 v[0:3], v[0:1]
	s_add_i32 s17, s16, -1
	s_and_b64 s[30:31], s[24:25], exec
	s_cselect_b32 s34, 0, s17
	s_ashr_i32 s37, s18, 31
	s_mov_b32 s36, s18
	s_ashr_i32 s35, s34, 31
	s_lshl_b64 s[30:31], s[36:37], 4
	s_lshl_b64 s[34:35], s[34:35], 3
	;; [unrolled: 1-line block ×3, first 2 shown]
	s_add_u32 s17, s34, s38
	s_addc_u32 s27, s35, s39
	s_add_u32 s34, s42, s17
	s_addc_u32 s35, s43, s27
	s_ashr_i32 s27, s26, 31
	s_ashr_i32 s45, s19, 31
	s_mov_b32 s44, s19
	s_lshl_b64 s[36:37], s[36:37], 3
	s_lshl_b64 s[38:39], s[26:27], 3
	;; [unrolled: 1-line block ×3, first 2 shown]
	s_sub_u32 s17, s38, s44
	v_add_u32_e32 v6, s18, v6
	s_subb_u32 s27, s39, s45
	v_ashrrev_i32_e32 v7, 31, v6
	s_add_u32 s17, s17, 40
	v_lshlrev_b64 v[6:7], 4, v[6:7]
	s_addc_u32 s27, s27, 0
	s_mov_b32 s44, s16
	s_mov_b64 s[38:39], s[10:11]
.LBB226_16:                             ;   Parent Loop BB226_12 Depth=1
                                        ; =>  This Inner Loop Header: Depth=2
	v_mov_b32_e32 v13, s39
	v_add_co_u32_e32 v14, vcc, s38, v6
	s_add_u32 s46, s34, s17
	v_addc_co_u32_e32 v15, vcc, v13, v7, vcc
	global_load_dwordx2 v[22:23], v12, s[34:35] offset:32
	s_addc_u32 s47, s35, s27
	flat_load_dwordx4 v[14:17], v[14:15]
	s_nop 0
	global_load_dwordx2 v[24:25], v12, s[46:47]
	v_add_co_u32_e32 v26, vcc, s38, v4
	s_add_u32 s38, s38, s30
	s_addc_u32 s39, s39, s31
	s_add_u32 s34, s34, s36
	s_addc_u32 s35, s35, s37
	s_add_i32 s44, s44, -1
	v_addc_co_u32_e32 v27, vcc, v13, v5, vcc
	s_cmp_eq_u32 s44, 0
	s_waitcnt vmcnt(0) lgkmcnt(0)
	v_mul_f64 v[18:19], v[14:15], v[24:25]
	v_mul_f64 v[20:21], v[16:17], v[24:25]
	v_fma_f64 v[18:19], v[0:1], v[22:23], -v[18:19]
	v_fma_f64 v[20:21], v[2:3], v[22:23], -v[20:21]
	v_mul_f64 v[0:1], v[0:1], v[24:25]
	v_mul_f64 v[2:3], v[2:3], v[24:25]
	v_fmac_f64_e32 v[0:1], v[14:15], v[22:23]
	v_fmac_f64_e32 v[2:3], v[16:17], v[22:23]
	flat_store_dwordx4 v[26:27], v[18:21]
	s_cbranch_scc0 .LBB226_16
; %bb.17:                               ;   in Loop: Header=BB226_12 Depth=1
	v_mov_b32_e32 v4, s31
	v_subrev_co_u32_e32 v5, vcc, s30, v6
	v_subb_co_u32_e32 v6, vcc, v7, v4, vcc
	v_mov_b32_e32 v7, s39
	v_add_co_u32_e32 v4, vcc, s38, v5
	v_addc_co_u32_e32 v5, vcc, v7, v6, vcc
	flat_store_dwordx4 v[4:5], v[0:3]
.LBB226_18:                             ;   in Loop: Header=BB226_12 Depth=1
	s_or_b64 exec, exec, s[28:29]
	s_lshl_b32 s17, s16, 1
	s_add_i32 s17, s17, 2
	s_and_b64 s[28:29], s[4:5], exec
	s_cselect_b32 s27, 0, s17
	s_and_saveexec_b64 s[28:29], s[2:3]
	s_cbranch_execz .LBB226_22
; %bb.19:                               ;   in Loop: Header=BB226_12 Depth=1
	s_and_b64 s[30:31], s[24:25], exec
	s_cselect_b32 s34, s19, s26
	s_mul_i32 s36, s34, s15
	v_add_u32_e32 v0, s36, v9
	v_ashrrev_i32_e32 v1, 31, v0
	v_lshlrev_b64 v[0:1], 4, v[0:1]
	v_mov_b32_e32 v2, s23
	v_add_co_u32_e32 v0, vcc, s22, v0
	v_addc_co_u32_e32 v1, vcc, v2, v1, vcc
	flat_load_dwordx4 v[0:3], v[0:1]
	s_add_i32 s17, s16, -1
	s_and_b64 s[30:31], s[24:25], exec
	s_cselect_b32 s17, 0, s17
	s_add_i32 s30, s27, s17
	s_add_i32 s34, s34, s18
	s_ashr_i32 s31, s30, 31
	s_ashr_i32 s17, s16, 31
	s_mul_i32 s37, s15, s34
	s_lshl_b64 s[34:35], s[20:21], 3
	s_lshl_b64 s[30:31], s[30:31], 3
	s_add_u32 s30, s34, s30
	s_addc_u32 s31, s35, s31
	s_add_u32 s30, s42, s30
	s_addc_u32 s31, s43, s31
	s_ashr_i32 s35, s18, 31
	s_mov_b32 s34, s18
	s_lshl_b64 s[34:35], s[34:35], 3
	s_lshl_b64 s[44:45], s[16:17], 3
	s_add_u32 s17, s44, 40
	s_mul_i32 s38, s15, s18
	s_addc_u32 s39, s45, 0
	s_mov_b32 s44, s16
	v_mov_b32_e32 v6, v9
.LBB226_20:                             ;   Parent Loop BB226_12 Depth=1
                                        ; =>  This Inner Loop Header: Depth=2
	v_add_u32_e32 v4, s37, v6
	v_ashrrev_i32_e32 v5, 31, v4
	v_lshlrev_b64 v[4:5], 4, v[4:5]
	v_mov_b32_e32 v7, s23
	s_add_u32 s46, s30, s17
	v_add_co_u32_e32 v4, vcc, s22, v4
	s_addc_u32 s47, s31, s39
	v_addc_co_u32_e32 v5, vcc, v7, v5, vcc
	global_load_dwordx2 v[22:23], v12, s[30:31] offset:32
	global_load_dwordx2 v[24:25], v12, s[46:47]
	flat_load_dwordx4 v[14:17], v[4:5]
	v_add_u32_e32 v18, s36, v6
	v_ashrrev_i32_e32 v19, 31, v18
	v_lshlrev_b64 v[18:19], 4, v[18:19]
	v_add_co_u32_e32 v26, vcc, s22, v18
	s_add_u32 s30, s30, s34
	v_addc_co_u32_e32 v27, vcc, v7, v19, vcc
	s_addc_u32 s31, s31, s35
	s_add_i32 s44, s44, -1
	v_add_u32_e32 v6, s38, v6
	s_cmp_eq_u32 s44, 0
	s_waitcnt vmcnt(0) lgkmcnt(0)
	v_mul_f64 v[18:19], v[14:15], v[24:25]
	v_mul_f64 v[20:21], v[16:17], v[24:25]
	v_fma_f64 v[18:19], v[0:1], v[22:23], -v[18:19]
	v_fma_f64 v[20:21], v[2:3], v[22:23], -v[20:21]
	v_mul_f64 v[0:1], v[0:1], v[24:25]
	v_mul_f64 v[2:3], v[2:3], v[24:25]
	v_fmac_f64_e32 v[0:1], v[14:15], v[22:23]
	v_fmac_f64_e32 v[2:3], v[16:17], v[22:23]
	flat_store_dwordx4 v[26:27], v[18:21]
	s_cbranch_scc0 .LBB226_20
; %bb.21:                               ;   in Loop: Header=BB226_12 Depth=1
	flat_store_dwordx4 v[4:5], v[0:3]
.LBB226_22:                             ;   in Loop: Header=BB226_12 Depth=1
	s_or_b64 exec, exec, s[28:29]
	s_and_saveexec_b64 s[28:29], s[12:13]
	s_cbranch_execz .LBB226_10
; %bb.23:                               ;   in Loop: Header=BB226_12 Depth=1
	s_and_b64 s[30:31], s[24:25], exec
	s_cselect_b32 s17, s19, s26
	v_add_u32_e32 v6, s17, v11
	v_ashrrev_i32_e32 v7, 31, v6
	v_lshlrev_b64 v[4:5], 4, v[6:7]
	v_mov_b32_e32 v1, s1
	v_add_co_u32_e32 v0, vcc, s0, v4
	v_addc_co_u32_e32 v1, vcc, v1, v5, vcc
	flat_load_dwordx4 v[0:3], v[0:1]
	s_add_i32 s17, s16, -1
	s_and_b64 s[24:25], s[24:25], exec
	s_cselect_b32 s17, 0, s17
	s_add_i32 s24, s27, s17
	s_ashr_i32 s25, s24, 31
	s_ashr_i32 s17, s16, 31
	s_lshl_b64 s[20:21], s[20:21], 3
	s_lshl_b64 s[24:25], s[24:25], 3
	s_add_u32 s19, s20, s24
	s_addc_u32 s21, s21, s25
	s_add_u32 s20, s42, s19
	s_addc_u32 s21, s43, s21
	s_ashr_i32 s19, s18, 31
	s_lshl_b64 s[24:25], s[18:19], 3
	s_lshl_b64 s[26:27], s[16:17], 3
	v_add_u32_e32 v6, s18, v6
	s_add_u32 s17, s26, 40
	v_ashrrev_i32_e32 v7, 31, v6
	s_addc_u32 s30, s27, 0
	v_lshlrev_b64 v[6:7], 4, v[6:7]
	s_lshl_b64 s[26:27], s[18:19], 4
	s_mov_b64 s[18:19], s[0:1]
.LBB226_24:                             ;   Parent Loop BB226_12 Depth=1
                                        ; =>  This Inner Loop Header: Depth=2
	v_mov_b32_e32 v13, s19
	v_add_co_u32_e32 v18, vcc, s18, v6
	s_add_u32 s34, s20, s17
	v_addc_co_u32_e32 v19, vcc, v13, v7, vcc
	global_load_dwordx2 v[22:23], v12, s[20:21] offset:32
	s_addc_u32 s35, s21, s30
	flat_load_dwordx4 v[14:17], v[18:19]
	global_load_dwordx2 v[24:25], v12, s[34:35]
	s_add_i32 s16, s16, -1
	s_add_u32 s20, s20, s24
	s_addc_u32 s21, s21, s25
	v_add_co_u32_e32 v26, vcc, s18, v4
	s_add_u32 s18, s18, s26
	s_addc_u32 s19, s19, s27
	v_addc_co_u32_e32 v27, vcc, v13, v5, vcc
	s_cmp_eq_u32 s16, 0
	s_waitcnt vmcnt(0) lgkmcnt(0)
	v_mul_f64 v[18:19], v[14:15], v[24:25]
	v_mul_f64 v[20:21], v[16:17], v[24:25]
	v_fma_f64 v[18:19], v[0:1], v[22:23], -v[18:19]
	v_fma_f64 v[20:21], v[2:3], v[22:23], -v[20:21]
	v_mul_f64 v[0:1], v[0:1], v[24:25]
	v_mul_f64 v[2:3], v[2:3], v[24:25]
	v_fmac_f64_e32 v[0:1], v[14:15], v[22:23]
	v_fmac_f64_e32 v[2:3], v[16:17], v[22:23]
	flat_store_dwordx4 v[26:27], v[18:21]
	s_cbranch_scc0 .LBB226_24
	s_branch .LBB226_9
.LBB226_25:
	s_endpgm
	.section	.rodata,"a",@progbits
	.p2align	6, 0x0
	.amdhsa_kernel _ZN9rocsolver6v33100L12bdsqr_rotateI19rocblas_complex_numIdEdPKPS3_S4_S6_EEviiiiT1_iilT2_iilT3_iiliPiPT0_ilSA_
		.amdhsa_group_segment_fixed_size 0
		.amdhsa_private_segment_fixed_size 0
		.amdhsa_kernarg_size 392
		.amdhsa_user_sgpr_count 6
		.amdhsa_user_sgpr_private_segment_buffer 1
		.amdhsa_user_sgpr_dispatch_ptr 0
		.amdhsa_user_sgpr_queue_ptr 0
		.amdhsa_user_sgpr_kernarg_segment_ptr 1
		.amdhsa_user_sgpr_dispatch_id 0
		.amdhsa_user_sgpr_flat_scratch_init 0
		.amdhsa_user_sgpr_kernarg_preload_length 0
		.amdhsa_user_sgpr_kernarg_preload_offset 0
		.amdhsa_user_sgpr_private_segment_size 0
		.amdhsa_uses_dynamic_stack 0
		.amdhsa_system_sgpr_private_segment_wavefront_offset 0
		.amdhsa_system_sgpr_workgroup_id_x 1
		.amdhsa_system_sgpr_workgroup_id_y 1
		.amdhsa_system_sgpr_workgroup_id_z 1
		.amdhsa_system_sgpr_workgroup_info 0
		.amdhsa_system_vgpr_workitem_id 0
		.amdhsa_next_free_vgpr 28
		.amdhsa_next_free_sgpr 48
		.amdhsa_accum_offset 28
		.amdhsa_reserve_vcc 1
		.amdhsa_reserve_flat_scratch 0
		.amdhsa_float_round_mode_32 0
		.amdhsa_float_round_mode_16_64 0
		.amdhsa_float_denorm_mode_32 3
		.amdhsa_float_denorm_mode_16_64 3
		.amdhsa_dx10_clamp 1
		.amdhsa_ieee_mode 1
		.amdhsa_fp16_overflow 0
		.amdhsa_tg_split 0
		.amdhsa_exception_fp_ieee_invalid_op 0
		.amdhsa_exception_fp_denorm_src 0
		.amdhsa_exception_fp_ieee_div_zero 0
		.amdhsa_exception_fp_ieee_overflow 0
		.amdhsa_exception_fp_ieee_underflow 0
		.amdhsa_exception_fp_ieee_inexact 0
		.amdhsa_exception_int_div_zero 0
	.end_amdhsa_kernel
	.section	.text._ZN9rocsolver6v33100L12bdsqr_rotateI19rocblas_complex_numIdEdPKPS3_S4_S6_EEviiiiT1_iilT2_iilT3_iiliPiPT0_ilSA_,"axG",@progbits,_ZN9rocsolver6v33100L12bdsqr_rotateI19rocblas_complex_numIdEdPKPS3_S4_S6_EEviiiiT1_iilT2_iilT3_iiliPiPT0_ilSA_,comdat
.Lfunc_end226:
	.size	_ZN9rocsolver6v33100L12bdsqr_rotateI19rocblas_complex_numIdEdPKPS3_S4_S6_EEviiiiT1_iilT2_iilT3_iiliPiPT0_ilSA_, .Lfunc_end226-_ZN9rocsolver6v33100L12bdsqr_rotateI19rocblas_complex_numIdEdPKPS3_S4_S6_EEviiiiT1_iilT2_iilT3_iiliPiPT0_ilSA_
                                        ; -- End function
	.section	.AMDGPU.csdata,"",@progbits
; Kernel info:
; codeLenInByte = 1680
; NumSgprs: 52
; NumVgprs: 28
; NumAgprs: 0
; TotalNumVgprs: 28
; ScratchSize: 0
; MemoryBound: 0
; FloatMode: 240
; IeeeMode: 1
; LDSByteSize: 0 bytes/workgroup (compile time only)
; SGPRBlocks: 6
; VGPRBlocks: 3
; NumSGPRsForWavesPerEU: 52
; NumVGPRsForWavesPerEU: 28
; AccumOffset: 28
; Occupancy: 8
; WaveLimiterHint : 1
; COMPUTE_PGM_RSRC2:SCRATCH_EN: 0
; COMPUTE_PGM_RSRC2:USER_SGPR: 6
; COMPUTE_PGM_RSRC2:TRAP_HANDLER: 0
; COMPUTE_PGM_RSRC2:TGID_X_EN: 1
; COMPUTE_PGM_RSRC2:TGID_Y_EN: 1
; COMPUTE_PGM_RSRC2:TGID_Z_EN: 1
; COMPUTE_PGM_RSRC2:TIDIG_COMP_CNT: 0
; COMPUTE_PGM_RSRC3_GFX90A:ACCUM_OFFSET: 6
; COMPUTE_PGM_RSRC3_GFX90A:TG_SPLIT: 0
	.section	.text._ZN9rocsolver6v33100L22bdsqr_update_endpointsI19rocblas_complex_numIdEdEEviPT0_lPiS5_lS6_,"axG",@progbits,_ZN9rocsolver6v33100L22bdsqr_update_endpointsI19rocblas_complex_numIdEdEEviPT0_lPiS5_lS6_,comdat
	.globl	_ZN9rocsolver6v33100L22bdsqr_update_endpointsI19rocblas_complex_numIdEdEEviPT0_lPiS5_lS6_ ; -- Begin function _ZN9rocsolver6v33100L22bdsqr_update_endpointsI19rocblas_complex_numIdEdEEviPT0_lPiS5_lS6_
	.p2align	8
	.type	_ZN9rocsolver6v33100L22bdsqr_update_endpointsI19rocblas_complex_numIdEdEEviPT0_lPiS5_lS6_,@function
_ZN9rocsolver6v33100L22bdsqr_update_endpointsI19rocblas_complex_numIdEdEEviPT0_lPiS5_lS6_: ; @_ZN9rocsolver6v33100L22bdsqr_update_endpointsI19rocblas_complex_numIdEdEEviPT0_lPiS5_lS6_
; %bb.0:
	s_load_dwordx4 s[0:3], s[4:5], 0x28
	s_ashr_i32 s9, s8, 31
	s_lshl_b64 s[10:11], s[8:9], 2
	s_waitcnt lgkmcnt(0)
	s_add_u32 s2, s2, s10
	s_addc_u32 s3, s3, s11
	s_load_dword s2, s[2:3], 0x8
	s_waitcnt lgkmcnt(0)
	s_cmp_lg_u32 s2, 0
	s_cbranch_scc1 .LBB227_31
; %bb.1:
	s_load_dwordx8 s[12:19], s[4:5], 0x8
	s_mul_i32 s1, s8, s1
	s_mul_hi_u32 s2, s8, s0
	s_add_i32 s1, s2, s1
	s_mul_i32 s2, s9, s0
	s_add_i32 s1, s1, s2
	s_mul_i32 s0, s8, s0
	s_lshl_b64 s[0:1], s[0:1], 3
	s_waitcnt lgkmcnt(0)
	s_add_u32 s2, s18, s0
	s_addc_u32 s3, s19, s1
	s_load_dwordx4 s[20:23], s[2:3], 0x8
	s_waitcnt lgkmcnt(0)
	v_cvt_i32_f64_e32 v10, s[22:23]
	v_cmp_ge_i32_e32 vcc, s7, v10
	s_cbranch_vccnz .LBB227_31
; %bb.2:
	s_mul_i32 s0, s8, s15
	s_mul_hi_u32 s1, s8, s14
	s_add_i32 s0, s1, s0
	s_mul_i32 s1, s9, s14
	s_load_dword s9, s[4:5], 0x0
	s_load_dword s19, s[4:5], 0x3c
	s_add_i32 s1, s0, s1
	s_mul_i32 s0, s8, s14
	s_lshl_b64 s[0:1], s[0:1], 3
	s_add_u32 s6, s12, s0
	s_waitcnt lgkmcnt(0)
	s_mul_i32 s0, s8, s9
	s_addc_u32 s18, s13, s1
	s_lshl_b32 s0, s0, 1
	s_ashr_i32 s1, s0, 31
	s_lshl_b64 s[0:1], s[0:1], 2
	s_add_u32 s16, s16, s0
	s_addc_u32 s17, s17, s1
	s_add_u32 s22, s6, -8
	v_cvt_f64_i32_e32 v[4:5], v10
	s_addc_u32 s23, s18, -1
	v_mov_b32_e32 v6, 0
	s_branch .LBB227_4
.LBB227_3:                              ;   in Loop: Header=BB227_4 Depth=1
	s_add_i32 s7, s19, s7
	v_cmp_lt_i32_e32 vcc, s7, v10
	v_mov_b32_e32 v0, s24
	v_mov_b32_e32 v1, s14
	global_store_dwordx2 v6, v[0:1], s[4:5] offset:4
	s_cbranch_vccz .LBB227_31
.LBB227_4:                              ; =>This Loop Header: Depth=1
                                        ;     Child Loop BB227_9 Depth 2
                                        ;     Child Loop BB227_14 Depth 2
	;; [unrolled: 1-line block ×3, first 2 shown]
                                        ;       Child Loop BB227_26 Depth 3
	s_lshl_b32 s0, s7, 2
	s_ashr_i32 s1, s0, 31
	s_lshl_b64 s[0:1], s[0:1], 2
	s_add_u32 s4, s16, s0
	s_addc_u32 s5, s17, s1
	global_load_dwordx4 v[0:3], v6, s[4:5]
	s_waitcnt vmcnt(0)
	v_readfirstlane_b32 s0, v0
	s_cmp_eq_u32 s0, 0
	s_cselect_b64 s[0:1], -1, 0
	v_readfirstlane_b32 s10, v1
	v_readfirstlane_b32 s8, v2
	s_and_b64 vcc, exec, s[0:1]
	v_mov_b32_e32 v2, v3
	s_cbranch_vccnz .LBB227_6
; %bb.5:                                ;   in Loop: Header=BB227_4 Depth=1
	s_sub_i32 s9, s8, s10
	v_add_u32_e32 v2, s9, v3
	global_store_dword v6, v2, s[4:5] offset:12
.LBB227_6:                              ;   in Loop: Header=BB227_4 Depth=1
	s_cmp_le_i32 s8, s10
	s_cbranch_scc1 .LBB227_16
; %bb.7:                                ;   in Loop: Header=BB227_4 Depth=1
	s_ashr_i32 s11, s10, 31
	s_lshl_b64 s[12:13], s[10:11], 3
	s_add_u32 s12, s6, s12
	s_addc_u32 s13, s18, s13
	s_branch .LBB227_9
.LBB227_8:                              ;   in Loop: Header=BB227_9 Depth=2
	v_mov_b32_e32 v7, v6
	s_add_i32 s10, s10, 1
	global_store_dwordx2 v6, v[6:7], s[12:13]
	s_add_u32 s12, s12, 8
	s_addc_u32 s13, s13, 0
	s_cmp_ge_i32 s10, s8
	s_cselect_b64 s[14:15], -1, 0
	s_mov_b32 s24, s8
	s_andn2_b64 vcc, exec, s[14:15]
	s_cbranch_vccz .LBB227_11
.LBB227_9:                              ;   Parent Loop BB227_4 Depth=1
                                        ; =>  This Inner Loop Header: Depth=2
	global_load_dwordx2 v[0:1], v6, s[12:13]
	s_mov_b64 s[14:15], -1
	s_waitcnt vmcnt(0)
	v_cmp_nlt_f64_e64 s[24:25], |v[0:1]|, s[20:21]
	s_and_b64 vcc, exec, s[24:25]
	s_cbranch_vccz .LBB227_8
; %bb.10:                               ;   in Loop: Header=BB227_9 Depth=2
	s_mov_b32 s24, s10
                                        ; implicit-def: $sgpr10
                                        ; implicit-def: $sgpr12_sgpr13
	s_andn2_b64 vcc, exec, s[14:15]
	s_cbranch_vccnz .LBB227_9
.LBB227_11:                             ;   in Loop: Header=BB227_4 Depth=1
	s_cmp_le_i32 s8, s24
	s_cbranch_scc1 .LBB227_17
.LBB227_12:                             ;   in Loop: Header=BB227_4 Depth=1
	s_ashr_i32 s9, s8, 31
	s_lshl_b64 s[10:11], s[8:9], 3
	s_add_u32 s10, s22, s10
	s_addc_u32 s11, s23, s11
	s_branch .LBB227_14
.LBB227_13:                             ;   in Loop: Header=BB227_14 Depth=2
	v_mov_b32_e32 v7, v6
	s_add_i32 s8, s8, -1
	global_store_dwordx2 v6, v[6:7], s[10:11]
	s_add_u32 s10, s10, -8
	s_addc_u32 s11, s11, -1
	s_cmp_le_i32 s8, s24
	s_cselect_b64 s[12:13], -1, 0
	s_mov_b32 s14, s24
	s_andn2_b64 vcc, exec, s[12:13]
	s_cbranch_vccz .LBB227_18
.LBB227_14:                             ;   Parent Loop BB227_4 Depth=1
                                        ; =>  This Inner Loop Header: Depth=2
	global_load_dwordx2 v[0:1], v6, s[10:11]
	s_mov_b64 s[12:13], -1
	s_waitcnt vmcnt(0)
	v_cmp_nlt_f64_e64 s[14:15], |v[0:1]|, s[20:21]
	s_and_b64 vcc, exec, s[14:15]
	s_cbranch_vccz .LBB227_13
; %bb.15:                               ;   in Loop: Header=BB227_14 Depth=2
	s_mov_b32 s14, s8
                                        ; implicit-def: $sgpr8
                                        ; implicit-def: $sgpr10_sgpr11
	s_andn2_b64 vcc, exec, s[12:13]
	s_cbranch_vccnz .LBB227_14
	s_branch .LBB227_18
.LBB227_16:                             ;   in Loop: Header=BB227_4 Depth=1
	s_mov_b32 s24, s10
	s_cmp_le_i32 s8, s24
	s_cbranch_scc0 .LBB227_12
.LBB227_17:                             ;   in Loop: Header=BB227_4 Depth=1
	s_mov_b32 s14, s8
.LBB227_18:                             ;   in Loop: Header=BB227_4 Depth=1
	s_cmp_lt_i32 s24, s14
	s_cselect_b64 s[8:9], -1, 0
	s_and_b64 s[0:1], s[0:1], s[8:9]
	s_andn2_b64 vcc, exec, s[0:1]
	s_mov_b32 s8, s24
	s_cbranch_vccnz .LBB227_3
.LBB227_19:                             ;   Parent Loop BB227_4 Depth=1
                                        ; =>  This Loop Header: Depth=2
                                        ;       Child Loop BB227_26 Depth 3
	s_ashr_i32 s9, s8, 31
	s_lshl_b64 s[0:1], s[8:9], 3
	s_add_u32 s0, s6, s0
	s_addc_u32 s1, s18, s1
	global_load_dwordx2 v[0:1], v6, s[0:1]
	s_mov_b64 s[10:11], -1
                                        ; implicit-def: $sgpr9
	s_waitcnt vmcnt(0)
	v_cmp_lt_f64_e64 s[12:13], |v[0:1]|, s[20:21]
	s_and_b64 vcc, exec, s[12:13]
	s_cbranch_vccz .LBB227_22
; %bb.20:                               ;   in Loop: Header=BB227_19 Depth=2
	s_andn2_b64 vcc, exec, s[10:11]
	s_cbranch_vccz .LBB227_23
.LBB227_21:                             ;   in Loop: Header=BB227_19 Depth=2
	s_cmp_lt_i32 s9, s14
	s_cbranch_scc1 .LBB227_30
	s_branch .LBB227_3
.LBB227_22:                             ;   in Loop: Header=BB227_19 Depth=2
	s_add_i32 s9, s8, 1
	s_cbranch_execnz .LBB227_21
.LBB227_23:                             ;   in Loop: Header=BB227_19 Depth=2
	v_mov_b32_e32 v7, v6
	s_cmp_ge_i32 s24, s8
	global_store_dwordx2 v6, v[6:7], s[0:1]
	s_cbranch_scc1 .LBB227_29
; %bb.24:                               ;   in Loop: Header=BB227_19 Depth=2
	s_mov_b64 s[0:1], exec
	v_mbcnt_lo_u32_b32 v0, s0, 0
	v_mbcnt_hi_u32_b32 v3, s1, v0
	v_cmp_eq_u32_e32 vcc, 0, v3
                                        ; implicit-def: $vgpr0_vgpr1
	s_and_saveexec_b64 s[10:11], vcc
	s_cbranch_execz .LBB227_28
; %bb.25:                               ;   in Loop: Header=BB227_19 Depth=2
	global_load_dwordx2 v[0:1], v6, s[2:3] offset:24
	s_bcnt1_i32_b64 s0, s[0:1]
	v_cvt_f64_u32_e32 v[8:9], s0
	s_mov_b64 s[12:13], 0
.LBB227_26:                             ;   Parent Loop BB227_4 Depth=1
                                        ;     Parent Loop BB227_19 Depth=2
                                        ; =>    This Inner Loop Header: Depth=3
	s_waitcnt vmcnt(0)
	v_pk_mov_b32 v[14:15], v[0:1], v[0:1] op_sel:[0,1]
	v_add_f64 v[12:13], v[14:15], v[8:9]
	global_atomic_cmpswap_x2 v[0:1], v6, v[12:15], s[2:3] offset:24 glc
	s_waitcnt vmcnt(0)
	v_cmp_eq_u64_e64 s[0:1], v[0:1], v[14:15]
	s_or_b64 s[12:13], s[0:1], s[12:13]
	s_andn2_b64 exec, exec, s[12:13]
	s_cbranch_execnz .LBB227_26
; %bb.27:                               ;   in Loop: Header=BB227_19 Depth=2
	s_or_b64 exec, exec, s[12:13]
.LBB227_28:                             ;   in Loop: Header=BB227_19 Depth=2
	s_or_b64 exec, exec, s[10:11]
	v_readfirstlane_b32 s1, v1
	v_readfirstlane_b32 s0, v0
	v_cvt_f64_u32_e32 v[0:1], v3
	v_add_f64 v[0:1], s[0:1], v[0:1]
	v_mov_b32_e32 v3, s1
	v_cndmask_b32_e32 v1, v1, v3, vcc
	v_mov_b32_e32 v3, s0
	v_cndmask_b32_e32 v0, v0, v3, vcc
	v_add_f64 v[0:1], v[0:1], v[4:5]
	v_cvt_i32_f64_e32 v0, v[0:1]
	v_lshlrev_b32_e32 v0, 2, v0
	v_ashrrev_i32_e32 v1, 31, v0
	v_lshlrev_b64 v[0:1], 2, v[0:1]
	v_mov_b32_e32 v3, s17
	v_add_co_u32_e32 v8, vcc, s16, v0
	v_addc_co_u32_e32 v9, vcc, v3, v1, vcc
	v_mov_b32_e32 v0, s24
	v_mov_b32_e32 v1, s8
	global_store_dwordx3 v[8:9], v[0:2], off offset:4
.LBB227_29:                             ;   in Loop: Header=BB227_19 Depth=2
	s_add_i32 s9, s8, 1
	s_mov_b32 s24, s9
	s_cmp_lt_i32 s9, s14
	s_cbranch_scc0 .LBB227_3
.LBB227_30:                             ;   in Loop: Header=BB227_19 Depth=2
	s_mov_b32 s8, s9
	s_branch .LBB227_19
.LBB227_31:
	s_endpgm
	.section	.rodata,"a",@progbits
	.p2align	6, 0x0
	.amdhsa_kernel _ZN9rocsolver6v33100L22bdsqr_update_endpointsI19rocblas_complex_numIdEdEEviPT0_lPiS5_lS6_
		.amdhsa_group_segment_fixed_size 0
		.amdhsa_private_segment_fixed_size 0
		.amdhsa_kernarg_size 312
		.amdhsa_user_sgpr_count 6
		.amdhsa_user_sgpr_private_segment_buffer 1
		.amdhsa_user_sgpr_dispatch_ptr 0
		.amdhsa_user_sgpr_queue_ptr 0
		.amdhsa_user_sgpr_kernarg_segment_ptr 1
		.amdhsa_user_sgpr_dispatch_id 0
		.amdhsa_user_sgpr_flat_scratch_init 0
		.amdhsa_user_sgpr_kernarg_preload_length 0
		.amdhsa_user_sgpr_kernarg_preload_offset 0
		.amdhsa_user_sgpr_private_segment_size 0
		.amdhsa_uses_dynamic_stack 0
		.amdhsa_system_sgpr_private_segment_wavefront_offset 0
		.amdhsa_system_sgpr_workgroup_id_x 1
		.amdhsa_system_sgpr_workgroup_id_y 1
		.amdhsa_system_sgpr_workgroup_id_z 1
		.amdhsa_system_sgpr_workgroup_info 0
		.amdhsa_system_vgpr_workitem_id 0
		.amdhsa_next_free_vgpr 16
		.amdhsa_next_free_sgpr 26
		.amdhsa_accum_offset 16
		.amdhsa_reserve_vcc 1
		.amdhsa_reserve_flat_scratch 0
		.amdhsa_float_round_mode_32 0
		.amdhsa_float_round_mode_16_64 0
		.amdhsa_float_denorm_mode_32 3
		.amdhsa_float_denorm_mode_16_64 3
		.amdhsa_dx10_clamp 1
		.amdhsa_ieee_mode 1
		.amdhsa_fp16_overflow 0
		.amdhsa_tg_split 0
		.amdhsa_exception_fp_ieee_invalid_op 0
		.amdhsa_exception_fp_denorm_src 0
		.amdhsa_exception_fp_ieee_div_zero 0
		.amdhsa_exception_fp_ieee_overflow 0
		.amdhsa_exception_fp_ieee_underflow 0
		.amdhsa_exception_fp_ieee_inexact 0
		.amdhsa_exception_int_div_zero 0
	.end_amdhsa_kernel
	.section	.text._ZN9rocsolver6v33100L22bdsqr_update_endpointsI19rocblas_complex_numIdEdEEviPT0_lPiS5_lS6_,"axG",@progbits,_ZN9rocsolver6v33100L22bdsqr_update_endpointsI19rocblas_complex_numIdEdEEviPT0_lPiS5_lS6_,comdat
.Lfunc_end227:
	.size	_ZN9rocsolver6v33100L22bdsqr_update_endpointsI19rocblas_complex_numIdEdEEviPT0_lPiS5_lS6_, .Lfunc_end227-_ZN9rocsolver6v33100L22bdsqr_update_endpointsI19rocblas_complex_numIdEdEEviPT0_lPiS5_lS6_
                                        ; -- End function
	.section	.AMDGPU.csdata,"",@progbits
; Kernel info:
; codeLenInByte = 932
; NumSgprs: 30
; NumVgprs: 16
; NumAgprs: 0
; TotalNumVgprs: 16
; ScratchSize: 0
; MemoryBound: 0
; FloatMode: 240
; IeeeMode: 1
; LDSByteSize: 0 bytes/workgroup (compile time only)
; SGPRBlocks: 3
; VGPRBlocks: 1
; NumSGPRsForWavesPerEU: 30
; NumVGPRsForWavesPerEU: 16
; AccumOffset: 16
; Occupancy: 8
; WaveLimiterHint : 1
; COMPUTE_PGM_RSRC2:SCRATCH_EN: 0
; COMPUTE_PGM_RSRC2:USER_SGPR: 6
; COMPUTE_PGM_RSRC2:TRAP_HANDLER: 0
; COMPUTE_PGM_RSRC2:TGID_X_EN: 1
; COMPUTE_PGM_RSRC2:TGID_Y_EN: 1
; COMPUTE_PGM_RSRC2:TGID_Z_EN: 1
; COMPUTE_PGM_RSRC2:TIDIG_COMP_CNT: 0
; COMPUTE_PGM_RSRC3_GFX90A:ACCUM_OFFSET: 3
; COMPUTE_PGM_RSRC3_GFX90A:TG_SPLIT: 0
	.section	.text._ZN9rocsolver6v33100L19bdsqr_chk_completedI19rocblas_complex_numIdEdEEviiPiPT0_lS4_,"axG",@progbits,_ZN9rocsolver6v33100L19bdsqr_chk_completedI19rocblas_complex_numIdEdEEviiPiPT0_lS4_,comdat
	.globl	_ZN9rocsolver6v33100L19bdsqr_chk_completedI19rocblas_complex_numIdEdEEviiPiPT0_lS4_ ; -- Begin function _ZN9rocsolver6v33100L19bdsqr_chk_completedI19rocblas_complex_numIdEdEEviiPiPT0_lS4_
	.p2align	8
	.type	_ZN9rocsolver6v33100L19bdsqr_chk_completedI19rocblas_complex_numIdEdEEviiPiPT0_lS4_,@function
_ZN9rocsolver6v33100L19bdsqr_chk_completedI19rocblas_complex_numIdEdEEviiPiPT0_lS4_: ; @_ZN9rocsolver6v33100L19bdsqr_chk_completedI19rocblas_complex_numIdEdEEviiPiPT0_lS4_
; %bb.0:
	s_load_dwordx8 s[8:15], s[4:5], 0x8
	s_mov_b32 s2, s7
	s_ashr_i32 s3, s7, 31
	s_lshl_b64 s[0:1], s[2:3], 2
	s_waitcnt lgkmcnt(0)
	s_add_u32 s0, s14, s0
	s_addc_u32 s1, s15, s1
	s_load_dword s6, s[0:1], 0x8
	s_waitcnt lgkmcnt(0)
	s_cmp_lg_u32 s6, 0
	s_cbranch_scc0 .LBB228_2
.LBB228_1:
	s_endpgm
.LBB228_2:
	s_mul_i32 s6, s2, s13
	s_mul_hi_u32 s7, s2, s12
	s_add_i32 s6, s7, s6
	s_mul_i32 s3, s3, s12
	s_add_i32 s7, s6, s3
	s_mul_i32 s6, s2, s12
	s_lshl_b64 s[6:7], s[6:7], 3
	s_add_u32 s6, s10, s6
	s_addc_u32 s7, s11, s7
	s_load_dwordx4 s[16:19], s[6:7], 0x10
	s_load_dword s3, s[14:15], 0x4
	v_mov_b32_e32 v2, 0
	v_mov_b32_e32 v3, v2
	s_waitcnt lgkmcnt(0)
	v_mov_b32_e32 v0, s18
	v_mov_b32_e32 v1, s19
	v_add_f64 v[0:1], s[16:17], v[0:1]
	v_cvt_i32_f64_e32 v4, v[0:1]
	v_cmp_ge_i32_e32 vcc, s3, v4
	v_cvt_f64_i32_e32 v[0:1], v4
	global_store_dwordx4 v2, v[0:3], s[6:7] offset:16
	s_cbranch_vccnz .LBB228_6
; %bb.3:
	s_mov_b64 s[6:7], 0
	v_mov_b32_e32 v5, s3
.LBB228_4:                              ; =>This Inner Loop Header: Depth=1
	global_atomic_cmpswap v5, v2, v[4:5], s[14:15] offset:4 glc
	s_waitcnt vmcnt(0)
	v_cmp_ge_i32_e32 vcc, v5, v4
	s_or_b64 s[6:7], vcc, s[6:7]
	s_andn2_b64 exec, exec, s[6:7]
	s_cbranch_execnz .LBB228_4
; %bb.5:
	s_or_b64 exec, exec, s[6:7]
.LBB228_6:
	v_cmp_gt_i32_e32 vcc, 1, v4
	s_cbranch_vccnz .LBB228_14
; %bb.7:
	s_load_dwordx2 s[4:5], s[4:5], 0x0
	v_mov_b32_e32 v0, 0
	s_waitcnt lgkmcnt(0)
	s_mul_i32 s2, s2, s4
	s_lshl_b32 s2, s2, 1
	s_ashr_i32 s3, s2, 31
	s_lshl_b64 s[2:3], s[2:3], 2
	s_add_u32 s2, s2, s8
	s_addc_u32 s3, s3, s9
	s_add_u32 s2, s2, 12
	s_addc_u32 s3, s3, 0
	s_branch .LBB228_9
.LBB228_8:                              ;   in Loop: Header=BB228_9 Depth=1
	v_add_u32_e32 v4, -1, v4
	s_add_u32 s2, s2, 16
	s_addc_u32 s3, s3, 0
	s_mov_b64 s[6:7], 0
	v_cmp_eq_u32_e64 s[8:9], 0, v4
	s_andn2_b64 vcc, exec, s[8:9]
	s_cbranch_vccz .LBB228_13
.LBB228_9:                              ; =>This Inner Loop Header: Depth=1
	global_load_dwordx2 v[2:3], v0, s[2:3] offset:-8
	s_mov_b64 s[8:9], -1
                                        ; implicit-def: $sgpr6_sgpr7
	s_waitcnt vmcnt(0)
	v_cmp_ge_i32_e32 vcc, v2, v3
	s_cbranch_vccnz .LBB228_11
; %bb.10:                               ;   in Loop: Header=BB228_9 Depth=1
	global_load_dword v1, v0, s[2:3]
	s_mov_b64 s[6:7], -1
	s_waitcnt vmcnt(0)
	v_cmp_le_i32_e64 s[8:9], s5, v1
.LBB228_11:                             ;   in Loop: Header=BB228_9 Depth=1
	s_andn2_b64 vcc, exec, s[8:9]
	s_cbranch_vccz .LBB228_8
; %bb.12:
                                        ; implicit-def: $vgpr4
                                        ; implicit-def: $sgpr2_sgpr3
.LBB228_13:
	s_xor_b64 s[2:3], s[6:7], -1
	s_and_b64 vcc, exec, s[2:3]
	s_cbranch_vccz .LBB228_1
	s_branch .LBB228_15
.LBB228_14:
	s_cbranch_execz .LBB228_1
.LBB228_15:
	s_mov_b64 s[2:3], exec
	v_mov_b32_e32 v0, 0
	v_mov_b32_e32 v1, 1
	global_store_dword v0, v1, s[0:1] offset:8
	v_mbcnt_lo_u32_b32 v1, s2, 0
	v_mbcnt_hi_u32_b32 v1, s3, v1
	v_cmp_eq_u32_e32 vcc, 0, v1
	s_and_saveexec_b64 s[0:1], vcc
	s_cbranch_execz .LBB228_1
; %bb.16:
	s_bcnt1_i32_b64 s0, s[2:3]
	v_mov_b32_e32 v1, s0
	global_atomic_add v0, v1, s[14:15]
	s_endpgm
	.section	.rodata,"a",@progbits
	.p2align	6, 0x0
	.amdhsa_kernel _ZN9rocsolver6v33100L19bdsqr_chk_completedI19rocblas_complex_numIdEdEEviiPiPT0_lS4_
		.amdhsa_group_segment_fixed_size 0
		.amdhsa_private_segment_fixed_size 0
		.amdhsa_kernarg_size 40
		.amdhsa_user_sgpr_count 6
		.amdhsa_user_sgpr_private_segment_buffer 1
		.amdhsa_user_sgpr_dispatch_ptr 0
		.amdhsa_user_sgpr_queue_ptr 0
		.amdhsa_user_sgpr_kernarg_segment_ptr 1
		.amdhsa_user_sgpr_dispatch_id 0
		.amdhsa_user_sgpr_flat_scratch_init 0
		.amdhsa_user_sgpr_kernarg_preload_length 0
		.amdhsa_user_sgpr_kernarg_preload_offset 0
		.amdhsa_user_sgpr_private_segment_size 0
		.amdhsa_uses_dynamic_stack 0
		.amdhsa_system_sgpr_private_segment_wavefront_offset 0
		.amdhsa_system_sgpr_workgroup_id_x 1
		.amdhsa_system_sgpr_workgroup_id_y 1
		.amdhsa_system_sgpr_workgroup_id_z 0
		.amdhsa_system_sgpr_workgroup_info 0
		.amdhsa_system_vgpr_workitem_id 0
		.amdhsa_next_free_vgpr 6
		.amdhsa_next_free_sgpr 20
		.amdhsa_accum_offset 8
		.amdhsa_reserve_vcc 1
		.amdhsa_reserve_flat_scratch 0
		.amdhsa_float_round_mode_32 0
		.amdhsa_float_round_mode_16_64 0
		.amdhsa_float_denorm_mode_32 3
		.amdhsa_float_denorm_mode_16_64 3
		.amdhsa_dx10_clamp 1
		.amdhsa_ieee_mode 1
		.amdhsa_fp16_overflow 0
		.amdhsa_tg_split 0
		.amdhsa_exception_fp_ieee_invalid_op 0
		.amdhsa_exception_fp_denorm_src 0
		.amdhsa_exception_fp_ieee_div_zero 0
		.amdhsa_exception_fp_ieee_overflow 0
		.amdhsa_exception_fp_ieee_underflow 0
		.amdhsa_exception_fp_ieee_inexact 0
		.amdhsa_exception_int_div_zero 0
	.end_amdhsa_kernel
	.section	.text._ZN9rocsolver6v33100L19bdsqr_chk_completedI19rocblas_complex_numIdEdEEviiPiPT0_lS4_,"axG",@progbits,_ZN9rocsolver6v33100L19bdsqr_chk_completedI19rocblas_complex_numIdEdEEviiPiPT0_lS4_,comdat
.Lfunc_end228:
	.size	_ZN9rocsolver6v33100L19bdsqr_chk_completedI19rocblas_complex_numIdEdEEviiPiPT0_lS4_, .Lfunc_end228-_ZN9rocsolver6v33100L19bdsqr_chk_completedI19rocblas_complex_numIdEdEEviiPiPT0_lS4_
                                        ; -- End function
	.section	.AMDGPU.csdata,"",@progbits
; Kernel info:
; codeLenInByte = 436
; NumSgprs: 24
; NumVgprs: 6
; NumAgprs: 0
; TotalNumVgprs: 6
; ScratchSize: 0
; MemoryBound: 0
; FloatMode: 240
; IeeeMode: 1
; LDSByteSize: 0 bytes/workgroup (compile time only)
; SGPRBlocks: 2
; VGPRBlocks: 0
; NumSGPRsForWavesPerEU: 24
; NumVGPRsForWavesPerEU: 6
; AccumOffset: 8
; Occupancy: 8
; WaveLimiterHint : 0
; COMPUTE_PGM_RSRC2:SCRATCH_EN: 0
; COMPUTE_PGM_RSRC2:USER_SGPR: 6
; COMPUTE_PGM_RSRC2:TRAP_HANDLER: 0
; COMPUTE_PGM_RSRC2:TGID_X_EN: 1
; COMPUTE_PGM_RSRC2:TGID_Y_EN: 1
; COMPUTE_PGM_RSRC2:TGID_Z_EN: 0
; COMPUTE_PGM_RSRC2:TIDIG_COMP_CNT: 0
; COMPUTE_PGM_RSRC3_GFX90A:ACCUM_OFFSET: 1
; COMPUTE_PGM_RSRC3_GFX90A:TG_SPLIT: 0
	.section	.text._ZN9rocsolver6v33100L14bdsqr_finalizeI19rocblas_complex_numIdEdPKPS3_S4_S6_EEviiiiPT0_lS8_lT1_iilT2_iilT3_iilPiSC_SC_,"axG",@progbits,_ZN9rocsolver6v33100L14bdsqr_finalizeI19rocblas_complex_numIdEdPKPS3_S4_S6_EEviiiiPT0_lS8_lT1_iilT2_iilT3_iilPiSC_SC_,comdat
	.globl	_ZN9rocsolver6v33100L14bdsqr_finalizeI19rocblas_complex_numIdEdPKPS3_S4_S6_EEviiiiPT0_lS8_lT1_iilT2_iilT3_iilPiSC_SC_ ; -- Begin function _ZN9rocsolver6v33100L14bdsqr_finalizeI19rocblas_complex_numIdEdPKPS3_S4_S6_EEviiiiPT0_lS8_lT1_iilT2_iilT3_iilPiSC_SC_
	.p2align	8
	.type	_ZN9rocsolver6v33100L14bdsqr_finalizeI19rocblas_complex_numIdEdPKPS3_S4_S6_EEviiiiPT0_lS8_lT1_iilT2_iilT3_iilPiSC_SC_,@function
_ZN9rocsolver6v33100L14bdsqr_finalizeI19rocblas_complex_numIdEdPKPS3_S4_S6_EEviiiiPT0_lS8_lT1_iilT2_iilT3_iilPiSC_SC_: ; @_ZN9rocsolver6v33100L14bdsqr_finalizeI19rocblas_complex_numIdEdPKPS3_S4_S6_EEviiiiPT0_lS8_lT1_iilT2_iilT3_iilPiSC_SC_
; %bb.0:
	s_add_u32 flat_scratch_lo, s8, s12
	s_addc_u32 flat_scratch_hi, s9, 0
	s_load_dwordx2 s[8:9], s[6:7], 0x88
	s_add_u32 s0, s0, s12
	s_addc_u32 s1, s1, 0
	s_mov_b32 s14, s11
	s_ashr_i32 s15, s11, 31
	s_lshl_b64 s[26:27], s[14:15], 2
	s_waitcnt lgkmcnt(0)
	s_add_u32 s8, s8, s26
	s_addc_u32 s9, s9, s27
	s_load_dword s8, s[8:9], 0x8
	s_movk_i32 s32, 0x1400
	s_waitcnt lgkmcnt(0)
	s_cmp_gt_i32 s8, 1
	s_cbranch_scc1 .LBB229_260
; %bb.1:
	s_load_dwordx2 s[8:9], s[6:7], 0x9c
	s_load_dwordx4 s[56:59], s[6:7], 0x30
	s_load_dwordx8 s[44:51], s[6:7], 0x10
	s_mov_b64 s[34:35], 0
	s_mov_b64 s[28:29], 0
	s_waitcnt lgkmcnt(0)
	s_and_b32 s9, s9, 0xffff
	s_cmp_eq_u64 s[56:57], 0
	s_cbranch_scc1 .LBB229_3
; %bb.2:
	s_lshl_b64 s[10:11], s[14:15], 3
	s_add_u32 s10, s56, s10
	s_addc_u32 s11, s57, s11
	s_load_dwordx2 s[10:11], s[10:11], 0x0
	s_ashr_i32 s13, s58, 31
	s_mov_b32 s12, s58
	s_lshl_b64 s[12:13], s[12:13], 4
	s_waitcnt lgkmcnt(0)
	s_add_u32 s28, s10, s12
	s_addc_u32 s29, s11, s13
.LBB229_3:
	s_load_dwordx8 s[36:43], s[6:7], 0x48
	s_waitcnt lgkmcnt(0)
	s_cmp_eq_u64 s[36:37], 0
	s_cbranch_scc1 .LBB229_5
; %bb.4:
	s_mul_i32 s12, s14, s41
	s_mul_hi_u32 s13, s14, s40
	s_add_i32 s12, s13, s12
	s_mul_i32 s13, s15, s40
	s_add_i32 s13, s12, s13
	s_mul_i32 s12, s14, s40
	s_ashr_i32 s11, s38, 31
	s_lshl_b64 s[12:13], s[12:13], 4
	s_mov_b32 s10, s38
	s_add_u32 s12, s36, s12
	s_addc_u32 s13, s37, s13
	s_lshl_b64 s[10:11], s[10:11], 4
	s_add_u32 s34, s12, s10
	s_addc_u32 s35, s13, s11
.LBB229_5:
	s_load_dwordx4 s[52:55], s[6:7], 0x78
	s_load_dwordx2 s[56:57], s[6:7], 0x68
	s_cmp_eq_u64 s[42:43], 0
	s_mov_b64 s[36:37], 0
	s_cbranch_scc1 .LBB229_7
; %bb.6:
	s_lshl_b64 s[10:11], s[14:15], 3
	s_add_u32 s10, s42, s10
	s_addc_u32 s11, s43, s11
	s_load_dwordx2 s[10:11], s[10:11], 0x0
	s_waitcnt lgkmcnt(0)
	s_ashr_i32 s13, s56, 31
	s_mov_b32 s12, s56
	s_lshl_b64 s[12:13], s[12:13], 4
	s_add_u32 s36, s10, s12
	s_addc_u32 s37, s11, s13
.LBB229_7:
	s_mul_i32 s10, s14, s47
	s_mul_hi_u32 s11, s14, s46
	s_add_i32 s10, s11, s10
	s_mul_i32 s11, s15, s46
	s_add_i32 s11, s10, s11
	s_mul_i32 s10, s14, s46
	s_lshl_b64 s[60:61], s[10:11], 3
	s_add_u32 s46, s44, s60
	s_load_dwordx4 s[40:43], s[6:7], 0x0
	s_addc_u32 s47, s45, s61
	s_lshr_b32 s10, s8, 16
	s_and_b32 s38, s8, 0xffff
	v_bfe_u32 v43, v0, 10, 10
	v_bfe_u32 v44, v0, 20, 10
	s_mul_i32 s58, s10, s38
	v_and_b32_e32 v42, 0x3ff, v0
	v_mul_u32_u24_e32 v0, s38, v43
	v_mul_lo_u32 v1, s58, v44
	v_add3_u32 v41, v0, v42, v1
	s_and_b32 s8, s9, 0xffff
	s_mul_i32 s58, s58, s8
	s_waitcnt lgkmcnt(0)
	s_cmp_lt_i32 s40, 1
	v_cmp_eq_u32_e64 s[8:9], 0, v41
	s_cbranch_scc1 .LBB229_22
; %bb.8:
	s_mul_i32 s10, s14, s51
	s_mul_hi_u32 s11, s14, s50
	s_add_i32 s10, s11, s10
	s_mul_i32 s11, s15, s50
	s_add_i32 s11, s10, s11
	s_mul_i32 s10, s14, s50
	s_lshl_b64 s[10:11], s[10:11], 3
	s_add_u32 s15, s48, s10
	s_addc_u32 s24, s49, s11
	s_add_i32 s25, s40, -1
	s_cmp_lg_u32 s41, 0
	s_cselect_b64 s[12:13], -1, 0
	s_mov_b32 s17, 0
	v_cndmask_b32_e64 v0, 0, 1, s[12:13]
	v_cmp_gt_u32_e64 s[10:11], s41, v41
	s_ashr_i32 s30, s59, 31
	s_mov_b32 s31, s59
	v_mov_b32_e32 v2, 0
	v_cmp_ne_u32_e64 s[12:13], 1, v0
	v_mov_b32_e32 v3, s29
	s_mov_b32 s16, s17
	s_mov_b32 s56, s17
	s_branch .LBB229_11
.LBB229_9:                              ;   in Loop: Header=BB229_11 Depth=1
	s_or_b64 exec, exec, s[20:21]
.LBB229_10:                             ;   in Loop: Header=BB229_11 Depth=1
	s_add_i32 s16, s16, 1
	s_cmp_eq_u32 s16, s40
	s_cbranch_scc1 .LBB229_23
.LBB229_11:                             ; =>This Loop Header: Depth=1
                                        ;     Child Loop BB229_18 Depth 2
	s_cmp_ge_i32 s16, s25
	s_cbranch_scc1 .LBB229_14
; %bb.12:                               ;   in Loop: Header=BB229_11 Depth=1
	s_lshl_b64 s[18:19], s[16:17], 3
	s_add_u32 s18, s15, s18
	s_addc_u32 s19, s24, s19
	global_load_dwordx2 v[0:1], v2, s[18:19]
	s_waitcnt vmcnt(0)
	v_cmp_eq_f64_e32 vcc, 0, v[0:1]
	s_cbranch_vccnz .LBB229_14
; %bb.13:                               ;   in Loop: Header=BB229_11 Depth=1
	s_add_i32 s56, s56, 1
.LBB229_14:                             ;   in Loop: Header=BB229_11 Depth=1
	s_lshl_b64 s[18:19], s[16:17], 3
	s_add_u32 s18, s46, s18
	s_addc_u32 s19, s47, s19
	global_load_dwordx2 v[0:1], v2, s[18:19]
	s_waitcnt vmcnt(0)
	v_cmp_ngt_f64_e32 vcc, 0, v[0:1]
	s_cbranch_vccnz .LBB229_10
; %bb.15:                               ;   in Loop: Header=BB229_11 Depth=1
	s_and_b64 vcc, exec, s[12:13]
	s_cbranch_vccnz .LBB229_20
; %bb.16:                               ;   in Loop: Header=BB229_11 Depth=1
	s_and_saveexec_b64 s[20:21], s[10:11]
	s_cbranch_execz .LBB229_19
; %bb.17:                               ;   in Loop: Header=BB229_11 Depth=1
	s_mov_b64 s[22:23], 0
	v_pk_mov_b32 v[0:1], s[16:17], s[16:17] op_sel:[0,1]
	v_mov_b32_e32 v4, v41
.LBB229_18:                             ;   Parent Loop BB229_11 Depth=1
                                        ; =>  This Inner Loop Header: Depth=2
	v_mad_u64_u32 v[6:7], s[48:49], v4, s31, v[0:1]
	v_mov_b32_e32 v8, v7
	v_mad_u64_u32 v[8:9], s[48:49], v4, s30, v[8:9]
	v_mov_b32_e32 v7, v8
	v_lshlrev_b64 v[6:7], 4, v[6:7]
	v_add_co_u32_e32 v10, vcc, s28, v6
	v_addc_co_u32_e32 v11, vcc, v3, v7, vcc
	flat_load_dwordx4 v[6:9], v[10:11]
	v_add_u32_e32 v4, s58, v4
	v_cmp_le_u32_e32 vcc, s41, v4
	s_or_b64 s[22:23], vcc, s[22:23]
	s_waitcnt vmcnt(0) lgkmcnt(0)
	v_xor_b32_e32 v7, 0x80000000, v7
	v_xor_b32_e32 v9, 0x80000000, v9
	flat_store_dwordx4 v[10:11], v[6:9]
	s_andn2_b64 exec, exec, s[22:23]
	s_cbranch_execnz .LBB229_18
.LBB229_19:                             ;   in Loop: Header=BB229_11 Depth=1
	s_or_b64 exec, exec, s[20:21]
	s_waitcnt lgkmcnt(0)
	s_barrier
.LBB229_20:                             ;   in Loop: Header=BB229_11 Depth=1
	s_and_saveexec_b64 s[20:21], s[8:9]
	s_cbranch_execz .LBB229_9
; %bb.21:                               ;   in Loop: Header=BB229_11 Depth=1
	global_load_dwordx2 v[0:1], v2, s[18:19]
	s_waitcnt vmcnt(0)
	v_xor_b32_e32 v1, 0x80000000, v1
	global_store_dwordx2 v2, v[0:1], s[18:19]
	s_branch .LBB229_9
.LBB229_22:
	s_mov_b32 s56, 0
.LBB229_23:
	s_cmp_lt_i32 s56, 1
	s_mov_b64 s[8:9], -1
	s_cbranch_scc0 .LBB229_257
; %bb.24:
	s_mul_i32 s8, s14, s40
	s_lshl_b32 s8, s8, 1
	s_ashr_i32 s9, s8, 31
	s_lshl_b64 s[8:9], s[8:9], 2
	s_add_u32 s8, s54, s8
	s_addc_u32 s9, s55, s9
	s_cmp_lg_u64 s[54:55], 0
	s_cselect_b32 s51, s9, 0
	s_cselect_b32 s50, s8, 0
	s_mov_b64 s[62:63], 0
	s_cmp_lg_u64 s[50:51], 0
	s_barrier
	s_cbranch_scc0 .LBB229_38
; %bb.25:
	s_or_b32 s8, s42, s41
	s_or_b32 s10, s8, s43
	s_cmp_gt_i32 s40, 0
	s_cselect_b64 s[64:65], -1, 0
	s_cmp_lg_u64 s[44:45], 0
	s_cselect_b64 s[8:9], -1, 0
	s_and_b64 s[48:49], s[64:65], s[8:9]
	s_cmp_eq_u32 s10, 0
	s_cbranch_scc1 .LBB229_39
; %bb.26:
	s_mov_b64 s[66:67], -1
	s_mov_b64 s[54:55], 0
	s_and_b64 vcc, exec, s[48:49]
	s_cbranch_vccz .LBB229_117
; %bb.27:
	v_cmp_gt_u32_e32 vcc, s40, v41
	s_barrier
	s_and_saveexec_b64 s[8:9], vcc
	s_cbranch_execz .LBB229_30
; %bb.28:
	s_mov_b64 s[10:11], 0
	v_mov_b32_e32 v1, 0
	v_mov_b32_e32 v2, s51
	;; [unrolled: 1-line block ×3, first 2 shown]
.LBB229_29:                             ; =>This Inner Loop Header: Depth=1
	v_lshlrev_b64 v[4:5], 2, v[0:1]
	v_add_co_u32_e32 v4, vcc, s50, v4
	v_addc_co_u32_e32 v5, vcc, v2, v5, vcc
	global_store_dword v[4:5], v0, off
	v_add_u32_e32 v0, s58, v0
	v_cmp_le_u32_e32 vcc, s40, v0
	s_or_b64 s[10:11], vcc, s[10:11]
	s_andn2_b64 exec, exec, s[10:11]
	s_cbranch_execnz .LBB229_29
.LBB229_30:
	s_or_b64 exec, exec, s[8:9]
	v_or3_b32 v0, v43, v44, v42
	v_cmp_eq_u32_e32 vcc, 0, v0
	s_barrier
	s_and_saveexec_b64 s[8:9], vcc
	s_cbranch_execz .LBB229_101
; %bb.31:
	s_cmpk_lt_i32 s40, 0x2be
	s_cbranch_scc1 .LBB229_40
; %bb.32:
	s_add_u32 s10, s50, 0xaf4
	s_addc_u32 s11, s51, 0
	s_mov_b64 s[12:13], 0x2bd
	s_mov_b32 s15, 0
	v_mov_b32_e32 v4, 0
	v_mov_b32_e32 v5, 0x1000
	s_mov_b64 s[16:17], s[46:47]
	s_branch .LBB229_34
.LBB229_33:                             ;   in Loop: Header=BB229_34 Depth=1
	s_lshl_b64 s[18:19], s[24:25], 3
	s_add_u32 s18, s46, s18
	s_addc_u32 s19, s47, s19
	global_store_dwordx2 v4, v[0:1], s[18:19]
	s_lshl_b64 s[18:19], s[24:25], 2
	s_add_u32 s18, s50, s18
	s_addc_u32 s19, s51, s19
	s_add_u32 s12, s12, 1
	s_addc_u32 s13, s13, 0
	s_add_u32 s16, s16, 8
	s_addc_u32 s17, s17, 0
	s_add_u32 s10, s10, 4
	s_addc_u32 s11, s11, 0
	s_cmp_eq_u32 s12, s40
	global_store_dword v4, v6, s[18:19]
	s_cbranch_scc1 .LBB229_40
.LBB229_34:                             ; =>This Loop Header: Depth=1
                                        ;     Child Loop BB229_36 Depth 2
	s_mov_b32 s14, s12
	s_lshl_b64 s[18:19], s[14:15], 3
	s_add_u32 s18, s46, s18
	s_addc_u32 s19, s47, s19
	s_lshl_b64 s[20:21], s[14:15], 2
	s_add_u32 s20, s50, s20
	s_addc_u32 s21, s51, s21
	global_load_dwordx2 v[0:1], v4, s[18:19]
	global_load_dword v6, v4, s[20:21]
	s_mov_b64 s[22:23], s[10:11]
	s_mov_b64 s[18:19], s[16:17]
	;; [unrolled: 1-line block ×3, first 2 shown]
	s_branch .LBB229_36
.LBB229_35:                             ;   in Loop: Header=BB229_36 Depth=2
	global_load_dword v7, v4, s[22:23] offset:-2804
	s_add_u32 s62, s22, 0xfffff50c
	s_addc_u32 s63, s23, -1
	s_add_u32 s24, s20, 0xfffffd43
	s_addc_u32 s25, s21, -1
	global_store_dwordx2 v5, v[2:3], s[18:19] offset:1512
	s_add_u32 s18, s18, 0xffffea18
	s_addc_u32 s19, s19, -1
	s_cmpk_lt_i32 s20, 0x57a
	s_mov_b64 s[20:21], s[24:25]
	s_cselect_b64 s[30:31], -1, 0
	s_waitcnt vmcnt(1)
	global_store_dword v4, v7, s[22:23]
	s_mov_b64 s[22:23], s[62:63]
	s_andn2_b64 vcc, exec, s[30:31]
	s_cbranch_vccz .LBB229_33
.LBB229_36:                             ;   Parent Loop BB229_34 Depth=1
                                        ; =>  This Inner Loop Header: Depth=2
	global_load_dwordx2 v[2:3], v4, s[18:19]
	s_mov_b64 s[30:31], -1
	s_waitcnt vmcnt(0)
	v_cmp_nlt_f64_e32 vcc, v[2:3], v[0:1]
	s_cbranch_vccz .LBB229_35
; %bb.37:                               ;   in Loop: Header=BB229_36 Depth=2
                                        ; implicit-def: $sgpr18_sgpr19
                                        ; implicit-def: $sgpr22_sgpr23
	s_mov_b64 s[24:25], s[20:21]
	s_andn2_b64 vcc, exec, s[30:31]
	s_cbranch_vccnz .LBB229_36
	s_branch .LBB229_33
.LBB229_38:
	s_branch .LBB229_233
.LBB229_39:
	s_mov_b64 s[54:55], 0
	s_cbranch_execnz .LBB229_142
	s_branch .LBB229_228
.LBB229_40:
	s_cmpk_lt_i32 s40, 0x12e
	s_cbranch_scc1 .LBB229_49
; %bb.41:
	s_add_u32 s10, s50, 0x4b4
	s_addc_u32 s11, s51, 0
	s_mov_b64 s[12:13], 0x12d
	s_mov_b32 s15, 0
	v_mov_b32_e32 v4, 0
	s_mov_b64 s[16:17], s[46:47]
	s_branch .LBB229_43
.LBB229_42:                             ;   in Loop: Header=BB229_43 Depth=1
	s_lshl_b64 s[20:21], s[18:19], 3
	s_add_u32 s20, s46, s20
	s_addc_u32 s21, s47, s21
	s_lshl_b64 s[18:19], s[18:19], 2
	s_add_u32 s18, s50, s18
	s_addc_u32 s19, s51, s19
	s_add_u32 s12, s12, 1
	s_addc_u32 s13, s13, 0
	;; [unrolled: 2-line block ×4, first 2 shown]
	s_cmp_lg_u32 s12, s40
	global_store_dwordx2 v4, v[0:1], s[20:21]
	global_store_dword v4, v5, s[18:19]
	s_cbranch_scc0 .LBB229_49
.LBB229_43:                             ; =>This Loop Header: Depth=1
                                        ;     Child Loop BB229_45 Depth 2
	s_mov_b32 s14, s12
	s_lshl_b64 s[18:19], s[14:15], 3
	s_add_u32 s18, s46, s18
	s_addc_u32 s19, s47, s19
	s_lshl_b64 s[20:21], s[14:15], 2
	s_add_u32 s20, s50, s20
	s_addc_u32 s21, s51, s21
	global_load_dwordx2 v[0:1], v4, s[18:19]
	global_load_dword v5, v4, s[20:21]
	s_mov_b64 s[20:21], s[16:17]
	s_mov_b64 s[22:23], s[10:11]
	;; [unrolled: 1-line block ×3, first 2 shown]
	s_branch .LBB229_45
.LBB229_44:                             ;   in Loop: Header=BB229_45 Depth=2
	global_load_dword v6, v4, s[22:23] offset:-1204
	s_add_u32 s66, s22, 0xfffffb4c
	s_addc_u32 s67, s23, -1
	s_add_u32 s30, s18, 0xfffffed3
	s_addc_u32 s31, s19, -1
	global_store_dwordx2 v4, v[2:3], s[20:21] offset:2408
	s_add_u32 s20, s20, 0xfffff698
	s_addc_u32 s21, s21, -1
	s_cmpk_lt_i32 s18, 0x25a
	s_mov_b64 s[24:25], 0
	s_mov_b64 s[18:19], s[30:31]
	s_cselect_b64 s[62:63], -1, 0
	s_waitcnt vmcnt(1)
	global_store_dword v4, v6, s[22:23]
	s_mov_b64 s[22:23], s[66:67]
	s_andn2_b64 vcc, exec, s[62:63]
	s_cbranch_vccz .LBB229_47
.LBB229_45:                             ;   Parent Loop BB229_43 Depth=1
                                        ; =>  This Inner Loop Header: Depth=2
	global_load_dwordx2 v[2:3], v4, s[20:21]
	s_mov_b64 s[24:25], -1
	s_waitcnt vmcnt(0)
	v_cmp_nlt_f64_e32 vcc, v[2:3], v[0:1]
	s_cbranch_vccz .LBB229_44
; %bb.46:                               ;   in Loop: Header=BB229_43 Depth=1
                                        ; implicit-def: $sgpr22_sgpr23
                                        ; implicit-def: $sgpr20_sgpr21
                                        ; implicit-def: $sgpr30_sgpr31
.LBB229_47:                             ;   in Loop: Header=BB229_43 Depth=1
	s_andn2_b64 vcc, exec, s[24:25]
	s_cbranch_vccz .LBB229_42
; %bb.48:                               ;   in Loop: Header=BB229_43 Depth=1
	s_bfe_i64 s[18:19], s[30:31], 0x200000
	s_branch .LBB229_42
.LBB229_49:
	s_cmpk_lt_i32 s40, 0x85
	s_cbranch_scc1 .LBB229_58
; %bb.50:
	s_add_u32 s10, s50, 0x210
	s_addc_u32 s11, s51, 0
	s_mov_b64 s[12:13], 0x84
	s_mov_b32 s15, 0
	v_mov_b32_e32 v4, 0
	s_mov_b64 s[16:17], s[46:47]
	s_branch .LBB229_52
.LBB229_51:                             ;   in Loop: Header=BB229_52 Depth=1
	s_lshl_b64 s[20:21], s[18:19], 3
	s_add_u32 s20, s46, s20
	s_addc_u32 s21, s47, s21
	s_lshl_b64 s[18:19], s[18:19], 2
	s_add_u32 s18, s50, s18
	s_addc_u32 s19, s51, s19
	s_add_u32 s12, s12, 1
	s_addc_u32 s13, s13, 0
	;; [unrolled: 2-line block ×4, first 2 shown]
	s_cmp_lg_u32 s12, s40
	global_store_dwordx2 v4, v[0:1], s[20:21]
	global_store_dword v4, v5, s[18:19]
	s_cbranch_scc0 .LBB229_58
.LBB229_52:                             ; =>This Loop Header: Depth=1
                                        ;     Child Loop BB229_54 Depth 2
	s_mov_b32 s14, s12
	s_lshl_b64 s[18:19], s[14:15], 3
	s_add_u32 s18, s46, s18
	s_addc_u32 s19, s47, s19
	s_lshl_b64 s[20:21], s[14:15], 2
	s_add_u32 s20, s50, s20
	s_addc_u32 s21, s51, s21
	global_load_dwordx2 v[0:1], v4, s[18:19]
	global_load_dword v5, v4, s[20:21]
	s_mov_b64 s[20:21], s[16:17]
	s_mov_b64 s[22:23], s[10:11]
	;; [unrolled: 1-line block ×3, first 2 shown]
	s_branch .LBB229_54
.LBB229_53:                             ;   in Loop: Header=BB229_54 Depth=2
	global_load_dword v6, v4, s[22:23] offset:-528
	s_add_u32 s66, s22, 0xfffffdf0
	s_addc_u32 s67, s23, -1
	s_add_u32 s30, s18, 0xffffff7c
	s_addc_u32 s31, s19, -1
	global_store_dwordx2 v4, v[2:3], s[20:21] offset:1056
	s_add_u32 s20, s20, 0xfffffbe0
	s_addc_u32 s21, s21, -1
	s_cmpk_lt_i32 s18, 0x108
	s_mov_b64 s[24:25], 0
	s_mov_b64 s[18:19], s[30:31]
	s_cselect_b64 s[62:63], -1, 0
	s_waitcnt vmcnt(1)
	global_store_dword v4, v6, s[22:23]
	s_mov_b64 s[22:23], s[66:67]
	s_andn2_b64 vcc, exec, s[62:63]
	s_cbranch_vccz .LBB229_56
.LBB229_54:                             ;   Parent Loop BB229_52 Depth=1
                                        ; =>  This Inner Loop Header: Depth=2
	global_load_dwordx2 v[2:3], v4, s[20:21]
	s_mov_b64 s[24:25], -1
	s_waitcnt vmcnt(0)
	v_cmp_nlt_f64_e32 vcc, v[2:3], v[0:1]
	s_cbranch_vccz .LBB229_53
; %bb.55:                               ;   in Loop: Header=BB229_52 Depth=1
                                        ; implicit-def: $sgpr22_sgpr23
                                        ; implicit-def: $sgpr20_sgpr21
                                        ; implicit-def: $sgpr30_sgpr31
.LBB229_56:                             ;   in Loop: Header=BB229_52 Depth=1
	s_andn2_b64 vcc, exec, s[24:25]
	s_cbranch_vccz .LBB229_51
; %bb.57:                               ;   in Loop: Header=BB229_52 Depth=1
	s_bfe_i64 s[18:19], s[30:31], 0x200000
	s_branch .LBB229_51
.LBB229_58:
	s_cmp_lt_i32 s40, 58
	s_cbranch_scc1 .LBB229_67
; %bb.59:
	s_add_u32 s10, s50, 0xe4
	s_addc_u32 s11, s51, 0
	s_mov_b64 s[12:13], 57
	s_mov_b32 s15, 0
	v_mov_b32_e32 v4, 0
	s_mov_b64 s[16:17], s[46:47]
	s_branch .LBB229_61
.LBB229_60:                             ;   in Loop: Header=BB229_61 Depth=1
	s_lshl_b64 s[20:21], s[18:19], 3
	s_add_u32 s20, s46, s20
	s_addc_u32 s21, s47, s21
	s_lshl_b64 s[18:19], s[18:19], 2
	s_add_u32 s18, s50, s18
	s_addc_u32 s19, s51, s19
	s_add_u32 s12, s12, 1
	s_addc_u32 s13, s13, 0
	;; [unrolled: 2-line block ×4, first 2 shown]
	s_cmp_lg_u32 s12, s40
	global_store_dwordx2 v4, v[0:1], s[20:21]
	global_store_dword v4, v5, s[18:19]
	s_cbranch_scc0 .LBB229_67
.LBB229_61:                             ; =>This Loop Header: Depth=1
                                        ;     Child Loop BB229_63 Depth 2
	s_mov_b32 s14, s12
	s_lshl_b64 s[18:19], s[14:15], 3
	s_add_u32 s18, s46, s18
	s_addc_u32 s19, s47, s19
	s_lshl_b64 s[20:21], s[14:15], 2
	s_add_u32 s20, s50, s20
	s_addc_u32 s21, s51, s21
	global_load_dwordx2 v[0:1], v4, s[18:19]
	global_load_dword v5, v4, s[20:21]
	s_mov_b64 s[20:21], s[16:17]
	s_mov_b64 s[22:23], s[10:11]
	;; [unrolled: 1-line block ×3, first 2 shown]
	s_branch .LBB229_63
.LBB229_62:                             ;   in Loop: Header=BB229_63 Depth=2
	global_load_dword v6, v4, s[22:23] offset:-228
	s_add_u32 s66, s22, 0xffffff1c
	s_addc_u32 s67, s23, -1
	s_add_u32 s30, s18, 0xffffffc7
	s_addc_u32 s31, s19, -1
	global_store_dwordx2 v4, v[2:3], s[20:21] offset:456
	s_add_u32 s20, s20, 0xfffffe38
	s_addc_u32 s21, s21, -1
	s_cmpk_lt_i32 s18, 0x72
	s_mov_b64 s[24:25], 0
	s_mov_b64 s[18:19], s[30:31]
	s_cselect_b64 s[62:63], -1, 0
	s_waitcnt vmcnt(1)
	global_store_dword v4, v6, s[22:23]
	s_mov_b64 s[22:23], s[66:67]
	s_andn2_b64 vcc, exec, s[62:63]
	s_cbranch_vccz .LBB229_65
.LBB229_63:                             ;   Parent Loop BB229_61 Depth=1
                                        ; =>  This Inner Loop Header: Depth=2
	global_load_dwordx2 v[2:3], v4, s[20:21]
	s_mov_b64 s[24:25], -1
	s_waitcnt vmcnt(0)
	v_cmp_nlt_f64_e32 vcc, v[2:3], v[0:1]
	s_cbranch_vccz .LBB229_62
; %bb.64:                               ;   in Loop: Header=BB229_61 Depth=1
                                        ; implicit-def: $sgpr22_sgpr23
                                        ; implicit-def: $sgpr20_sgpr21
                                        ; implicit-def: $sgpr30_sgpr31
.LBB229_65:                             ;   in Loop: Header=BB229_61 Depth=1
	s_andn2_b64 vcc, exec, s[24:25]
	s_cbranch_vccz .LBB229_60
; %bb.66:                               ;   in Loop: Header=BB229_61 Depth=1
	s_bfe_i64 s[18:19], s[30:31], 0x200000
	s_branch .LBB229_60
.LBB229_67:
	s_cmp_lt_i32 s40, 24
	s_cbranch_scc1 .LBB229_76
; %bb.68:
	s_add_u32 s10, s50, 0x5c
	s_addc_u32 s11, s51, 0
	s_mov_b64 s[12:13], 23
	s_mov_b32 s15, 0
	v_mov_b32_e32 v4, 0
	s_mov_b64 s[16:17], s[46:47]
	s_branch .LBB229_70
.LBB229_69:                             ;   in Loop: Header=BB229_70 Depth=1
	s_lshl_b64 s[20:21], s[18:19], 3
	s_add_u32 s20, s46, s20
	s_addc_u32 s21, s47, s21
	s_lshl_b64 s[18:19], s[18:19], 2
	s_add_u32 s18, s50, s18
	s_addc_u32 s19, s51, s19
	s_add_u32 s12, s12, 1
	s_addc_u32 s13, s13, 0
	;; [unrolled: 2-line block ×4, first 2 shown]
	s_cmp_lg_u32 s12, s40
	global_store_dwordx2 v4, v[0:1], s[20:21]
	global_store_dword v4, v5, s[18:19]
	s_cbranch_scc0 .LBB229_76
.LBB229_70:                             ; =>This Loop Header: Depth=1
                                        ;     Child Loop BB229_72 Depth 2
	s_mov_b32 s14, s12
	s_lshl_b64 s[18:19], s[14:15], 3
	s_add_u32 s18, s46, s18
	s_addc_u32 s19, s47, s19
	s_lshl_b64 s[20:21], s[14:15], 2
	s_add_u32 s20, s50, s20
	s_addc_u32 s21, s51, s21
	global_load_dwordx2 v[0:1], v4, s[18:19]
	global_load_dword v5, v4, s[20:21]
	s_mov_b64 s[20:21], s[16:17]
	s_mov_b64 s[22:23], s[10:11]
	;; [unrolled: 1-line block ×3, first 2 shown]
	s_branch .LBB229_72
.LBB229_71:                             ;   in Loop: Header=BB229_72 Depth=2
	global_load_dword v6, v4, s[22:23] offset:-92
	s_add_u32 s66, s22, 0xffffffa4
	s_addc_u32 s67, s23, -1
	s_add_u32 s30, s18, 0xffffffe9
	s_addc_u32 s31, s19, -1
	global_store_dwordx2 v4, v[2:3], s[20:21] offset:184
	s_add_u32 s20, s20, 0xffffff48
	s_addc_u32 s21, s21, -1
	s_cmp_lt_i32 s18, 46
	s_mov_b64 s[24:25], 0
	s_mov_b64 s[18:19], s[30:31]
	s_cselect_b64 s[62:63], -1, 0
	s_waitcnt vmcnt(1)
	global_store_dword v4, v6, s[22:23]
	s_mov_b64 s[22:23], s[66:67]
	s_andn2_b64 vcc, exec, s[62:63]
	s_cbranch_vccz .LBB229_74
.LBB229_72:                             ;   Parent Loop BB229_70 Depth=1
                                        ; =>  This Inner Loop Header: Depth=2
	global_load_dwordx2 v[2:3], v4, s[20:21]
	s_mov_b64 s[24:25], -1
	s_waitcnt vmcnt(0)
	v_cmp_nlt_f64_e32 vcc, v[2:3], v[0:1]
	s_cbranch_vccz .LBB229_71
; %bb.73:                               ;   in Loop: Header=BB229_70 Depth=1
                                        ; implicit-def: $sgpr22_sgpr23
                                        ; implicit-def: $sgpr20_sgpr21
                                        ; implicit-def: $sgpr30_sgpr31
.LBB229_74:                             ;   in Loop: Header=BB229_70 Depth=1
	s_andn2_b64 vcc, exec, s[24:25]
	s_cbranch_vccz .LBB229_69
; %bb.75:                               ;   in Loop: Header=BB229_70 Depth=1
	s_bfe_i64 s[18:19], s[30:31], 0x200000
	s_branch .LBB229_69
.LBB229_76:
	s_cmp_lt_i32 s40, 11
	s_cbranch_scc1 .LBB229_85
; %bb.77:
	s_add_u32 s10, s50, 40
	s_addc_u32 s11, s51, 0
	s_mov_b64 s[12:13], 10
	s_mov_b32 s15, 0
	v_mov_b32_e32 v4, 0
	s_mov_b64 s[16:17], s[46:47]
	s_branch .LBB229_79
.LBB229_78:                             ;   in Loop: Header=BB229_79 Depth=1
	s_lshl_b64 s[20:21], s[18:19], 3
	s_add_u32 s20, s46, s20
	s_addc_u32 s21, s47, s21
	s_lshl_b64 s[18:19], s[18:19], 2
	s_add_u32 s18, s50, s18
	s_addc_u32 s19, s51, s19
	s_add_u32 s12, s12, 1
	s_addc_u32 s13, s13, 0
	;; [unrolled: 2-line block ×4, first 2 shown]
	s_cmp_lg_u32 s12, s40
	global_store_dwordx2 v4, v[0:1], s[20:21]
	global_store_dword v4, v5, s[18:19]
	s_cbranch_scc0 .LBB229_85
.LBB229_79:                             ; =>This Loop Header: Depth=1
                                        ;     Child Loop BB229_81 Depth 2
	s_mov_b32 s14, s12
	s_lshl_b64 s[18:19], s[14:15], 3
	s_add_u32 s18, s46, s18
	s_addc_u32 s19, s47, s19
	s_lshl_b64 s[20:21], s[14:15], 2
	s_add_u32 s20, s50, s20
	s_addc_u32 s21, s51, s21
	global_load_dwordx2 v[0:1], v4, s[18:19]
	global_load_dword v5, v4, s[20:21]
	s_mov_b64 s[20:21], s[16:17]
	s_mov_b64 s[22:23], s[10:11]
	;; [unrolled: 1-line block ×3, first 2 shown]
	s_branch .LBB229_81
.LBB229_80:                             ;   in Loop: Header=BB229_81 Depth=2
	global_load_dword v6, v4, s[22:23] offset:-40
	s_add_u32 s66, s22, 0xffffffd8
	s_addc_u32 s67, s23, -1
	s_add_u32 s30, s18, -10
	s_addc_u32 s31, s19, -1
	global_store_dwordx2 v4, v[2:3], s[20:21] offset:80
	s_add_u32 s20, s20, 0xffffffb0
	s_addc_u32 s21, s21, -1
	s_cmp_lt_i32 s18, 20
	s_mov_b64 s[24:25], 0
	s_mov_b64 s[18:19], s[30:31]
	s_cselect_b64 s[62:63], -1, 0
	s_waitcnt vmcnt(1)
	global_store_dword v4, v6, s[22:23]
	s_mov_b64 s[22:23], s[66:67]
	s_andn2_b64 vcc, exec, s[62:63]
	s_cbranch_vccz .LBB229_83
.LBB229_81:                             ;   Parent Loop BB229_79 Depth=1
                                        ; =>  This Inner Loop Header: Depth=2
	global_load_dwordx2 v[2:3], v4, s[20:21]
	s_mov_b64 s[24:25], -1
	s_waitcnt vmcnt(0)
	v_cmp_nlt_f64_e32 vcc, v[2:3], v[0:1]
	s_cbranch_vccz .LBB229_80
; %bb.82:                               ;   in Loop: Header=BB229_79 Depth=1
                                        ; implicit-def: $sgpr22_sgpr23
                                        ; implicit-def: $sgpr20_sgpr21
                                        ; implicit-def: $sgpr30_sgpr31
.LBB229_83:                             ;   in Loop: Header=BB229_79 Depth=1
	s_andn2_b64 vcc, exec, s[24:25]
	s_cbranch_vccz .LBB229_78
; %bb.84:                               ;   in Loop: Header=BB229_79 Depth=1
	s_bfe_i64 s[18:19], s[30:31], 0x200000
	s_branch .LBB229_78
.LBB229_85:
	s_cmp_lt_i32 s40, 5
	s_cbranch_scc1 .LBB229_94
; %bb.86:
	s_add_u32 s10, s50, 16
	s_addc_u32 s11, s51, 0
	s_add_u32 s12, s60, s44
	s_addc_u32 s13, s61, s45
	;; [unrolled: 2-line block ×3, first 2 shown]
	s_mov_b64 s[14:15], 4
	s_mov_b32 s17, 0
	v_mov_b32_e32 v4, 0
	s_branch .LBB229_88
.LBB229_87:                             ;   in Loop: Header=BB229_88 Depth=1
	s_lshl_b64 s[20:21], s[18:19], 3
	s_add_u32 s20, s46, s20
	s_addc_u32 s21, s47, s21
	s_lshl_b64 s[18:19], s[18:19], 2
	s_add_u32 s18, s50, s18
	s_addc_u32 s19, s51, s19
	s_add_u32 s14, s14, 1
	s_addc_u32 s15, s15, 0
	;; [unrolled: 2-line block ×4, first 2 shown]
	s_cmp_lg_u32 s14, s40
	global_store_dwordx2 v4, v[0:1], s[20:21]
	global_store_dword v4, v5, s[18:19]
	s_cbranch_scc0 .LBB229_94
.LBB229_88:                             ; =>This Loop Header: Depth=1
                                        ;     Child Loop BB229_90 Depth 2
	s_mov_b32 s16, s14
	s_lshl_b64 s[18:19], s[16:17], 3
	s_add_u32 s18, s46, s18
	s_addc_u32 s19, s47, s19
	s_lshl_b64 s[20:21], s[16:17], 2
	s_add_u32 s20, s50, s20
	s_addc_u32 s21, s51, s21
	global_load_dwordx2 v[0:1], v4, s[18:19]
	global_load_dword v5, v4, s[20:21]
	s_mov_b64 s[22:23], s[12:13]
	s_mov_b64 s[20:21], s[10:11]
	;; [unrolled: 1-line block ×3, first 2 shown]
	s_branch .LBB229_90
.LBB229_89:                             ;   in Loop: Header=BB229_90 Depth=2
	global_load_dword v6, v4, s[20:21] offset:-16
	s_mov_b64 s[24:25], 0
	global_store_dwordx2 v4, v[2:3], s[22:23]
	s_add_u32 s22, s20, -16
	s_addc_u32 s23, s21, -1
	s_add_u32 s30, s18, -4
	s_addc_u32 s31, s19, -1
	s_cmp_lt_i32 s18, 8
	s_mov_b64 s[18:19], s[30:31]
	s_cselect_b64 s[66:67], -1, 0
	s_waitcnt vmcnt(1)
	global_store_dword v4, v6, s[20:21]
	s_mov_b64 s[20:21], s[22:23]
	s_mov_b64 s[22:23], s[62:63]
	s_andn2_b64 vcc, exec, s[66:67]
	s_cbranch_vccz .LBB229_92
.LBB229_90:                             ;   Parent Loop BB229_88 Depth=1
                                        ; =>  This Inner Loop Header: Depth=2
	global_load_dwordx2 v[2:3], v4, s[22:23] offset:-32
	s_add_u32 s62, s22, 0xffffffe0
	s_addc_u32 s63, s23, -1
	s_mov_b64 s[24:25], -1
	s_waitcnt vmcnt(0)
	v_cmp_nlt_f64_e32 vcc, v[2:3], v[0:1]
	s_cbranch_vccz .LBB229_89
; %bb.91:                               ;   in Loop: Header=BB229_88 Depth=1
                                        ; implicit-def: $sgpr20_sgpr21
                                        ; implicit-def: $sgpr22_sgpr23
                                        ; implicit-def: $sgpr30_sgpr31
.LBB229_92:                             ;   in Loop: Header=BB229_88 Depth=1
	s_andn2_b64 vcc, exec, s[24:25]
	s_cbranch_vccz .LBB229_87
; %bb.93:                               ;   in Loop: Header=BB229_88 Depth=1
	s_bfe_i64 s[18:19], s[30:31], 0x200000
	s_branch .LBB229_87
.LBB229_94:
	s_cmp_lt_i32 s40, 2
	s_cbranch_scc1 .LBB229_101
; %bb.95:
	s_add_u32 s10, s50, 4
	s_addc_u32 s11, s51, 0
	s_add_u32 s12, s60, s44
	s_addc_u32 s13, s61, s45
	;; [unrolled: 2-line block ×3, first 2 shown]
	s_mov_b64 s[14:15], 1
	s_mov_b32 s17, 0
	v_mov_b32_e32 v4, 0
	s_branch .LBB229_97
.LBB229_96:                             ;   in Loop: Header=BB229_97 Depth=1
	s_lshl_b64 s[18:19], s[24:25], 3
	s_add_u32 s18, s46, s18
	s_addc_u32 s19, s47, s19
	global_store_dwordx2 v4, v[0:1], s[18:19]
	s_lshl_b64 s[18:19], s[24:25], 2
	s_add_u32 s18, s50, s18
	s_addc_u32 s19, s51, s19
	s_add_u32 s14, s14, 1
	s_addc_u32 s15, s15, 0
	;; [unrolled: 2-line block ×4, first 2 shown]
	s_cmp_eq_u32 s14, s40
	global_store_dword v4, v5, s[18:19]
	s_cbranch_scc1 .LBB229_101
.LBB229_97:                             ; =>This Loop Header: Depth=1
                                        ;     Child Loop BB229_99 Depth 2
	s_mov_b32 s16, s14
	s_lshl_b64 s[18:19], s[16:17], 3
	s_add_u32 s18, s46, s18
	s_addc_u32 s19, s47, s19
	s_lshl_b64 s[20:21], s[16:17], 2
	s_add_u32 s20, s50, s20
	s_addc_u32 s21, s51, s21
	global_load_dwordx2 v[0:1], v4, s[18:19]
	global_load_dword v5, v4, s[20:21]
	s_mov_b64 s[22:23], s[12:13]
	s_mov_b64 s[18:19], s[10:11]
	;; [unrolled: 1-line block ×3, first 2 shown]
	s_branch .LBB229_99
.LBB229_98:                             ;   in Loop: Header=BB229_99 Depth=2
	global_load_dword v6, v4, s[18:19] offset:-4
	s_mov_b64 s[24:25], 0
	global_store_dwordx2 v4, v[2:3], s[22:23]
	s_add_u32 s22, s18, -4
	s_addc_u32 s23, s19, -1
	s_add_u32 s62, s20, -1
	s_addc_u32 s63, s21, -1
	s_cmp_lt_i32 s20, 2
	s_mov_b64 s[20:21], s[62:63]
	s_cselect_b64 s[62:63], -1, 0
	s_waitcnt vmcnt(1)
	global_store_dword v4, v6, s[18:19]
	s_mov_b64 s[18:19], s[22:23]
	s_mov_b64 s[22:23], s[30:31]
	s_andn2_b64 vcc, exec, s[62:63]
	s_cbranch_vccz .LBB229_96
.LBB229_99:                             ;   Parent Loop BB229_97 Depth=1
                                        ; =>  This Inner Loop Header: Depth=2
	global_load_dwordx2 v[2:3], v4, s[22:23] offset:-8
	s_add_u32 s30, s22, -8
	s_addc_u32 s31, s23, -1
	s_mov_b64 s[62:63], -1
	s_waitcnt vmcnt(0)
	v_cmp_nlt_f64_e32 vcc, v[2:3], v[0:1]
	s_cbranch_vccz .LBB229_98
; %bb.100:                              ;   in Loop: Header=BB229_99 Depth=2
                                        ; implicit-def: $sgpr18_sgpr19
                                        ; implicit-def: $sgpr22_sgpr23
	s_mov_b64 s[24:25], s[20:21]
	s_andn2_b64 vcc, exec, s[62:63]
	s_cbranch_vccnz .LBB229_99
	s_branch .LBB229_96
.LBB229_101:
	s_or_b64 exec, exec, s[8:9]
	s_cmp_lt_i32 s40, 2
	s_cselect_b64 s[12:13], -1, 0
	s_mov_b64 s[66:67], 0
	s_and_b64 vcc, exec, s[12:13]
	s_barrier
	s_cbranch_vccnz .LBB229_109
; %bb.102:
	s_add_i32 s22, s40, -1
	v_cmp_gt_u32_e32 vcc, s22, v41
	s_mov_b64 s[12:13], -1
	s_mov_b64 s[8:9], 0
	s_and_saveexec_b64 s[10:11], vcc
	s_cbranch_execz .LBB229_111
; %bb.103:
	s_add_u32 s23, s46, 8
	s_addc_u32 s24, s47, 0
	s_mov_b64 s[12:13], 0
	v_mov_b32_e32 v1, 0
	v_mov_b32_e32 v4, s47
	;; [unrolled: 1-line block ×3, first 2 shown]
                                        ; implicit-def: $sgpr14_sgpr15
	s_branch .LBB229_105
.LBB229_104:                            ;   in Loop: Header=BB229_105 Depth=1
	s_or_b64 exec, exec, s[20:21]
	s_xor_b64 s[16:17], s[16:17], -1
	s_and_b64 s[8:9], exec, s[8:9]
	s_or_b64 s[12:13], s[8:9], s[12:13]
	s_andn2_b64 s[8:9], s[14:15], exec
	s_and_b64 s[14:15], s[16:17], exec
	s_or_b64 s[14:15], s[8:9], s[14:15]
	s_andn2_b64 exec, exec, s[12:13]
	s_cbranch_execz .LBB229_110
.LBB229_105:                            ; =>This Inner Loop Header: Depth=1
	v_lshlrev_b64 v[2:3], 3, v[0:1]
	v_add_co_u32_e32 v2, vcc, s46, v2
	v_addc_co_u32_e32 v3, vcc, v4, v3, vcc
	global_load_dwordx2 v[2:3], v[2:3], off
                                        ; implicit-def: $sgpr16_sgpr17
	s_waitcnt vmcnt(0)
	v_cmp_u_f64_e64 s[18:19], v[2:3], v[2:3]
	v_cmp_o_f64_e32 vcc, v[2:3], v[2:3]
	s_and_saveexec_b64 s[20:21], vcc
	s_cbranch_execz .LBB229_107
; %bb.106:                              ;   in Loop: Header=BB229_105 Depth=1
	v_ashrrev_i32_e32 v7, 31, v0
	v_mov_b32_e32 v6, v0
	v_lshlrev_b64 v[6:7], 3, v[6:7]
	v_mov_b32_e32 v5, s24
	v_add_co_u32_e32 v6, vcc, s23, v6
	v_addc_co_u32_e32 v7, vcc, v5, v7, vcc
	global_load_dwordx2 v[6:7], v[6:7], off
	s_andn2_b64 s[18:19], s[18:19], exec
	s_mov_b64 s[16:17], -1
	s_waitcnt vmcnt(0)
	v_cmp_u_f64_e32 vcc, v[6:7], v[6:7]
	v_cmp_ge_f64_e64 s[8:9], v[2:3], v[6:7]
	s_or_b64 s[8:9], vcc, s[8:9]
	s_and_b64 s[8:9], s[8:9], exec
	s_or_b64 s[18:19], s[18:19], s[8:9]
.LBB229_107:                            ;   in Loop: Header=BB229_105 Depth=1
	s_or_b64 exec, exec, s[20:21]
	s_mov_b64 s[8:9], -1
	s_and_saveexec_b64 s[20:21], s[18:19]
	s_cbranch_execz .LBB229_104
; %bb.108:                              ;   in Loop: Header=BB229_105 Depth=1
	v_add_u32_e32 v0, s58, v0
	v_cmp_le_u32_e32 vcc, s22, v0
	s_andn2_b64 s[16:17], s[16:17], exec
	s_orn2_b64 s[8:9], vcc, exec
	s_branch .LBB229_104
.LBB229_109:
	s_mov_b64 s[8:9], 0
	s_branch .LBB229_112
.LBB229_110:
	s_or_b64 exec, exec, s[12:13]
	s_mov_b64 s[8:9], exec
	s_orn2_b64 s[12:13], s[14:15], exec
.LBB229_111:
	s_or_b64 exec, exec, s[10:11]
.LBB229_112:
	s_and_saveexec_b64 s[10:11], s[12:13]
	s_cbranch_execz .LBB229_114
; %bb.113:
	s_mov_b64 s[66:67], exec
	s_barrier
	s_andn2_b64 s[8:9], s[8:9], exec
.LBB229_114:
	s_or_b64 exec, exec, s[10:11]
	s_mov_b64 s[62:63], 0
	s_and_saveexec_b64 s[68:69], s[8:9]
	s_cbranch_execz .LBB229_116
; %bb.115:
	s_add_u32 s8, s6, 0x90
	s_addc_u32 s9, s7, 0
	s_getpc_b64 s[10:11]
	s_add_u32 s10, s10, __PRETTY_FUNCTION__._ZN9rocsolver6v33100L21shell_sort_descendingIdiEEvT0_PT_PS2_@rel32@lo+4
	s_addc_u32 s11, s11, __PRETTY_FUNCTION__._ZN9rocsolver6v33100L21shell_sort_descendingIdiEEvT0_PT_PS2_@rel32@hi+12
	v_mov_b32_e32 v0, s10
	v_mov_b32_e32 v1, s11
	s_getpc_b64 s[12:13]
	s_add_u32 s12, s12, __assert_fail@rel32@lo+4
	s_addc_u32 s13, s13, __assert_fail@rel32@hi+12
	s_mov_b64 s[62:63], s[6:7]
	s_mov_b64 s[70:71], s[4:5]
	s_swappc_b64 s[30:31], s[12:13]
	s_mov_b64 s[4:5], s[70:71]
	s_mov_b64 s[6:7], s[62:63]
	s_mov_b64 s[62:63], exec
.LBB229_116:
	s_or_b64 exec, exec, s[68:69]
.LBB229_117:
	s_and_saveexec_b64 s[18:19], s[66:67]
	s_cbranch_execz .LBB229_141
; %bb.118:
	s_andn2_b64 vcc, exec, s[64:65]
	s_barrier
	s_cbranch_vccnz .LBB229_140
; %bb.119:
	s_load_dwordx2 s[10:11], s[4:5], 0x4
	s_mov_b32 s21, 0
	v_cmp_eq_u32_e64 s[4:5], 0, v41
	v_cmp_gt_u32_e64 s[8:9], s41, v41
	s_mov_b32 s72, s59
	s_waitcnt lgkmcnt(0)
	s_lshr_b32 s10, s10, 16
	s_mul_i32 s10, s10, s11
	s_cmp_gt_i32 s41, 0
	v_mul_lo_u32 v0, s10, v42
	s_cselect_b64 s[14:15], -1, 0
	s_ashr_i32 s33, s59, 31
	v_mad_u32_u24 v0, v43, s11, v0
	s_cmp_gt_i32 s42, 0
	v_add_lshl_u32 v2, v0, v44, 4
	s_cselect_b64 s[16:17], -1, 0
	v_cndmask_b32_e64 v0, 0, 1, s[14:15]
	s_cmp_gt_i32 s43, 0
	v_cmp_ne_u32_e64 s[14:15], 1, v0
	v_cndmask_b32_e64 v0, 0, 1, s[16:17]
	v_add_u32_e32 v3, 0x4000, v2
	v_cmp_gt_u32_e64 s[10:11], s42, v41
	s_mov_b32 s73, s39
	s_cselect_b64 s[22:23], -1, 0
	v_cmp_gt_u32_e64 s[12:13], s43, v41
	s_ashr_i32 s74, s57, 31
	s_mov_b32 s75, s57
	v_mov_b32_e32 v1, 0
	v_cmp_ne_u32_e64 s[16:17], 1, v0
	s_mov_b32 s20, s21
	s_branch .LBB229_121
.LBB229_120:                            ;   in Loop: Header=BB229_121 Depth=1
	s_add_i32 s20, s20, 1
	s_cmp_eq_u32 s20, s40
	s_cbranch_scc1 .LBB229_140
.LBB229_121:                            ; =>This Loop Header: Depth=1
                                        ;     Child Loop BB229_124 Depth 2
                                        ;       Child Loop BB229_129 Depth 3
                                        ;       Child Loop BB229_134 Depth 3
	;; [unrolled: 1-line block ×3, first 2 shown]
	s_lshl_b64 s[24:25], s[20:21], 2
	s_add_u32 s24, s50, s24
	s_addc_u32 s25, s51, s25
	global_load_dword v0, v1, s[24:25]
	s_waitcnt vmcnt(0)
	v_cmp_eq_u32_e32 vcc, s20, v0
	v_readfirstlane_b32 s30, v0
	s_cbranch_vccz .LBB229_124
	s_branch .LBB229_120
.LBB229_122:                            ;   in Loop: Header=BB229_124 Depth=2
	s_or_b64 exec, exec, s[64:65]
	s_waitcnt lgkmcnt(0)
	s_barrier
.LBB229_123:                            ;   in Loop: Header=BB229_124 Depth=2
	global_load_dword v0, v1, s[24:25]
	s_waitcnt vmcnt(0)
	v_cmp_ne_u32_e32 vcc, s20, v0
	v_readfirstlane_b32 s30, v0
	s_cbranch_vccz .LBB229_120
.LBB229_124:                            ;   Parent Loop BB229_121 Depth=1
                                        ; =>  This Loop Header: Depth=2
                                        ;       Child Loop BB229_129 Depth 3
                                        ;       Child Loop BB229_134 Depth 3
	;; [unrolled: 1-line block ×3, first 2 shown]
	s_ashr_i32 s31, s30, 31
	s_lshl_b64 s[54:55], s[30:31], 2
	s_add_u32 s64, s50, s54
	s_addc_u32 s65, s51, s55
	global_load_dword v0, v1, s[64:65]
	s_barrier
	s_waitcnt vmcnt(0)
	v_readfirstlane_b32 s54, v0
	s_and_saveexec_b64 s[66:67], s[4:5]
	s_cbranch_execz .LBB229_126
; %bb.125:                              ;   in Loop: Header=BB229_124 Depth=2
	v_mov_b32_e32 v0, s30
	global_store_dword v1, v0, s[64:65]
	v_mov_b32_e32 v0, s54
	global_store_dword v1, v0, s[24:25]
.LBB229_126:                            ;   in Loop: Header=BB229_124 Depth=2
	s_or_b64 exec, exec, s[66:67]
	s_and_b64 vcc, exec, s[14:15]
	s_barrier
	s_cbranch_vccnz .LBB229_131
; %bb.127:                              ;   in Loop: Header=BB229_124 Depth=2
	s_and_saveexec_b64 s[64:65], s[8:9]
	s_cbranch_execz .LBB229_130
; %bb.128:                              ;   in Loop: Header=BB229_124 Depth=2
	s_ashr_i32 s55, s54, 31
	s_mov_b64 s[66:67], 0
	s_lshl_b64 s[68:69], s[30:31], 4
	s_lshl_b64 s[70:71], s[54:55], 4
	v_mov_b32_e32 v0, v41
.LBB229_129:                            ;   Parent Loop BB229_121 Depth=1
                                        ;     Parent Loop BB229_124 Depth=2
                                        ; =>    This Inner Loop Header: Depth=3
	v_mad_u64_u32 v[4:5], s[76:77], v0, s72, 0
	v_mov_b32_e32 v6, v5
	v_mad_u64_u32 v[6:7], s[76:77], v0, s33, v[6:7]
	v_mov_b32_e32 v5, v6
	v_lshlrev_b64 v[4:5], 4, v[4:5]
	v_mov_b32_e32 v8, s29
	v_add_co_u32_e32 v4, vcc, s28, v4
	v_addc_co_u32_e32 v5, vcc, v8, v5, vcc
	v_mov_b32_e32 v9, s69
	v_add_co_u32_e32 v12, vcc, s68, v4
	v_addc_co_u32_e32 v13, vcc, v5, v9, vcc
	v_mov_b32_e32 v10, s71
	v_add_co_u32_e32 v14, vcc, s70, v4
	v_addc_co_u32_e32 v15, vcc, v5, v10, vcc
	flat_load_dwordx4 v[4:7], v[14:15]
	flat_load_dwordx4 v[8:11], v[12:13]
	v_add_u32_e32 v0, s58, v0
	v_cmp_le_u32_e32 vcc, s41, v0
	s_or_b64 s[66:67], vcc, s[66:67]
	s_waitcnt vmcnt(0) lgkmcnt(0)
	flat_store_dwordx4 v[12:13], v[4:7]
	flat_store_dwordx4 v[14:15], v[8:11]
	s_andn2_b64 exec, exec, s[66:67]
	s_cbranch_execnz .LBB229_129
.LBB229_130:                            ;   in Loop: Header=BB229_124 Depth=2
	s_or_b64 exec, exec, s[64:65]
	s_waitcnt lgkmcnt(0)
	s_barrier
.LBB229_131:                            ;   in Loop: Header=BB229_124 Depth=2
	s_and_b64 vcc, exec, s[16:17]
	s_cbranch_vccnz .LBB229_136
; %bb.132:                              ;   in Loop: Header=BB229_124 Depth=2
	s_and_saveexec_b64 s[64:65], s[10:11]
	s_cbranch_execz .LBB229_135
; %bb.133:                              ;   in Loop: Header=BB229_124 Depth=2
	s_mul_hi_i32 s67, s30, s73
	s_mul_i32 s66, s30, s73
	s_lshl_b64 s[66:67], s[66:67], 4
	s_add_u32 s55, s34, s66
	s_addc_u32 s69, s35, s67
	s_mul_hi_i32 s67, s54, s73
	s_mul_i32 s66, s54, s73
	s_lshl_b64 s[66:67], s[66:67], 4
	s_add_u32 s68, s34, s66
	s_addc_u32 s70, s35, s67
	s_mov_b64 s[66:67], 0
	v_mov_b32_e32 v4, s69
	v_mov_b32_e32 v5, s70
	;; [unrolled: 1-line block ×3, first 2 shown]
.LBB229_134:                            ;   Parent Loop BB229_121 Depth=1
                                        ;     Parent Loop BB229_124 Depth=2
                                        ; =>    This Inner Loop Header: Depth=3
	v_lshlrev_b64 v[6:7], 4, v[0:1]
	v_add_co_u32_e32 v14, vcc, s55, v6
	v_addc_co_u32_e32 v15, vcc, v4, v7, vcc
	v_add_co_u32_e32 v16, vcc, s68, v6
	v_addc_co_u32_e32 v17, vcc, v5, v7, vcc
	flat_load_dwordx4 v[6:9], v[14:15]
	flat_load_dwordx4 v[10:13], v[16:17]
	v_add_u32_e32 v0, s58, v0
	v_cmp_le_u32_e32 vcc, s42, v0
	s_or_b64 s[66:67], vcc, s[66:67]
	s_waitcnt vmcnt(0) lgkmcnt(0)
	ds_write2_b64 v2, v[6:7], v[8:9] offset1:1
	flat_store_dwordx4 v[14:15], v[10:13]
	flat_store_dwordx4 v[16:17], v[6:9]
	s_andn2_b64 exec, exec, s[66:67]
	s_cbranch_execnz .LBB229_134
.LBB229_135:                            ;   in Loop: Header=BB229_124 Depth=2
	s_or_b64 exec, exec, s[64:65]
	s_waitcnt lgkmcnt(0)
	s_barrier
.LBB229_136:                            ;   in Loop: Header=BB229_124 Depth=2
	s_andn2_b64 vcc, exec, s[22:23]
	s_cbranch_vccnz .LBB229_123
; %bb.137:                              ;   in Loop: Header=BB229_124 Depth=2
	s_and_saveexec_b64 s[64:65], s[12:13]
	s_cbranch_execz .LBB229_122
; %bb.138:                              ;   in Loop: Header=BB229_124 Depth=2
	s_ashr_i32 s55, s54, 31
	s_mov_b64 s[66:67], 0
	s_lshl_b64 s[54:55], s[54:55], 4
	v_mov_b32_e32 v0, v41
.LBB229_139:                            ;   Parent Loop BB229_121 Depth=1
                                        ;     Parent Loop BB229_124 Depth=2
                                        ; =>    This Inner Loop Header: Depth=3
	v_mad_u64_u32 v[4:5], s[68:69], v0, s75, 0
	v_mov_b32_e32 v6, v5
	v_mad_u64_u32 v[6:7], s[70:71], v0, s74, v[6:7]
	v_mov_b32_e32 v5, v6
	v_lshlrev_b64 v[4:5], 4, v[4:5]
	v_mov_b32_e32 v8, s37
	v_add_co_u32_e32 v10, vcc, s36, v4
	s_lshl_b64 s[68:69], s[30:31], 4
	v_addc_co_u32_e32 v11, vcc, v8, v5, vcc
	v_mov_b32_e32 v9, s69
	v_add_co_u32_e32 v8, vcc, s68, v10
	v_addc_co_u32_e32 v9, vcc, v11, v9, vcc
	flat_load_dwordx4 v[4:7], v[8:9]
	v_mov_b32_e32 v12, s55
	v_add_co_u32_e32 v10, vcc, s54, v10
	v_addc_co_u32_e32 v11, vcc, v11, v12, vcc
	v_add_u32_e32 v0, s58, v0
	v_cmp_le_u32_e32 vcc, s43, v0
	s_or_b64 s[66:67], vcc, s[66:67]
	s_waitcnt vmcnt(0) lgkmcnt(0)
	ds_write2_b64 v3, v[4:5], v[6:7] offset1:1
	flat_load_dwordx4 v[4:7], v[10:11]
	s_waitcnt vmcnt(0) lgkmcnt(0)
	flat_store_dwordx4 v[8:9], v[4:7]
	ds_read2_b64 v[4:7], v3 offset1:1
	s_waitcnt lgkmcnt(0)
	flat_store_dwordx4 v[10:11], v[4:7]
	s_andn2_b64 exec, exec, s[66:67]
	s_cbranch_execnz .LBB229_139
	s_branch .LBB229_122
.LBB229_140:
	s_mov_b64 s[54:55], exec
.LBB229_141:
	s_or_b64 exec, exec, s[18:19]
	s_branch .LBB229_228
.LBB229_142:
	s_mov_b64 s[54:55], -1
	s_and_b64 vcc, exec, s[48:49]
	s_cbranch_vccz .LBB229_228
; %bb.143:
	v_or3_b32 v0, v43, v44, v42
	v_cmp_eq_u32_e32 vcc, 0, v0
	s_barrier
	s_barrier
	s_and_saveexec_b64 s[4:5], vcc
	s_cbranch_execz .LBB229_212
; %bb.144:
	s_cmpk_lt_u32 s40, 0x2be
	s_cbranch_scc1 .LBB229_151
; %bb.145:
	s_mov_b64 s[8:9], 0x2bd
	s_mov_b32 s11, 0
	v_mov_b32_e32 v4, 0
	v_mov_b32_e32 v5, 0x1000
	s_mov_b64 s[12:13], s[46:47]
	s_branch .LBB229_147
.LBB229_146:                            ;   in Loop: Header=BB229_147 Depth=1
	s_lshl_b64 s[14:15], s[18:19], 3
	s_add_u32 s14, s46, s14
	s_addc_u32 s15, s47, s15
	s_add_u32 s8, s8, 1
	s_addc_u32 s9, s9, 0
	;; [unrolled: 2-line block ×3, first 2 shown]
	s_cmp_eq_u32 s8, s40
	global_store_dwordx2 v4, v[0:1], s[14:15]
	s_cbranch_scc1 .LBB229_151
.LBB229_147:                            ; =>This Loop Header: Depth=1
                                        ;     Child Loop BB229_149 Depth 2
	s_mov_b32 s10, s8
	s_lshl_b64 s[14:15], s[10:11], 3
	s_add_u32 s14, s46, s14
	s_addc_u32 s15, s47, s15
	global_load_dwordx2 v[0:1], v4, s[14:15]
	s_mov_b64 s[14:15], s[12:13]
	s_mov_b64 s[16:17], s[8:9]
	s_branch .LBB229_149
.LBB229_148:                            ;   in Loop: Header=BB229_149 Depth=2
	s_add_u32 s18, s16, 0xfffffd43
	s_addc_u32 s19, s17, -1
	global_store_dwordx2 v5, v[2:3], s[14:15] offset:1512
	s_add_u32 s14, s14, 0xffffea18
	s_addc_u32 s15, s15, -1
	s_cmpk_lt_i32 s16, 0x57a
	s_cselect_b64 s[20:21], -1, 0
	s_mov_b64 s[16:17], s[18:19]
	s_andn2_b64 vcc, exec, s[20:21]
	s_cbranch_vccz .LBB229_146
.LBB229_149:                            ;   Parent Loop BB229_147 Depth=1
                                        ; =>  This Inner Loop Header: Depth=2
	global_load_dwordx2 v[2:3], v4, s[14:15]
	s_mov_b64 s[20:21], -1
	s_waitcnt vmcnt(0)
	v_cmp_nlt_f64_e32 vcc, v[2:3], v[0:1]
	s_cbranch_vccz .LBB229_148
; %bb.150:                              ;   in Loop: Header=BB229_149 Depth=2
                                        ; implicit-def: $sgpr14_sgpr15
	s_mov_b64 s[18:19], s[16:17]
	s_andn2_b64 vcc, exec, s[20:21]
	s_cbranch_vccnz .LBB229_149
	s_branch .LBB229_146
.LBB229_151:
	s_cmpk_lt_i32 s40, 0x12e
	s_cbranch_scc1 .LBB229_160
; %bb.152:
	s_mov_b64 s[8:9], 0x12d
	s_mov_b32 s11, 0
	v_mov_b32_e32 v4, 0
	s_mov_b64 s[12:13], s[46:47]
	s_branch .LBB229_154
.LBB229_153:                            ;   in Loop: Header=BB229_154 Depth=1
	s_lshl_b64 s[14:15], s[14:15], 3
	s_add_u32 s14, s46, s14
	s_addc_u32 s15, s47, s15
	s_add_u32 s8, s8, 1
	s_addc_u32 s9, s9, 0
	;; [unrolled: 2-line block ×3, first 2 shown]
	s_cmp_lg_u32 s8, s40
	global_store_dwordx2 v4, v[0:1], s[14:15]
	s_cbranch_scc0 .LBB229_160
.LBB229_154:                            ; =>This Loop Header: Depth=1
                                        ;     Child Loop BB229_156 Depth 2
	s_mov_b32 s10, s8
	s_lshl_b64 s[14:15], s[10:11], 3
	s_add_u32 s14, s46, s14
	s_addc_u32 s15, s47, s15
	global_load_dwordx2 v[0:1], v4, s[14:15]
	s_mov_b64 s[16:17], s[12:13]
	s_mov_b64 s[14:15], s[8:9]
	s_branch .LBB229_156
.LBB229_155:                            ;   in Loop: Header=BB229_156 Depth=2
	s_add_u32 s18, s14, 0xfffffed3
	s_addc_u32 s19, s15, -1
	global_store_dwordx2 v4, v[2:3], s[16:17] offset:2408
	s_add_u32 s16, s16, 0xfffff698
	s_addc_u32 s17, s17, -1
	s_cmpk_lt_i32 s14, 0x25a
	s_mov_b64 s[20:21], 0
	s_cselect_b64 s[22:23], -1, 0
	s_mov_b64 s[14:15], s[18:19]
	s_andn2_b64 vcc, exec, s[22:23]
	s_cbranch_vccz .LBB229_158
.LBB229_156:                            ;   Parent Loop BB229_154 Depth=1
                                        ; =>  This Inner Loop Header: Depth=2
	global_load_dwordx2 v[2:3], v4, s[16:17]
	s_mov_b64 s[20:21], -1
	s_waitcnt vmcnt(0)
	v_cmp_nlt_f64_e32 vcc, v[2:3], v[0:1]
	s_cbranch_vccz .LBB229_155
; %bb.157:                              ;   in Loop: Header=BB229_154 Depth=1
                                        ; implicit-def: $sgpr16_sgpr17
                                        ; implicit-def: $sgpr18_sgpr19
.LBB229_158:                            ;   in Loop: Header=BB229_154 Depth=1
	s_andn2_b64 vcc, exec, s[20:21]
	s_cbranch_vccz .LBB229_153
; %bb.159:                              ;   in Loop: Header=BB229_154 Depth=1
	s_bfe_i64 s[14:15], s[18:19], 0x200000
	s_branch .LBB229_153
.LBB229_160:
	s_cmpk_lt_i32 s40, 0x85
	s_cbranch_scc1 .LBB229_169
; %bb.161:
	s_mov_b64 s[8:9], 0x84
	s_mov_b32 s11, 0
	v_mov_b32_e32 v4, 0
	s_mov_b64 s[12:13], s[46:47]
	s_branch .LBB229_163
.LBB229_162:                            ;   in Loop: Header=BB229_163 Depth=1
	s_lshl_b64 s[14:15], s[14:15], 3
	s_add_u32 s14, s46, s14
	s_addc_u32 s15, s47, s15
	s_add_u32 s8, s8, 1
	s_addc_u32 s9, s9, 0
	;; [unrolled: 2-line block ×3, first 2 shown]
	s_cmp_lg_u32 s8, s40
	global_store_dwordx2 v4, v[0:1], s[14:15]
	s_cbranch_scc0 .LBB229_169
.LBB229_163:                            ; =>This Loop Header: Depth=1
                                        ;     Child Loop BB229_165 Depth 2
	s_mov_b32 s10, s8
	s_lshl_b64 s[14:15], s[10:11], 3
	s_add_u32 s14, s46, s14
	s_addc_u32 s15, s47, s15
	global_load_dwordx2 v[0:1], v4, s[14:15]
	s_mov_b64 s[16:17], s[12:13]
	s_mov_b64 s[14:15], s[8:9]
	s_branch .LBB229_165
.LBB229_164:                            ;   in Loop: Header=BB229_165 Depth=2
	s_add_u32 s18, s14, 0xffffff7c
	s_addc_u32 s19, s15, -1
	global_store_dwordx2 v4, v[2:3], s[16:17] offset:1056
	s_add_u32 s16, s16, 0xfffffbe0
	s_addc_u32 s17, s17, -1
	s_cmpk_lt_i32 s14, 0x108
	s_mov_b64 s[20:21], 0
	s_cselect_b64 s[22:23], -1, 0
	s_mov_b64 s[14:15], s[18:19]
	s_andn2_b64 vcc, exec, s[22:23]
	s_cbranch_vccz .LBB229_167
.LBB229_165:                            ;   Parent Loop BB229_163 Depth=1
                                        ; =>  This Inner Loop Header: Depth=2
	global_load_dwordx2 v[2:3], v4, s[16:17]
	s_mov_b64 s[20:21], -1
	s_waitcnt vmcnt(0)
	v_cmp_nlt_f64_e32 vcc, v[2:3], v[0:1]
	s_cbranch_vccz .LBB229_164
; %bb.166:                              ;   in Loop: Header=BB229_163 Depth=1
                                        ; implicit-def: $sgpr16_sgpr17
                                        ; implicit-def: $sgpr18_sgpr19
.LBB229_167:                            ;   in Loop: Header=BB229_163 Depth=1
	s_andn2_b64 vcc, exec, s[20:21]
	s_cbranch_vccz .LBB229_162
; %bb.168:                              ;   in Loop: Header=BB229_163 Depth=1
	s_bfe_i64 s[14:15], s[18:19], 0x200000
	s_branch .LBB229_162
.LBB229_169:
	s_cmp_lt_i32 s40, 58
	s_cbranch_scc1 .LBB229_178
; %bb.170:
	s_mov_b64 s[8:9], 57
	s_mov_b32 s11, 0
	v_mov_b32_e32 v4, 0
	s_mov_b64 s[12:13], s[46:47]
	s_branch .LBB229_172
.LBB229_171:                            ;   in Loop: Header=BB229_172 Depth=1
	s_lshl_b64 s[14:15], s[14:15], 3
	s_add_u32 s14, s46, s14
	s_addc_u32 s15, s47, s15
	s_add_u32 s8, s8, 1
	s_addc_u32 s9, s9, 0
	s_add_u32 s12, s12, 8
	s_addc_u32 s13, s13, 0
	s_cmp_lg_u32 s8, s40
	global_store_dwordx2 v4, v[0:1], s[14:15]
	s_cbranch_scc0 .LBB229_178
.LBB229_172:                            ; =>This Loop Header: Depth=1
                                        ;     Child Loop BB229_174 Depth 2
	s_mov_b32 s10, s8
	s_lshl_b64 s[14:15], s[10:11], 3
	s_add_u32 s14, s46, s14
	s_addc_u32 s15, s47, s15
	global_load_dwordx2 v[0:1], v4, s[14:15]
	s_mov_b64 s[16:17], s[12:13]
	s_mov_b64 s[14:15], s[8:9]
	s_branch .LBB229_174
.LBB229_173:                            ;   in Loop: Header=BB229_174 Depth=2
	s_add_u32 s18, s14, 0xffffffc7
	s_addc_u32 s19, s15, -1
	global_store_dwordx2 v4, v[2:3], s[16:17] offset:456
	s_add_u32 s16, s16, 0xfffffe38
	s_addc_u32 s17, s17, -1
	s_cmpk_lt_i32 s14, 0x72
	s_mov_b64 s[20:21], 0
	s_cselect_b64 s[22:23], -1, 0
	s_mov_b64 s[14:15], s[18:19]
	s_andn2_b64 vcc, exec, s[22:23]
	s_cbranch_vccz .LBB229_176
.LBB229_174:                            ;   Parent Loop BB229_172 Depth=1
                                        ; =>  This Inner Loop Header: Depth=2
	global_load_dwordx2 v[2:3], v4, s[16:17]
	s_mov_b64 s[20:21], -1
	s_waitcnt vmcnt(0)
	v_cmp_nlt_f64_e32 vcc, v[2:3], v[0:1]
	s_cbranch_vccz .LBB229_173
; %bb.175:                              ;   in Loop: Header=BB229_172 Depth=1
                                        ; implicit-def: $sgpr16_sgpr17
                                        ; implicit-def: $sgpr18_sgpr19
.LBB229_176:                            ;   in Loop: Header=BB229_172 Depth=1
	s_andn2_b64 vcc, exec, s[20:21]
	s_cbranch_vccz .LBB229_171
; %bb.177:                              ;   in Loop: Header=BB229_172 Depth=1
	s_bfe_i64 s[14:15], s[18:19], 0x200000
	s_branch .LBB229_171
.LBB229_178:
	s_cmp_lt_i32 s40, 24
	s_cbranch_scc1 .LBB229_187
; %bb.179:
	s_mov_b64 s[8:9], 23
	s_mov_b32 s11, 0
	v_mov_b32_e32 v4, 0
	s_mov_b64 s[12:13], s[46:47]
	s_branch .LBB229_181
.LBB229_180:                            ;   in Loop: Header=BB229_181 Depth=1
	s_lshl_b64 s[14:15], s[14:15], 3
	s_add_u32 s14, s46, s14
	s_addc_u32 s15, s47, s15
	s_add_u32 s8, s8, 1
	s_addc_u32 s9, s9, 0
	;; [unrolled: 2-line block ×3, first 2 shown]
	s_cmp_lg_u32 s8, s40
	global_store_dwordx2 v4, v[0:1], s[14:15]
	s_cbranch_scc0 .LBB229_187
.LBB229_181:                            ; =>This Loop Header: Depth=1
                                        ;     Child Loop BB229_183 Depth 2
	s_mov_b32 s10, s8
	s_lshl_b64 s[14:15], s[10:11], 3
	s_add_u32 s14, s46, s14
	s_addc_u32 s15, s47, s15
	global_load_dwordx2 v[0:1], v4, s[14:15]
	s_mov_b64 s[16:17], s[12:13]
	s_mov_b64 s[14:15], s[8:9]
	s_branch .LBB229_183
.LBB229_182:                            ;   in Loop: Header=BB229_183 Depth=2
	s_add_u32 s18, s14, 0xffffffe9
	s_addc_u32 s19, s15, -1
	global_store_dwordx2 v4, v[2:3], s[16:17] offset:184
	s_add_u32 s16, s16, 0xffffff48
	s_addc_u32 s17, s17, -1
	s_cmp_lt_i32 s14, 46
	s_mov_b64 s[20:21], 0
	s_cselect_b64 s[22:23], -1, 0
	s_mov_b64 s[14:15], s[18:19]
	s_andn2_b64 vcc, exec, s[22:23]
	s_cbranch_vccz .LBB229_185
.LBB229_183:                            ;   Parent Loop BB229_181 Depth=1
                                        ; =>  This Inner Loop Header: Depth=2
	global_load_dwordx2 v[2:3], v4, s[16:17]
	s_mov_b64 s[20:21], -1
	s_waitcnt vmcnt(0)
	v_cmp_nlt_f64_e32 vcc, v[2:3], v[0:1]
	s_cbranch_vccz .LBB229_182
; %bb.184:                              ;   in Loop: Header=BB229_181 Depth=1
                                        ; implicit-def: $sgpr16_sgpr17
                                        ; implicit-def: $sgpr18_sgpr19
.LBB229_185:                            ;   in Loop: Header=BB229_181 Depth=1
	s_andn2_b64 vcc, exec, s[20:21]
	s_cbranch_vccz .LBB229_180
; %bb.186:                              ;   in Loop: Header=BB229_181 Depth=1
	s_bfe_i64 s[14:15], s[18:19], 0x200000
	s_branch .LBB229_180
.LBB229_187:
	s_cmp_lt_i32 s40, 11
	s_cbranch_scc1 .LBB229_196
; %bb.188:
	s_mov_b64 s[8:9], 10
	s_mov_b32 s11, 0
	v_mov_b32_e32 v4, 0
	s_mov_b64 s[12:13], s[46:47]
	s_branch .LBB229_190
.LBB229_189:                            ;   in Loop: Header=BB229_190 Depth=1
	s_lshl_b64 s[14:15], s[14:15], 3
	s_add_u32 s14, s46, s14
	s_addc_u32 s15, s47, s15
	s_add_u32 s8, s8, 1
	s_addc_u32 s9, s9, 0
	s_add_u32 s12, s12, 8
	s_addc_u32 s13, s13, 0
	s_cmp_lg_u32 s8, s40
	global_store_dwordx2 v4, v[0:1], s[14:15]
	s_cbranch_scc0 .LBB229_196
.LBB229_190:                            ; =>This Loop Header: Depth=1
                                        ;     Child Loop BB229_192 Depth 2
	s_mov_b32 s10, s8
	s_lshl_b64 s[14:15], s[10:11], 3
	s_add_u32 s14, s46, s14
	s_addc_u32 s15, s47, s15
	global_load_dwordx2 v[0:1], v4, s[14:15]
	s_mov_b64 s[16:17], s[12:13]
	s_mov_b64 s[14:15], s[8:9]
	s_branch .LBB229_192
.LBB229_191:                            ;   in Loop: Header=BB229_192 Depth=2
	s_add_u32 s18, s14, -10
	s_addc_u32 s19, s15, -1
	global_store_dwordx2 v4, v[2:3], s[16:17] offset:80
	s_add_u32 s16, s16, 0xffffffb0
	s_addc_u32 s17, s17, -1
	s_cmp_lt_i32 s14, 20
	s_mov_b64 s[20:21], 0
	s_cselect_b64 s[22:23], -1, 0
	s_mov_b64 s[14:15], s[18:19]
	s_andn2_b64 vcc, exec, s[22:23]
	s_cbranch_vccz .LBB229_194
.LBB229_192:                            ;   Parent Loop BB229_190 Depth=1
                                        ; =>  This Inner Loop Header: Depth=2
	global_load_dwordx2 v[2:3], v4, s[16:17]
	s_mov_b64 s[20:21], -1
	s_waitcnt vmcnt(0)
	v_cmp_nlt_f64_e32 vcc, v[2:3], v[0:1]
	s_cbranch_vccz .LBB229_191
; %bb.193:                              ;   in Loop: Header=BB229_190 Depth=1
                                        ; implicit-def: $sgpr16_sgpr17
                                        ; implicit-def: $sgpr18_sgpr19
.LBB229_194:                            ;   in Loop: Header=BB229_190 Depth=1
	s_andn2_b64 vcc, exec, s[20:21]
	s_cbranch_vccz .LBB229_189
; %bb.195:                              ;   in Loop: Header=BB229_190 Depth=1
	s_bfe_i64 s[14:15], s[18:19], 0x200000
	s_branch .LBB229_189
.LBB229_196:
	s_cmp_lt_i32 s40, 5
	s_cbranch_scc1 .LBB229_205
; %bb.197:
	s_add_u32 s8, s60, s44
	s_addc_u32 s9, s61, s45
	s_add_u32 s8, s8, 32
	s_addc_u32 s9, s9, 0
	s_mov_b64 s[10:11], 4
	s_mov_b32 s13, 0
	v_mov_b32_e32 v4, 0
	s_branch .LBB229_199
.LBB229_198:                            ;   in Loop: Header=BB229_199 Depth=1
	s_lshl_b64 s[14:15], s[14:15], 3
	s_add_u32 s14, s46, s14
	s_addc_u32 s15, s47, s15
	s_add_u32 s10, s10, 1
	s_addc_u32 s11, s11, 0
	;; [unrolled: 2-line block ×3, first 2 shown]
	s_cmp_lg_u32 s10, s40
	global_store_dwordx2 v4, v[0:1], s[14:15]
	s_cbranch_scc0 .LBB229_205
.LBB229_199:                            ; =>This Loop Header: Depth=1
                                        ;     Child Loop BB229_201 Depth 2
	s_mov_b32 s12, s10
	s_lshl_b64 s[14:15], s[12:13], 3
	s_add_u32 s14, s46, s14
	s_addc_u32 s15, s47, s15
	global_load_dwordx2 v[0:1], v4, s[14:15]
	s_mov_b64 s[16:17], s[8:9]
	s_mov_b64 s[14:15], s[10:11]
	s_branch .LBB229_201
.LBB229_200:                            ;   in Loop: Header=BB229_201 Depth=2
	s_add_u32 s20, s14, -4
	s_addc_u32 s21, s15, -1
	s_cmp_lt_i32 s14, 8
	global_store_dwordx2 v4, v[2:3], s[16:17]
	s_mov_b64 s[18:19], 0
	s_cselect_b64 s[24:25], -1, 0
	s_mov_b64 s[14:15], s[20:21]
	s_mov_b64 s[16:17], s[22:23]
	s_andn2_b64 vcc, exec, s[24:25]
	s_cbranch_vccz .LBB229_203
.LBB229_201:                            ;   Parent Loop BB229_199 Depth=1
                                        ; =>  This Inner Loop Header: Depth=2
	global_load_dwordx2 v[2:3], v4, s[16:17] offset:-32
	s_add_u32 s22, s16, 0xffffffe0
	s_addc_u32 s23, s17, -1
	s_mov_b64 s[18:19], -1
	s_waitcnt vmcnt(0)
	v_cmp_nlt_f64_e32 vcc, v[2:3], v[0:1]
	s_cbranch_vccz .LBB229_200
; %bb.202:                              ;   in Loop: Header=BB229_199 Depth=1
                                        ; implicit-def: $sgpr16_sgpr17
                                        ; implicit-def: $sgpr20_sgpr21
.LBB229_203:                            ;   in Loop: Header=BB229_199 Depth=1
	s_andn2_b64 vcc, exec, s[18:19]
	s_cbranch_vccz .LBB229_198
; %bb.204:                              ;   in Loop: Header=BB229_199 Depth=1
	s_bfe_i64 s[14:15], s[20:21], 0x200000
	s_branch .LBB229_198
.LBB229_205:
	s_cmp_lt_i32 s40, 2
	s_cbranch_scc1 .LBB229_212
; %bb.206:
	s_add_u32 s8, s60, s44
	s_addc_u32 s9, s61, s45
	s_add_u32 s8, s8, 8
	s_addc_u32 s9, s9, 0
	s_mov_b64 s[10:11], 1
	s_mov_b32 s13, 0
	v_mov_b32_e32 v4, 0
	s_branch .LBB229_208
.LBB229_207:                            ;   in Loop: Header=BB229_208 Depth=1
	s_lshl_b64 s[14:15], s[18:19], 3
	s_add_u32 s14, s46, s14
	s_addc_u32 s15, s47, s15
	s_add_u32 s10, s10, 1
	s_addc_u32 s11, s11, 0
	;; [unrolled: 2-line block ×3, first 2 shown]
	s_cmp_eq_u32 s10, s40
	global_store_dwordx2 v4, v[0:1], s[14:15]
	s_cbranch_scc1 .LBB229_212
.LBB229_208:                            ; =>This Loop Header: Depth=1
                                        ;     Child Loop BB229_210 Depth 2
	s_mov_b32 s12, s10
	s_lshl_b64 s[14:15], s[12:13], 3
	s_add_u32 s14, s46, s14
	s_addc_u32 s15, s47, s15
	global_load_dwordx2 v[0:1], v4, s[14:15]
	s_mov_b64 s[16:17], s[8:9]
	s_mov_b64 s[14:15], s[10:11]
	s_branch .LBB229_210
.LBB229_209:                            ;   in Loop: Header=BB229_210 Depth=2
	global_store_dwordx2 v4, v[2:3], s[16:17]
	s_add_u32 s16, s14, -1
	s_addc_u32 s17, s15, -1
	s_cmp_lt_i32 s14, 2
	s_mov_b64 s[18:19], 0
	s_cselect_b64 s[20:21], -1, 0
	s_mov_b64 s[14:15], s[16:17]
	s_mov_b64 s[16:17], s[22:23]
	s_andn2_b64 vcc, exec, s[20:21]
	s_cbranch_vccz .LBB229_207
.LBB229_210:                            ;   Parent Loop BB229_208 Depth=1
                                        ; =>  This Inner Loop Header: Depth=2
	global_load_dwordx2 v[2:3], v4, s[16:17] offset:-8
	s_add_u32 s22, s16, -8
	s_addc_u32 s23, s17, -1
	s_mov_b64 s[20:21], -1
	s_waitcnt vmcnt(0)
	v_cmp_nlt_f64_e32 vcc, v[2:3], v[0:1]
	s_cbranch_vccz .LBB229_209
; %bb.211:                              ;   in Loop: Header=BB229_210 Depth=2
                                        ; implicit-def: $sgpr16_sgpr17
	s_mov_b64 s[18:19], s[14:15]
	s_andn2_b64 vcc, exec, s[20:21]
	s_cbranch_vccnz .LBB229_210
	s_branch .LBB229_207
.LBB229_212:
	s_or_b64 exec, exec, s[4:5]
	s_cmp_lt_i32 s40, 2
	s_cselect_b64 s[10:11], -1, 0
	s_mov_b64 s[54:55], 0
	s_and_b64 vcc, exec, s[10:11]
	s_barrier
	s_cbranch_vccnz .LBB229_220
; %bb.213:
	s_add_i32 s20, s40, -1
	v_cmp_gt_u32_e32 vcc, s20, v41
	s_mov_b64 s[10:11], -1
	s_mov_b64 s[4:5], 0
	s_and_saveexec_b64 s[8:9], vcc
	s_cbranch_execz .LBB229_222
; %bb.214:
	s_add_u32 s21, s46, 8
	s_addc_u32 s22, s47, 0
	s_mov_b64 s[10:11], 0
	v_mov_b32_e32 v1, 0
	v_mov_b32_e32 v4, s47
	;; [unrolled: 1-line block ×3, first 2 shown]
                                        ; implicit-def: $sgpr12_sgpr13
	s_branch .LBB229_216
.LBB229_215:                            ;   in Loop: Header=BB229_216 Depth=1
	s_or_b64 exec, exec, s[18:19]
	s_xor_b64 s[14:15], s[14:15], -1
	s_and_b64 s[4:5], exec, s[4:5]
	s_or_b64 s[10:11], s[4:5], s[10:11]
	s_andn2_b64 s[4:5], s[12:13], exec
	s_and_b64 s[12:13], s[14:15], exec
	s_or_b64 s[12:13], s[4:5], s[12:13]
	s_andn2_b64 exec, exec, s[10:11]
	s_cbranch_execz .LBB229_221
.LBB229_216:                            ; =>This Inner Loop Header: Depth=1
	v_lshlrev_b64 v[2:3], 3, v[0:1]
	v_add_co_u32_e32 v2, vcc, s46, v2
	v_addc_co_u32_e32 v3, vcc, v4, v3, vcc
	global_load_dwordx2 v[2:3], v[2:3], off
                                        ; implicit-def: $sgpr14_sgpr15
	s_waitcnt vmcnt(0)
	v_cmp_u_f64_e64 s[16:17], v[2:3], v[2:3]
	v_cmp_o_f64_e32 vcc, v[2:3], v[2:3]
	s_and_saveexec_b64 s[18:19], vcc
	s_cbranch_execz .LBB229_218
; %bb.217:                              ;   in Loop: Header=BB229_216 Depth=1
	v_ashrrev_i32_e32 v7, 31, v0
	v_mov_b32_e32 v6, v0
	v_lshlrev_b64 v[6:7], 3, v[6:7]
	v_mov_b32_e32 v5, s22
	v_add_co_u32_e32 v6, vcc, s21, v6
	v_addc_co_u32_e32 v7, vcc, v5, v7, vcc
	global_load_dwordx2 v[6:7], v[6:7], off
	s_andn2_b64 s[16:17], s[16:17], exec
	s_mov_b64 s[14:15], -1
	s_waitcnt vmcnt(0)
	v_cmp_u_f64_e32 vcc, v[6:7], v[6:7]
	v_cmp_ge_f64_e64 s[4:5], v[2:3], v[6:7]
	s_or_b64 s[4:5], vcc, s[4:5]
	s_and_b64 s[4:5], s[4:5], exec
	s_or_b64 s[16:17], s[16:17], s[4:5]
.LBB229_218:                            ;   in Loop: Header=BB229_216 Depth=1
	s_or_b64 exec, exec, s[18:19]
	s_mov_b64 s[4:5], -1
	s_and_saveexec_b64 s[18:19], s[16:17]
	s_cbranch_execz .LBB229_215
; %bb.219:                              ;   in Loop: Header=BB229_216 Depth=1
	v_add_u32_e32 v0, s58, v0
	v_cmp_le_u32_e32 vcc, s20, v0
	s_andn2_b64 s[14:15], s[14:15], exec
	s_orn2_b64 s[4:5], vcc, exec
	s_branch .LBB229_215
.LBB229_220:
	s_mov_b64 s[4:5], 0
	s_branch .LBB229_223
.LBB229_221:
	s_or_b64 exec, exec, s[10:11]
	s_mov_b64 s[4:5], exec
	s_orn2_b64 s[10:11], s[12:13], exec
.LBB229_222:
	s_or_b64 exec, exec, s[8:9]
.LBB229_223:
	s_and_saveexec_b64 s[8:9], s[10:11]
	s_cbranch_execz .LBB229_225
; %bb.224:
	s_mov_b64 s[54:55], exec
	s_barrier
	s_andn2_b64 s[4:5], s[4:5], exec
.LBB229_225:
	s_or_b64 exec, exec, s[8:9]
	s_and_saveexec_b64 s[48:49], s[4:5]
	s_cbranch_execz .LBB229_227
; %bb.226:
	s_add_u32 s8, s6, 0x90
	s_addc_u32 s9, s7, 0
	s_getpc_b64 s[4:5]
	s_add_u32 s4, s4, __PRETTY_FUNCTION__._ZN9rocsolver6v33100L21shell_sort_descendingIdiEEvT0_PT_PS2_@rel32@lo+4
	s_addc_u32 s5, s5, __PRETTY_FUNCTION__._ZN9rocsolver6v33100L21shell_sort_descendingIdiEEvT0_PT_PS2_@rel32@hi+12
	v_mov_b32_e32 v0, s4
	v_mov_b32_e32 v1, s5
	s_getpc_b64 s[6:7]
	s_add_u32 s6, s6, __assert_fail@rel32@lo+4
	s_addc_u32 s7, s7, __assert_fail@rel32@hi+12
	s_swappc_b64 s[30:31], s[6:7]
	s_or_b64 s[62:63], s[62:63], exec
.LBB229_227:
	s_or_b64 exec, exec, s[48:49]
.LBB229_228:
	s_and_saveexec_b64 s[4:5], s[62:63]
; %bb.229:
	; divergent unreachable
; %bb.230:
	s_or_b64 exec, exec, s[4:5]
	s_and_saveexec_b64 s[4:5], s[54:55]
	s_cbranch_execz .LBB229_232
; %bb.231:
	s_barrier
.LBB229_232:
	s_or_b64 exec, exec, s[4:5]
	s_cbranch_execnz .LBB229_256
.LBB229_233:
	s_cmp_lt_i32 s40, 2
	s_cbranch_scc1 .LBB229_256
; %bb.234:
	s_cmp_lg_u32 s41, 0
	s_cselect_b64 s[12:13], -1, 0
	s_cmp_lg_u32 s42, 0
	s_cselect_b64 s[14:15], -1, 0
	;; [unrolled: 2-line block ×3, first 2 shown]
	s_add_i32 s33, s40, -2
	s_add_u32 s18, s60, s44
	v_cndmask_b32_e64 v0, 0, 1, s[12:13]
	s_addc_u32 s21, s61, s45
	v_cmp_ne_u32_e64 s[12:13], 1, v0
	v_cndmask_b32_e64 v0, 0, 1, s[14:15]
	s_add_u32 s20, s18, 8
	v_cmp_ne_u32_e64 s[14:15], 1, v0
	v_cndmask_b32_e64 v0, 0, 1, s[16:17]
	s_mov_b32 s19, 0
	v_cmp_eq_u32_e64 s[4:5], 0, v41
	v_cmp_gt_i32_e64 s[6:7], s41, v41
	v_cmp_gt_i32_e64 s[8:9], s42, v41
	;; [unrolled: 1-line block ×3, first 2 shown]
	s_addc_u32 s21, s21, 0
	v_mul_lo_u32 v2, s59, v41
	s_mul_i32 s44, s59, s38
	v_mul_lo_u32 v3, s57, v41
	s_mul_i32 s45, s57, s38
	v_mov_b32_e32 v4, 0
	v_cmp_ne_u32_e64 s[16:17], 1, v0
	s_mov_b32 s48, 0
	s_mov_b32 s49, 0
	s_branch .LBB229_237
.LBB229_235:                            ;   in Loop: Header=BB229_237 Depth=1
	s_or_b64 exec, exec, s[24:25]
	s_waitcnt lgkmcnt(0)
	s_barrier
.LBB229_236:                            ;   in Loop: Header=BB229_237 Depth=1
	s_add_u32 s20, s20, 8
	s_addc_u32 s21, s21, 0
	s_add_i32 s48, s48, s39
	s_cmp_eq_u32 s18, s33
	s_cbranch_scc1 .LBB229_256
.LBB229_237:                            ; =>This Loop Header: Depth=1
                                        ;     Child Loop BB229_238 Depth 2
                                        ;     Child Loop BB229_245 Depth 2
	;; [unrolled: 1-line block ×4, first 2 shown]
	s_mov_b32 s18, s49
	s_lshl_b64 s[22:23], s[18:19], 3
	s_add_u32 s24, s46, s22
	s_addc_u32 s25, s47, s23
	global_load_dwordx2 v[0:1], v4, s[24:25]
	s_add_i32 s49, s49, 1
	s_mov_b64 s[30:31], s[20:21]
	s_mov_b32 s23, s49
	s_mov_b32 s22, s18
.LBB229_238:                            ;   Parent Loop BB229_237 Depth=1
                                        ; =>  This Inner Loop Header: Depth=2
	global_load_dwordx2 v[6:7], v4, s[30:31]
	s_waitcnt vmcnt(0)
	v_cmp_gt_f64_e32 vcc, v[6:7], v[0:1]
	s_and_b64 s[50:51], vcc, exec
	s_cselect_b32 s22, s23, s22
	s_add_i32 s23, s23, 1
	s_add_u32 s30, s30, 8
	s_addc_u32 s31, s31, 0
	v_cndmask_b32_e32 v1, v1, v7, vcc
	s_cmp_lt_i32 s23, s40
	v_cndmask_b32_e32 v0, v0, v6, vcc
	s_cbranch_scc1 .LBB229_238
; %bb.239:                              ;   in Loop: Header=BB229_237 Depth=1
	s_cmp_eq_u32 s22, s18
	s_barrier
	s_cbranch_scc1 .LBB229_236
; %bb.240:                              ;   in Loop: Header=BB229_237 Depth=1
	s_and_saveexec_b64 s[30:31], s[4:5]
	s_cbranch_execz .LBB229_242
; %bb.241:                              ;   in Loop: Header=BB229_237 Depth=1
	global_load_dwordx2 v[6:7], v4, s[24:25]
	s_ashr_i32 s23, s22, 31
	s_lshl_b64 s[50:51], s[22:23], 3
	s_add_u32 s50, s46, s50
	s_addc_u32 s51, s47, s51
	s_waitcnt vmcnt(0)
	global_store_dwordx2 v4, v[6:7], s[50:51]
	global_store_dwordx2 v4, v[0:1], s[24:25]
.LBB229_242:                            ;   in Loop: Header=BB229_237 Depth=1
	s_or_b64 exec, exec, s[30:31]
	s_and_b64 vcc, exec, s[12:13]
	s_cbranch_vccnz .LBB229_247
; %bb.243:                              ;   in Loop: Header=BB229_237 Depth=1
	s_and_saveexec_b64 s[24:25], s[6:7]
	s_cbranch_execz .LBB229_246
; %bb.244:                              ;   in Loop: Header=BB229_237 Depth=1
	s_mov_b64 s[30:31], 0
	v_mov_b32_e32 v0, v2
	v_mov_b32_e32 v1, v41
.LBB229_245:                            ;   Parent Loop BB229_237 Depth=1
                                        ; =>  This Inner Loop Header: Depth=2
	v_add_u32_e32 v6, s22, v0
	v_ashrrev_i32_e32 v7, 31, v6
	v_add_u32_e32 v8, s18, v0
	v_lshlrev_b64 v[6:7], 4, v[6:7]
	v_mov_b32_e32 v5, s29
	v_ashrrev_i32_e32 v9, 31, v8
	v_add_co_u32_e32 v14, vcc, s28, v6
	v_lshlrev_b64 v[8:9], 4, v[8:9]
	v_addc_co_u32_e32 v15, vcc, v5, v7, vcc
	v_add_co_u32_e32 v16, vcc, s28, v8
	v_addc_co_u32_e32 v17, vcc, v5, v9, vcc
	flat_load_dwordx4 v[6:9], v[16:17]
	flat_load_dwordx4 v[10:13], v[14:15]
	v_add_u32_e32 v1, s38, v1
	v_cmp_le_i32_e32 vcc, s41, v1
	v_add_u32_e32 v0, s44, v0
	s_or_b64 s[30:31], vcc, s[30:31]
	s_waitcnt vmcnt(0) lgkmcnt(0)
	flat_store_dwordx4 v[14:15], v[6:9]
	flat_store_dwordx4 v[16:17], v[10:13]
	s_andn2_b64 exec, exec, s[30:31]
	s_cbranch_execnz .LBB229_245
.LBB229_246:                            ;   in Loop: Header=BB229_237 Depth=1
	s_or_b64 exec, exec, s[24:25]
	s_waitcnt lgkmcnt(0)
	s_barrier
.LBB229_247:                            ;   in Loop: Header=BB229_237 Depth=1
	s_and_b64 vcc, exec, s[14:15]
	s_cbranch_vccnz .LBB229_252
; %bb.248:                              ;   in Loop: Header=BB229_237 Depth=1
	s_and_saveexec_b64 s[24:25], s[8:9]
	s_cbranch_execz .LBB229_251
; %bb.249:                              ;   in Loop: Header=BB229_237 Depth=1
	s_mul_i32 s23, s22, s39
	s_mov_b64 s[30:31], 0
	v_mov_b32_e32 v0, v41
.LBB229_250:                            ;   Parent Loop BB229_237 Depth=1
                                        ; =>  This Inner Loop Header: Depth=2
	v_add_u32_e32 v6, s23, v0
	v_ashrrev_i32_e32 v7, 31, v6
	v_add_u32_e32 v8, s48, v0
	v_lshlrev_b64 v[6:7], 4, v[6:7]
	v_mov_b32_e32 v1, s35
	v_ashrrev_i32_e32 v9, 31, v8
	v_add_co_u32_e32 v14, vcc, s34, v6
	v_lshlrev_b64 v[8:9], 4, v[8:9]
	v_addc_co_u32_e32 v15, vcc, v1, v7, vcc
	v_add_co_u32_e32 v16, vcc, s34, v8
	v_addc_co_u32_e32 v17, vcc, v1, v9, vcc
	flat_load_dwordx4 v[6:9], v[16:17]
	flat_load_dwordx4 v[10:13], v[14:15]
	v_add_u32_e32 v0, s38, v0
	v_cmp_le_i32_e32 vcc, s42, v0
	s_or_b64 s[30:31], vcc, s[30:31]
	s_waitcnt vmcnt(0) lgkmcnt(0)
	flat_store_dwordx4 v[14:15], v[6:9]
	flat_store_dwordx4 v[16:17], v[10:13]
	s_andn2_b64 exec, exec, s[30:31]
	s_cbranch_execnz .LBB229_250
.LBB229_251:                            ;   in Loop: Header=BB229_237 Depth=1
	s_or_b64 exec, exec, s[24:25]
	s_waitcnt lgkmcnt(0)
	s_barrier
.LBB229_252:                            ;   in Loop: Header=BB229_237 Depth=1
	s_and_b64 vcc, exec, s[16:17]
	s_cbranch_vccnz .LBB229_236
; %bb.253:                              ;   in Loop: Header=BB229_237 Depth=1
	s_and_saveexec_b64 s[24:25], s[10:11]
	s_cbranch_execz .LBB229_235
; %bb.254:                              ;   in Loop: Header=BB229_237 Depth=1
	s_mov_b64 s[30:31], 0
	v_mov_b32_e32 v0, v3
	v_mov_b32_e32 v1, v41
.LBB229_255:                            ;   Parent Loop BB229_237 Depth=1
                                        ; =>  This Inner Loop Header: Depth=2
	v_add_u32_e32 v6, s22, v0
	v_ashrrev_i32_e32 v7, 31, v6
	v_add_u32_e32 v8, s18, v0
	v_lshlrev_b64 v[6:7], 4, v[6:7]
	v_mov_b32_e32 v5, s37
	v_ashrrev_i32_e32 v9, 31, v8
	v_add_co_u32_e32 v14, vcc, s36, v6
	v_lshlrev_b64 v[8:9], 4, v[8:9]
	v_addc_co_u32_e32 v15, vcc, v5, v7, vcc
	v_add_co_u32_e32 v16, vcc, s36, v8
	v_addc_co_u32_e32 v17, vcc, v5, v9, vcc
	flat_load_dwordx4 v[6:9], v[16:17]
	flat_load_dwordx4 v[10:13], v[14:15]
	v_add_u32_e32 v1, s38, v1
	v_cmp_le_i32_e32 vcc, s43, v1
	v_add_u32_e32 v0, s45, v0
	s_or_b64 s[30:31], vcc, s[30:31]
	s_waitcnt vmcnt(0) lgkmcnt(0)
	flat_store_dwordx4 v[14:15], v[6:9]
	flat_store_dwordx4 v[16:17], v[10:13]
	s_andn2_b64 exec, exec, s[30:31]
	s_cbranch_execnz .LBB229_255
	s_branch .LBB229_235
.LBB229_256:
	s_mov_b64 s[8:9], 0
.LBB229_257:
	s_andn2_b64 vcc, exec, s[8:9]
	s_cbranch_vccnz .LBB229_260
; %bb.258:
	v_cmp_eq_u32_e32 vcc, 0, v41
	s_and_saveexec_b64 s[4:5], vcc
	s_cbranch_execz .LBB229_260
; %bb.259:
	s_add_u32 s4, s52, s26
	s_addc_u32 s5, s53, s27
	v_mov_b32_e32 v0, 0
	v_mov_b32_e32 v1, s56
	global_store_dword v0, v1, s[4:5]
.LBB229_260:
	s_endpgm
	.section	.rodata,"a",@progbits
	.p2align	6, 0x0
	.amdhsa_kernel _ZN9rocsolver6v33100L14bdsqr_finalizeI19rocblas_complex_numIdEdPKPS3_S4_S6_EEviiiiPT0_lS8_lT1_iilT2_iilT3_iilPiSC_SC_
		.amdhsa_group_segment_fixed_size 32768
		.amdhsa_private_segment_fixed_size 144
		.amdhsa_kernarg_size 400
		.amdhsa_user_sgpr_count 10
		.amdhsa_user_sgpr_private_segment_buffer 1
		.amdhsa_user_sgpr_dispatch_ptr 1
		.amdhsa_user_sgpr_queue_ptr 0
		.amdhsa_user_sgpr_kernarg_segment_ptr 1
		.amdhsa_user_sgpr_dispatch_id 0
		.amdhsa_user_sgpr_flat_scratch_init 1
		.amdhsa_user_sgpr_kernarg_preload_length 0
		.amdhsa_user_sgpr_kernarg_preload_offset 0
		.amdhsa_user_sgpr_private_segment_size 0
		.amdhsa_uses_dynamic_stack 0
		.amdhsa_system_sgpr_private_segment_wavefront_offset 1
		.amdhsa_system_sgpr_workgroup_id_x 1
		.amdhsa_system_sgpr_workgroup_id_y 1
		.amdhsa_system_sgpr_workgroup_id_z 0
		.amdhsa_system_sgpr_workgroup_info 0
		.amdhsa_system_vgpr_workitem_id 2
		.amdhsa_next_free_vgpr 45
		.amdhsa_next_free_sgpr 78
		.amdhsa_accum_offset 48
		.amdhsa_reserve_vcc 1
		.amdhsa_reserve_flat_scratch 1
		.amdhsa_float_round_mode_32 0
		.amdhsa_float_round_mode_16_64 0
		.amdhsa_float_denorm_mode_32 3
		.amdhsa_float_denorm_mode_16_64 3
		.amdhsa_dx10_clamp 1
		.amdhsa_ieee_mode 1
		.amdhsa_fp16_overflow 0
		.amdhsa_tg_split 0
		.amdhsa_exception_fp_ieee_invalid_op 0
		.amdhsa_exception_fp_denorm_src 0
		.amdhsa_exception_fp_ieee_div_zero 0
		.amdhsa_exception_fp_ieee_overflow 0
		.amdhsa_exception_fp_ieee_underflow 0
		.amdhsa_exception_fp_ieee_inexact 0
		.amdhsa_exception_int_div_zero 0
	.end_amdhsa_kernel
	.section	.text._ZN9rocsolver6v33100L14bdsqr_finalizeI19rocblas_complex_numIdEdPKPS3_S4_S6_EEviiiiPT0_lS8_lT1_iilT2_iilT3_iilPiSC_SC_,"axG",@progbits,_ZN9rocsolver6v33100L14bdsqr_finalizeI19rocblas_complex_numIdEdPKPS3_S4_S6_EEviiiiPT0_lS8_lT1_iilT2_iilT3_iilPiSC_SC_,comdat
.Lfunc_end229:
	.size	_ZN9rocsolver6v33100L14bdsqr_finalizeI19rocblas_complex_numIdEdPKPS3_S4_S6_EEviiiiPT0_lS8_lT1_iilT2_iilT3_iilPiSC_SC_, .Lfunc_end229-_ZN9rocsolver6v33100L14bdsqr_finalizeI19rocblas_complex_numIdEdPKPS3_S4_S6_EEviiiiPT0_lS8_lT1_iilT2_iilT3_iilPiSC_SC_
                                        ; -- End function
	.section	.AMDGPU.csdata,"",@progbits
; Kernel info:
; codeLenInByte = 7880
; NumSgprs: 84
; NumVgprs: 45
; NumAgprs: 0
; TotalNumVgprs: 45
; ScratchSize: 144
; MemoryBound: 0
; FloatMode: 240
; IeeeMode: 1
; LDSByteSize: 32768 bytes/workgroup (compile time only)
; SGPRBlocks: 10
; VGPRBlocks: 5
; NumSGPRsForWavesPerEU: 84
; NumVGPRsForWavesPerEU: 45
; AccumOffset: 48
; Occupancy: 8
; WaveLimiterHint : 1
; COMPUTE_PGM_RSRC2:SCRATCH_EN: 1
; COMPUTE_PGM_RSRC2:USER_SGPR: 10
; COMPUTE_PGM_RSRC2:TRAP_HANDLER: 0
; COMPUTE_PGM_RSRC2:TGID_X_EN: 1
; COMPUTE_PGM_RSRC2:TGID_Y_EN: 1
; COMPUTE_PGM_RSRC2:TGID_Z_EN: 0
; COMPUTE_PGM_RSRC2:TIDIG_COMP_CNT: 2
; COMPUTE_PGM_RSRC3_GFX90A:ACCUM_OFFSET: 11
; COMPUTE_PGM_RSRC3_GFX90A:TG_SPLIT: 0
	.section	.text._ZN9rocsolver6v33100L17bdsqr_lower2upperI19rocblas_complex_numIdEdPKPS3_S6_EEviiiPT0_lS8_lT1_iilT2_iilPiS8_lSB_,"axG",@progbits,_ZN9rocsolver6v33100L17bdsqr_lower2upperI19rocblas_complex_numIdEdPKPS3_S6_EEviiiPT0_lS8_lT1_iilT2_iilPiS8_lSB_,comdat
	.globl	_ZN9rocsolver6v33100L17bdsqr_lower2upperI19rocblas_complex_numIdEdPKPS3_S6_EEviiiPT0_lS8_lT1_iilT2_iilPiS8_lSB_ ; -- Begin function _ZN9rocsolver6v33100L17bdsqr_lower2upperI19rocblas_complex_numIdEdPKPS3_S6_EEviiiPT0_lS8_lT1_iilT2_iilPiS8_lSB_
	.p2align	8
	.type	_ZN9rocsolver6v33100L17bdsqr_lower2upperI19rocblas_complex_numIdEdPKPS3_S6_EEviiiPT0_lS8_lT1_iilT2_iilPiS8_lSB_,@function
_ZN9rocsolver6v33100L17bdsqr_lower2upperI19rocblas_complex_numIdEdPKPS3_S6_EEviiiPT0_lS8_lT1_iilT2_iilPiS8_lSB_: ; @_ZN9rocsolver6v33100L17bdsqr_lower2upperI19rocblas_complex_numIdEdPKPS3_S6_EEviiiPT0_lS8_lT1_iilT2_iilPiS8_lSB_
; %bb.0:
	s_load_dwordx2 s[0:1], s[4:5], 0x78
	s_mov_b32 s26, s7
	s_ashr_i32 s27, s7, 31
	s_lshl_b64 s[2:3], s[26:27], 2
	s_waitcnt lgkmcnt(0)
	s_add_u32 s0, s0, s2
	s_addc_u32 s1, s1, s3
	s_load_dword s0, s[0:1], 0x8
	s_waitcnt lgkmcnt(0)
	s_cmp_lg_u32 s0, 0
	s_cbranch_scc1 .LBB230_34
; %bb.1:
	s_load_dwordx4 s[20:23], s[4:5], 0x30
	s_load_dwordx4 s[8:11], s[4:5], 0x68
	s_mov_b64 s[6:7], 0
	s_mov_b64 s[24:25], 0
	s_waitcnt lgkmcnt(0)
	s_cmp_eq_u64 s[20:21], 0
	s_cbranch_scc1 .LBB230_3
; %bb.2:
	s_lshl_b64 s[0:1], s[26:27], 3
	s_add_u32 s0, s20, s0
	s_addc_u32 s1, s21, s1
	s_load_dwordx2 s[0:1], s[0:1], 0x0
	s_ashr_i32 s3, s22, 31
	s_mov_b32 s2, s22
	s_lshl_b64 s[2:3], s[2:3], 4
	s_waitcnt lgkmcnt(0)
	s_add_u32 s24, s0, s2
	s_addc_u32 s25, s1, s3
.LBB230_3:
	s_load_dwordx4 s[0:3], s[4:5], 0x48
	s_waitcnt lgkmcnt(0)
	s_cmp_eq_u64 s[0:1], 0
	s_cbranch_scc1 .LBB230_5
; %bb.4:
	s_lshl_b64 s[6:7], s[26:27], 3
	s_add_u32 s0, s0, s6
	s_addc_u32 s1, s1, s7
	s_load_dwordx2 s[0:1], s[0:1], 0x0
	s_ashr_i32 s7, s2, 31
	s_mov_b32 s6, s2
	s_lshl_b64 s[6:7], s[6:7], 4
	s_waitcnt lgkmcnt(0)
	s_add_u32 s6, s0, s6
	s_addc_u32 s7, s1, s7
.LBB230_5:
	s_mul_i32 s0, s26, s11
	s_mul_hi_u32 s1, s26, s10
	s_load_dwordx4 s[16:19], s[4:5], 0x0
	s_add_i32 s0, s1, s0
	s_mul_i32 s1, s27, s10
	s_add_i32 s1, s0, s1
	s_mul_i32 s0, s26, s10
	s_lshl_b64 s[0:1], s[0:1], 3
	s_add_u32 s2, s8, s0
	s_waitcnt lgkmcnt(0)
	s_addc_u32 s19, s9, s1
	v_cmp_eq_u32_e32 vcc, 0, v0
	s_and_saveexec_b64 s[0:1], vcc
	s_cbranch_execz .LBB230_22
; %bb.6:
	s_load_dwordx8 s[8:15], s[4:5], 0x10
	s_waitcnt lgkmcnt(0)
	s_mul_i32 s11, s26, s11
	s_mul_hi_u32 s20, s26, s10
	s_mul_i32 s21, s27, s10
	s_add_i32 s11, s20, s11
	s_add_i32 s11, s11, s21
	s_mul_i32 s10, s26, s10
	s_lshl_b64 s[28:29], s[10:11], 3
	s_add_u32 s10, s8, s28
	s_addc_u32 s11, s9, s29
	s_load_dwordx2 s[30:31], s[10:11], 0x0
	s_add_i32 s20, s16, -1
	s_cmp_lt_i32 s16, 2
	s_waitcnt lgkmcnt(0)
	v_pk_mov_b32 v[4:5], s[30:31], s[30:31] op_sel:[0,1]
	s_cbranch_scc1 .LBB230_21
; %bb.7:
	s_mul_i32 s15, s26, s15
	s_mul_hi_u32 s21, s26, s14
	s_add_i32 s15, s21, s15
	s_mul_i32 s21, s27, s14
	s_add_i32 s15, s15, s21
	s_mul_i32 s14, s26, s14
	s_lshl_b64 s[14:15], s[14:15], 3
	s_add_u32 s34, s14, s12
	s_addc_u32 s35, s15, s13
	s_or_b32 s12, s18, s17
	s_cmp_lg_u32 s12, 0
	s_cselect_b64 s[14:15], -1, 0
	s_add_u32 s26, s2, 32
	s_addc_u32 s27, s19, 0
	s_load_dwordx2 s[36:37], s[34:35], 0x0
	s_add_u32 s8, s28, s8
	s_addc_u32 s9, s29, s9
	s_add_u32 s8, s8, 8
	s_addc_u32 s9, s9, 0
	s_add_u32 s28, s34, 8
	v_pk_mov_b32 v[4:5], s[30:31], s[30:31] op_sel:[0,1]
	s_mov_b32 s30, 0
	s_mov_b32 s13, 0
	s_addc_u32 s29, s35, 0
	s_waitcnt lgkmcnt(0)
	v_pk_mov_b32 v[2:3], s[36:37], s[36:37] op_sel:[0,1]
	s_brev_b32 s31, 8
	v_mov_b32_e32 v1, 0x260
	v_mov_b32_e32 v10, 0
	s_mov_b64 s[34:35], s[26:27]
	s_mov_b32 s21, 0
	s_branch .LBB230_9
.LBB230_8:                              ;   in Loop: Header=BB230_9 Depth=1
	s_add_i32 s21, s21, 1
	s_add_u32 s34, s34, 8
	s_addc_u32 s35, s35, 0
	s_add_u32 s8, s8, 8
	s_addc_u32 s9, s9, 0
	;; [unrolled: 2-line block ×3, first 2 shown]
	s_cmp_lg_u32 s20, s21
	s_waitcnt vmcnt(0)
	v_mul_f64 v[4:5], v[6:7], v[4:5]
	s_cbranch_scc0 .LBB230_21
.LBB230_9:                              ; =>This Inner Loop Header: Depth=1
	v_cmp_eq_f64_e32 vcc, 0, v[2:3]
	v_pk_mov_b32 v[8:9], 0, 0
	s_cbranch_vccnz .LBB230_13
; %bb.10:                               ;   in Loop: Header=BB230_9 Depth=1
	v_cmp_neq_f64_e32 vcc, 0, v[4:5]
	s_cbranch_vccz .LBB230_14
; %bb.11:                               ;   in Loop: Header=BB230_9 Depth=1
	v_cmp_ngt_f64_e64 s[36:37], |v[2:3]|, |v[4:5]|
	s_and_b64 vcc, exec, s[36:37]
	s_cbranch_vccz .LBB230_15
; %bb.12:                               ;   in Loop: Header=BB230_9 Depth=1
	v_div_scale_f64 v[6:7], s[36:37], v[4:5], v[4:5], -v[2:3]
	v_rcp_f64_e32 v[8:9], v[6:7]
	v_div_scale_f64 v[12:13], vcc, -v[2:3], v[4:5], -v[2:3]
	v_fma_f64 v[14:15], -v[6:7], v[8:9], 1.0
	v_fmac_f64_e32 v[8:9], v[8:9], v[14:15]
	v_fma_f64 v[14:15], -v[6:7], v[8:9], 1.0
	v_fmac_f64_e32 v[8:9], v[8:9], v[14:15]
	v_mul_f64 v[14:15], v[12:13], v[8:9]
	v_fma_f64 v[6:7], -v[6:7], v[14:15], v[12:13]
	v_div_fmas_f64 v[6:7], v[6:7], v[8:9], v[14:15]
	v_div_fixup_f64 v[8:9], v[6:7], v[4:5], -v[2:3]
	v_fma_f64 v[6:7], v[8:9], v[8:9], 1.0
	v_cmp_gt_f64_e32 vcc, s[30:31], v[6:7]
	v_cndmask_b32_e64 v11, 0, 1, vcc
	v_lshlrev_b32_e32 v11, 8, v11
	v_ldexp_f64 v[6:7], v[6:7], v11
	v_rsq_f64_e32 v[12:13], v[6:7]
	s_and_b64 s[36:37], vcc, exec
	s_cselect_b32 s12, 0xffffff80, 0
	v_cmp_class_f64_e32 vcc, v[6:7], v1
	v_mul_f64 v[14:15], v[6:7], v[12:13]
	v_mul_f64 v[12:13], v[12:13], 0.5
	v_fma_f64 v[16:17], -v[12:13], v[14:15], 0.5
	v_fmac_f64_e32 v[14:15], v[14:15], v[16:17]
	v_fma_f64 v[18:19], -v[14:15], v[14:15], v[6:7]
	v_fmac_f64_e32 v[12:13], v[12:13], v[16:17]
	v_fmac_f64_e32 v[14:15], v[18:19], v[12:13]
	v_fma_f64 v[16:17], -v[14:15], v[14:15], v[6:7]
	v_fmac_f64_e32 v[14:15], v[16:17], v[12:13]
	v_ldexp_f64 v[12:13], v[14:15], s12
	v_cndmask_b32_e32 v7, v13, v7, vcc
	v_cndmask_b32_e32 v6, v12, v6, vcc
	v_div_scale_f64 v[12:13], s[36:37], v[6:7], v[6:7], 1.0
	v_rcp_f64_e32 v[14:15], v[12:13]
	v_fma_f64 v[16:17], -v[12:13], v[14:15], 1.0
	v_fmac_f64_e32 v[14:15], v[14:15], v[16:17]
	v_fma_f64 v[16:17], -v[12:13], v[14:15], 1.0
	v_fmac_f64_e32 v[14:15], v[14:15], v[16:17]
	v_div_scale_f64 v[16:17], vcc, 1.0, v[6:7], 1.0
	v_mul_f64 v[18:19], v[16:17], v[14:15]
	v_fma_f64 v[12:13], -v[12:13], v[18:19], v[16:17]
	s_nop 1
	v_div_fmas_f64 v[12:13], v[12:13], v[14:15], v[18:19]
	v_div_fixup_f64 v[6:7], v[12:13], v[6:7], 1.0
	v_mul_f64 v[8:9], v[8:9], v[6:7]
	s_cbranch_execz .LBB230_16
	s_branch .LBB230_17
.LBB230_13:                             ;   in Loop: Header=BB230_9 Depth=1
	v_mov_b32_e32 v6, 0
	v_mov_b32_e32 v7, 0x3ff00000
	s_branch .LBB230_19
.LBB230_14:                             ;   in Loop: Header=BB230_9 Depth=1
                                        ; implicit-def: $vgpr4_vgpr5
                                        ; implicit-def: $vgpr6_vgpr7
                                        ; implicit-def: $vgpr8_vgpr9
	s_cbranch_execnz .LBB230_18
	s_branch .LBB230_19
.LBB230_15:                             ;   in Loop: Header=BB230_9 Depth=1
                                        ; implicit-def: $vgpr6_vgpr7
                                        ; implicit-def: $vgpr8_vgpr9
.LBB230_16:                             ;   in Loop: Header=BB230_9 Depth=1
	v_div_scale_f64 v[6:7], s[36:37], v[2:3], v[2:3], -v[4:5]
	v_rcp_f64_e32 v[8:9], v[6:7]
	v_div_scale_f64 v[12:13], vcc, -v[4:5], v[2:3], -v[4:5]
	v_fma_f64 v[14:15], -v[6:7], v[8:9], 1.0
	v_fmac_f64_e32 v[8:9], v[8:9], v[14:15]
	v_fma_f64 v[14:15], -v[6:7], v[8:9], 1.0
	v_fmac_f64_e32 v[8:9], v[8:9], v[14:15]
	v_mul_f64 v[14:15], v[12:13], v[8:9]
	v_fma_f64 v[6:7], -v[6:7], v[14:15], v[12:13]
	v_div_fmas_f64 v[6:7], v[6:7], v[8:9], v[14:15]
	v_div_fixup_f64 v[6:7], v[6:7], v[2:3], -v[4:5]
	v_fma_f64 v[8:9], v[6:7], v[6:7], 1.0
	v_cmp_gt_f64_e32 vcc, s[30:31], v[8:9]
	v_cndmask_b32_e64 v11, 0, 1, vcc
	v_lshlrev_b32_e32 v11, 8, v11
	v_ldexp_f64 v[8:9], v[8:9], v11
	v_rsq_f64_e32 v[12:13], v[8:9]
	s_and_b64 s[36:37], vcc, exec
	s_cselect_b32 s12, 0xffffff80, 0
	v_cmp_class_f64_e32 vcc, v[8:9], v1
	v_mul_f64 v[14:15], v[8:9], v[12:13]
	v_mul_f64 v[12:13], v[12:13], 0.5
	v_fma_f64 v[16:17], -v[12:13], v[14:15], 0.5
	v_fmac_f64_e32 v[14:15], v[14:15], v[16:17]
	v_fma_f64 v[18:19], -v[14:15], v[14:15], v[8:9]
	v_fmac_f64_e32 v[12:13], v[12:13], v[16:17]
	v_fmac_f64_e32 v[14:15], v[18:19], v[12:13]
	v_fma_f64 v[16:17], -v[14:15], v[14:15], v[8:9]
	v_fmac_f64_e32 v[14:15], v[16:17], v[12:13]
	v_ldexp_f64 v[12:13], v[14:15], s12
	v_cndmask_b32_e32 v9, v13, v9, vcc
	v_cndmask_b32_e32 v8, v12, v8, vcc
	v_div_scale_f64 v[12:13], s[36:37], v[8:9], v[8:9], 1.0
	v_rcp_f64_e32 v[14:15], v[12:13]
	v_fma_f64 v[16:17], -v[12:13], v[14:15], 1.0
	v_fmac_f64_e32 v[14:15], v[14:15], v[16:17]
	v_fma_f64 v[16:17], -v[12:13], v[14:15], 1.0
	v_fmac_f64_e32 v[14:15], v[14:15], v[16:17]
	v_div_scale_f64 v[16:17], vcc, 1.0, v[8:9], 1.0
	v_mul_f64 v[18:19], v[16:17], v[14:15]
	v_fma_f64 v[12:13], -v[12:13], v[18:19], v[16:17]
	s_nop 1
	v_div_fmas_f64 v[12:13], v[12:13], v[14:15], v[18:19]
	v_div_fixup_f64 v[8:9], v[12:13], v[8:9], 1.0
	v_mul_f64 v[6:7], v[6:7], v[8:9]
.LBB230_17:                             ;   in Loop: Header=BB230_9 Depth=1
	v_mul_f64 v[12:13], v[2:3], v[8:9]
	v_fma_f64 v[4:5], v[4:5], v[6:7], -v[12:13]
	s_branch .LBB230_19
.LBB230_18:                             ;   in Loop: Header=BB230_9 Depth=1
	v_xor_b32_e32 v3, 0x80000000, v3
	v_mov_b32_e32 v8, 0
	v_pk_mov_b32 v[6:7], 0, 0
	v_mov_b32_e32 v9, 0x3ff00000
	v_pk_mov_b32 v[4:5], v[2:3], v[2:3] op_sel:[0,1]
.LBB230_19:                             ;   in Loop: Header=BB230_9 Depth=1
	global_load_dwordx2 v[12:13], v10, s[8:9]
	s_andn2_b64 vcc, exec, s[14:15]
	global_store_dwordx2 v10, v[4:5], s[8:9] offset:-8
	global_load_dwordx2 v[2:3], v10, s[28:29]
	s_waitcnt vmcnt(2)
	v_mul_f64 v[4:5], v[12:13], -v[8:9]
	global_store_dwordx2 v10, v[4:5], s[28:29] offset:-8
	global_load_dwordx2 v[4:5], v10, s[8:9]
	s_cbranch_vccnz .LBB230_8
; %bb.20:                               ;   in Loop: Header=BB230_9 Depth=1
	s_add_i32 s12, s16, s21
	s_lshl_b64 s[36:37], s[12:13], 3
	s_add_u32 s36, s26, s36
	s_addc_u32 s37, s27, s37
	global_store_dwordx2 v10, v[6:7], s[34:35]
	global_store_dwordx2 v10, v[8:9], s[36:37]
	s_branch .LBB230_8
.LBB230_21:
	s_ashr_i32 s21, s20, 31
	s_lshl_b64 s[8:9], s[20:21], 3
	s_add_u32 s8, s10, s8
	s_addc_u32 s9, s11, s9
	v_mov_b32_e32 v1, 0
	global_store_dwordx2 v1, v[4:5], s[8:9]
.LBB230_22:
	s_or_b64 exec, exec, s[0:1]
	v_cmp_gt_i32_e32 vcc, s17, v0
	s_barrier
	s_and_saveexec_b64 s[8:9], vcc
	s_cbranch_execz .LBB230_28
; %bb.23:
	s_load_dword s10, s[4:5], 0x8c
	s_add_i32 s28, s16, -1
	s_cmp_gt_i32 s16, 1
	s_cselect_b64 s[0:1], -1, 0
	s_mul_i32 s26, s28, s23
	s_waitcnt lgkmcnt(0)
	s_and_b32 s29, s10, 0xffff
	s_add_u32 s10, s2, 32
	s_addc_u32 s11, s19, 0
	s_ashr_i32 s27, s26, 31
	s_ashr_i32 s13, s23, 31
	s_mov_b32 s12, s23
	s_mov_b32 s15, 0
	s_mov_b32 s14, s16
	v_cndmask_b32_e64 v2, 0, 1, s[0:1]
	s_lshl_b64 s[22:23], s[26:27], 4
	s_lshl_b64 s[12:13], s[12:13], 4
	;; [unrolled: 1-line block ×3, first 2 shown]
	s_mov_b64 s[20:21], 0
	v_mov_b32_e32 v1, s25
	v_cmp_ne_u32_e64 s[0:1], 1, v2
	v_mov_b32_e32 v12, 0
	v_mov_b32_e32 v13, s23
	;; [unrolled: 1-line block ×3, first 2 shown]
	s_branch .LBB230_25
.LBB230_24:                             ;   in Loop: Header=BB230_25 Depth=1
	v_add_co_u32_e32 v8, vcc, s22, v8
	v_addc_co_u32_e32 v9, vcc, v9, v13, vcc
	v_add_u32_e32 v6, s29, v6
	v_cmp_le_i32_e32 vcc, s17, v6
	s_or_b64 s[20:21], vcc, s[20:21]
	s_waitcnt vmcnt(0) lgkmcnt(0)
	flat_store_dwordx4 v[8:9], v[2:5]
	s_andn2_b64 exec, exec, s[20:21]
	s_cbranch_execz .LBB230_28
.LBB230_25:                             ; =>This Loop Header: Depth=1
                                        ;     Child Loop BB230_27 Depth 2
	v_ashrrev_i32_e32 v7, 31, v6
	v_lshlrev_b64 v[2:3], 4, v[6:7]
	v_add_co_u32_e32 v8, vcc, s24, v2
	v_addc_co_u32_e32 v9, vcc, v1, v3, vcc
	flat_load_dwordx4 v[2:5], v[8:9]
	s_and_b64 vcc, exec, s[0:1]
	s_cbranch_vccnz .LBB230_24
; %bb.26:                               ;   in Loop: Header=BB230_25 Depth=1
	s_mov_b32 s23, s28
	s_mov_b64 s[26:27], s[10:11]
	v_pk_mov_b32 v[10:11], v[8:9], v[8:9] op_sel:[0,1]
.LBB230_27:                             ;   Parent Loop BB230_25 Depth=1
                                        ; =>  This Inner Loop Header: Depth=2
	v_mov_b32_e32 v7, s13
	v_add_co_u32_e32 v22, vcc, s12, v10
	v_addc_co_u32_e32 v23, vcc, v11, v7, vcc
	s_add_u32 s30, s26, s14
	flat_load_dwordx4 v[14:17], v[22:23]
	s_addc_u32 s31, s27, s15
	global_load_dwordx2 v[24:25], v12, s[30:31]
	global_load_dwordx2 v[26:27], v12, s[26:27]
	s_add_u32 s26, s26, 8
	s_addc_u32 s27, s27, 0
	s_add_i32 s23, s23, -1
	s_cmp_lg_u32 s23, 0
	s_waitcnt vmcnt(0) lgkmcnt(0)
	v_mul_f64 v[18:19], v[14:15], v[24:25]
	v_mul_f64 v[20:21], v[16:17], v[24:25]
	v_fma_f64 v[18:19], v[2:3], v[26:27], -v[18:19]
	v_fma_f64 v[20:21], v[4:5], v[26:27], -v[20:21]
	v_mul_f64 v[2:3], v[2:3], v[24:25]
	v_mul_f64 v[4:5], v[4:5], v[24:25]
	flat_store_dwordx4 v[10:11], v[18:21]
	v_fmac_f64_e32 v[2:3], v[14:15], v[26:27]
	v_fmac_f64_e32 v[4:5], v[16:17], v[26:27]
	v_pk_mov_b32 v[10:11], v[22:23], v[22:23] op_sel:[0,1]
	s_cbranch_scc1 .LBB230_27
	s_branch .LBB230_24
.LBB230_28:
	s_or_b64 exec, exec, s[8:9]
	v_cmp_gt_i32_e32 vcc, s18, v0
	s_and_saveexec_b64 s[0:1], vcc
	s_cbranch_execz .LBB230_34
; %bb.29:
	s_load_dword s5, s[4:5], 0x8c
	s_add_i32 s4, s16, -1
	s_cmp_gt_i32 s16, 1
	s_cselect_b64 s[0:1], -1, 0
	s_mov_b32 s17, 0
	s_waitcnt lgkmcnt(0)
	s_and_b32 s20, s5, 0xffff
	s_add_u32 s8, s2, 32
	s_addc_u32 s9, s19, 0
	s_ashr_i32 s5, s4, 31
	v_cndmask_b32_e64 v2, 0, 1, s[0:1]
	v_mul_lo_u32 v6, v0, s3
	s_mul_i32 s2, s3, s20
	s_lshl_b64 s[10:11], s[16:17], 3
	s_mov_b64 s[12:13], 0
	v_mov_b32_e32 v1, s7
	v_cmp_ne_u32_e64 s[0:1], 1, v2
	v_mov_b32_e32 v12, 0
	s_lshl_b64 s[14:15], s[4:5], 4
	s_branch .LBB230_31
.LBB230_30:                             ;   in Loop: Header=BB230_31 Depth=1
	v_mov_b32_e32 v7, s15
	v_add_co_u32_e32 v8, vcc, s14, v8
	v_addc_co_u32_e32 v9, vcc, v9, v7, vcc
	v_add_u32_e32 v0, s20, v0
	v_cmp_le_i32_e32 vcc, s18, v0
	s_or_b64 s[12:13], vcc, s[12:13]
	v_add_u32_e32 v6, s2, v6
	s_waitcnt vmcnt(0) lgkmcnt(0)
	flat_store_dwordx4 v[8:9], v[2:5]
	s_andn2_b64 exec, exec, s[12:13]
	s_cbranch_execz .LBB230_34
.LBB230_31:                             ; =>This Loop Header: Depth=1
                                        ;     Child Loop BB230_33 Depth 2
	v_mul_lo_u32 v2, v0, s3
	v_ashrrev_i32_e32 v3, 31, v2
	v_lshlrev_b64 v[2:3], 4, v[2:3]
	v_add_co_u32_e32 v8, vcc, s6, v2
	v_addc_co_u32_e32 v9, vcc, v1, v3, vcc
	flat_load_dwordx4 v[2:5], v[8:9]
	s_and_b64 vcc, exec, s[0:1]
	s_cbranch_vccnz .LBB230_30
; %bb.32:                               ;   in Loop: Header=BB230_31 Depth=1
	v_ashrrev_i32_e32 v7, 31, v6
	v_lshlrev_b64 v[10:11], 4, v[6:7]
	v_add_co_u32_e32 v10, vcc, s6, v10
	v_addc_co_u32_e32 v11, vcc, v1, v11, vcc
	s_mov_b32 s5, s4
	s_mov_b64 s[16:17], s[8:9]
.LBB230_33:                             ;   Parent Loop BB230_31 Depth=1
                                        ; =>  This Inner Loop Header: Depth=2
	s_add_u32 s22, s16, s10
	s_addc_u32 s23, s17, s11
	flat_load_dwordx4 v[14:17], v[10:11] offset:16
	global_load_dwordx2 v[22:23], v12, s[16:17]
	global_load_dwordx2 v[24:25], v12, s[22:23]
	v_add_co_u32_e32 v26, vcc, 16, v10
	s_add_u32 s16, s16, 8
	v_addc_co_u32_e32 v27, vcc, 0, v11, vcc
	s_addc_u32 s17, s17, 0
	s_add_i32 s5, s5, -1
	s_cmp_lg_u32 s5, 0
	s_waitcnt vmcnt(0) lgkmcnt(0)
	v_mul_f64 v[18:19], v[14:15], v[24:25]
	v_mul_f64 v[20:21], v[16:17], v[24:25]
	v_fma_f64 v[18:19], v[2:3], v[22:23], -v[18:19]
	v_fma_f64 v[20:21], v[4:5], v[22:23], -v[20:21]
	v_mul_f64 v[2:3], v[2:3], v[24:25]
	v_mul_f64 v[4:5], v[4:5], v[24:25]
	flat_store_dwordx4 v[10:11], v[18:21]
	v_fmac_f64_e32 v[2:3], v[14:15], v[22:23]
	v_fmac_f64_e32 v[4:5], v[16:17], v[22:23]
	v_pk_mov_b32 v[10:11], v[26:27], v[26:27] op_sel:[0,1]
	s_cbranch_scc1 .LBB230_33
	s_branch .LBB230_30
.LBB230_34:
	s_endpgm
	.section	.rodata,"a",@progbits
	.p2align	6, 0x0
	.amdhsa_kernel _ZN9rocsolver6v33100L17bdsqr_lower2upperI19rocblas_complex_numIdEdPKPS3_S6_EEviiiPT0_lS8_lT1_iilT2_iilPiS8_lSB_
		.amdhsa_group_segment_fixed_size 0
		.amdhsa_private_segment_fixed_size 0
		.amdhsa_kernarg_size 384
		.amdhsa_user_sgpr_count 6
		.amdhsa_user_sgpr_private_segment_buffer 1
		.amdhsa_user_sgpr_dispatch_ptr 0
		.amdhsa_user_sgpr_queue_ptr 0
		.amdhsa_user_sgpr_kernarg_segment_ptr 1
		.amdhsa_user_sgpr_dispatch_id 0
		.amdhsa_user_sgpr_flat_scratch_init 0
		.amdhsa_user_sgpr_kernarg_preload_length 0
		.amdhsa_user_sgpr_kernarg_preload_offset 0
		.amdhsa_user_sgpr_private_segment_size 0
		.amdhsa_uses_dynamic_stack 0
		.amdhsa_system_sgpr_private_segment_wavefront_offset 0
		.amdhsa_system_sgpr_workgroup_id_x 1
		.amdhsa_system_sgpr_workgroup_id_y 1
		.amdhsa_system_sgpr_workgroup_id_z 0
		.amdhsa_system_sgpr_workgroup_info 0
		.amdhsa_system_vgpr_workitem_id 0
		.amdhsa_next_free_vgpr 28
		.amdhsa_next_free_sgpr 38
		.amdhsa_accum_offset 28
		.amdhsa_reserve_vcc 1
		.amdhsa_reserve_flat_scratch 0
		.amdhsa_float_round_mode_32 0
		.amdhsa_float_round_mode_16_64 0
		.amdhsa_float_denorm_mode_32 3
		.amdhsa_float_denorm_mode_16_64 3
		.amdhsa_dx10_clamp 1
		.amdhsa_ieee_mode 1
		.amdhsa_fp16_overflow 0
		.amdhsa_tg_split 0
		.amdhsa_exception_fp_ieee_invalid_op 0
		.amdhsa_exception_fp_denorm_src 0
		.amdhsa_exception_fp_ieee_div_zero 0
		.amdhsa_exception_fp_ieee_overflow 0
		.amdhsa_exception_fp_ieee_underflow 0
		.amdhsa_exception_fp_ieee_inexact 0
		.amdhsa_exception_int_div_zero 0
	.end_amdhsa_kernel
	.section	.text._ZN9rocsolver6v33100L17bdsqr_lower2upperI19rocblas_complex_numIdEdPKPS3_S6_EEviiiPT0_lS8_lT1_iilT2_iilPiS8_lSB_,"axG",@progbits,_ZN9rocsolver6v33100L17bdsqr_lower2upperI19rocblas_complex_numIdEdPKPS3_S6_EEviiiPT0_lS8_lT1_iilT2_iilPiS8_lSB_,comdat
.Lfunc_end230:
	.size	_ZN9rocsolver6v33100L17bdsqr_lower2upperI19rocblas_complex_numIdEdPKPS3_S6_EEviiiPT0_lS8_lT1_iilT2_iilPiS8_lSB_, .Lfunc_end230-_ZN9rocsolver6v33100L17bdsqr_lower2upperI19rocblas_complex_numIdEdPKPS3_S6_EEviiiPT0_lS8_lT1_iilT2_iilPiS8_lSB_
                                        ; -- End function
	.section	.AMDGPU.csdata,"",@progbits
; Kernel info:
; codeLenInByte = 2108
; NumSgprs: 42
; NumVgprs: 28
; NumAgprs: 0
; TotalNumVgprs: 28
; ScratchSize: 0
; MemoryBound: 0
; FloatMode: 240
; IeeeMode: 1
; LDSByteSize: 0 bytes/workgroup (compile time only)
; SGPRBlocks: 5
; VGPRBlocks: 3
; NumSGPRsForWavesPerEU: 42
; NumVGPRsForWavesPerEU: 28
; AccumOffset: 28
; Occupancy: 8
; WaveLimiterHint : 0
; COMPUTE_PGM_RSRC2:SCRATCH_EN: 0
; COMPUTE_PGM_RSRC2:USER_SGPR: 6
; COMPUTE_PGM_RSRC2:TRAP_HANDLER: 0
; COMPUTE_PGM_RSRC2:TGID_X_EN: 1
; COMPUTE_PGM_RSRC2:TGID_Y_EN: 1
; COMPUTE_PGM_RSRC2:TGID_Z_EN: 0
; COMPUTE_PGM_RSRC2:TIDIG_COMP_CNT: 0
; COMPUTE_PGM_RSRC3_GFX90A:ACCUM_OFFSET: 6
; COMPUTE_PGM_RSRC3_GFX90A:TG_SPLIT: 0
	.section	.text._ZN9rocsolver6v33100L13bdsqr_computeILi256E19rocblas_complex_numIdEdPS3_PKS4_S6_EEviiiiPT1_lS8_lT2_iilT3_iilT4_iiliS7_S7_S7_S7_PiS8_ilSC_,"axG",@progbits,_ZN9rocsolver6v33100L13bdsqr_computeILi256E19rocblas_complex_numIdEdPS3_PKS4_S6_EEviiiiPT1_lS8_lT2_iilT3_iilT4_iiliS7_S7_S7_S7_PiS8_ilSC_,comdat
	.globl	_ZN9rocsolver6v33100L13bdsqr_computeILi256E19rocblas_complex_numIdEdPS3_PKS4_S6_EEviiiiPT1_lS8_lT2_iilT3_iilT4_iiliS7_S7_S7_S7_PiS8_ilSC_ ; -- Begin function _ZN9rocsolver6v33100L13bdsqr_computeILi256E19rocblas_complex_numIdEdPS3_PKS4_S6_EEviiiiPT1_lS8_lT2_iilT3_iilT4_iiliS7_S7_S7_S7_PiS8_ilSC_
	.p2align	8
	.type	_ZN9rocsolver6v33100L13bdsqr_computeILi256E19rocblas_complex_numIdEdPS3_PKS4_S6_EEviiiiPT1_lS8_lT2_iilT3_iilT4_iiliS7_S7_S7_S7_PiS8_ilSC_,@function
_ZN9rocsolver6v33100L13bdsqr_computeILi256E19rocblas_complex_numIdEdPS3_PKS4_S6_EEviiiiPT1_lS8_lT2_iilT3_iilT4_iiliS7_S7_S7_S7_PiS8_ilSC_: ; @_ZN9rocsolver6v33100L13bdsqr_computeILi256E19rocblas_complex_numIdEdPS3_PKS4_S6_EEviiiiPT1_lS8_lT2_iilT3_iilT4_iiliS7_S7_S7_S7_PiS8_ilSC_
; %bb.0:
	s_load_dwordx4 s[0:3], s[4:5], 0xb8
	s_ashr_i32 s9, s8, 31
	s_lshl_b64 s[10:11], s[8:9], 2
	s_waitcnt lgkmcnt(0)
	s_add_u32 s2, s2, s10
	s_addc_u32 s3, s3, s11
	s_load_dword s2, s[2:3], 0x8
	s_waitcnt lgkmcnt(0)
	s_cmp_lg_u32 s2, 0
	s_cbranch_scc1 .LBB231_180
; %bb.1:
	s_load_dwordx8 s[20:27], s[4:5], 0x30
	s_mov_b64 s[34:35], 0
	s_mov_b64 s[52:53], 0
	s_waitcnt lgkmcnt(0)
	s_cmp_eq_u64 s[20:21], 0
	s_cbranch_scc1 .LBB231_3
; %bb.2:
	s_mul_i32 s6, s8, s25
	s_mul_hi_u32 s10, s8, s24
	s_add_i32 s6, s10, s6
	s_mul_i32 s10, s9, s24
	s_add_i32 s11, s6, s10
	s_mul_i32 s10, s8, s24
	s_ashr_i32 s3, s22, 31
	s_lshl_b64 s[10:11], s[10:11], 4
	s_mov_b32 s2, s22
	s_add_u32 s6, s20, s10
	s_addc_u32 s10, s21, s11
	s_lshl_b64 s[2:3], s[2:3], 4
	s_add_u32 s52, s6, s2
	s_addc_u32 s53, s10, s3
.LBB231_3:
	s_load_dwordx2 s[60:61], s[4:5], 0x50
	s_cmp_eq_u64 s[26:27], 0
	s_cbranch_scc1 .LBB231_5
; %bb.4:
	s_lshl_b64 s[2:3], s[8:9], 3
	s_add_u32 s2, s26, s2
	s_addc_u32 s3, s27, s3
	s_load_dwordx2 s[2:3], s[2:3], 0x0
	s_waitcnt lgkmcnt(0)
	s_ashr_i32 s11, s60, 31
	s_mov_b32 s10, s60
	s_lshl_b64 s[10:11], s[10:11], 4
	s_add_u32 s34, s2, s10
	s_addc_u32 s35, s3, s11
.LBB231_5:
	s_load_dwordx4 s[44:47], s[4:5], 0x60
	s_mov_b64 s[54:55], 0
	s_waitcnt lgkmcnt(0)
	s_cmp_eq_u64 s[44:45], 0
	s_cbranch_scc1 .LBB231_7
; %bb.6:
	s_lshl_b64 s[2:3], s[8:9], 3
	s_add_u32 s2, s44, s2
	s_addc_u32 s3, s45, s3
	s_load_dwordx2 s[2:3], s[2:3], 0x0
	s_ashr_i32 s11, s46, 31
	s_mov_b32 s10, s46
	s_lshl_b64 s[10:11], s[10:11], 4
	s_waitcnt lgkmcnt(0)
	s_add_u32 s54, s2, s10
	s_addc_u32 s55, s3, s11
.LBB231_7:
	s_load_dwordx8 s[24:31], s[4:5], 0x90
	s_mul_i32 s1, s8, s1
	s_mul_hi_u32 s2, s8, s0
	s_add_i32 s1, s2, s1
	s_mul_i32 s2, s9, s0
	s_add_i32 s1, s1, s2
	s_mul_i32 s0, s8, s0
	s_lshl_b64 s[10:11], s[0:1], 3
	s_waitcnt lgkmcnt(0)
	s_add_u32 s44, s30, s10
	s_addc_u32 s45, s31, s11
	s_load_dwordx2 s[0:1], s[44:45], 0x10
	s_waitcnt lgkmcnt(0)
	v_cvt_i32_f64_e32 v1, s[0:1]
	v_cmp_ge_i32_e32 vcc, s7, v1
	s_cbranch_vccnz .LBB231_180
; %bb.8:
	s_load_dwordx4 s[48:51], s[4:5], 0x0
	s_load_dwordx8 s[36:43], s[4:5], 0x10
                                        ; implicit-def: $vgpr44 : SGPR spill to VGPR lane
	v_lshlrev_b32_e32 v18, 3, v0
	v_mul_lo_u32 v23, v0, s23
	v_mul_lo_u32 v25, v0, s47
	s_waitcnt lgkmcnt(0)
	s_mul_i32 s0, s8, s48
	s_lshl_b32 s0, s0, 1
	s_ashr_i32 s1, s0, 31
	s_lshl_b64 s[0:1], s[0:1], 2
	s_mul_i32 s2, s8, s39
	s_mul_hi_u32 s3, s8, s38
	s_add_u32 s6, s28, s0
	s_addc_u32 s20, s29, s1
	s_add_i32 s0, s3, s2
	s_mul_i32 s1, s9, s38
	s_add_i32 s1, s0, s1
	s_mul_i32 s0, s8, s38
	s_lshl_b64 s[0:1], s[0:1], 3
	s_add_u32 s22, s36, s0
	s_addc_u32 s33, s37, s1
	s_mul_i32 s0, s8, s43
	s_mul_hi_u32 s1, s8, s42
	s_add_i32 s0, s1, s0
	s_mul_i32 s1, s9, s42
	s_add_i32 s1, s0, s1
	s_mul_i32 s0, s8, s42
	v_writelane_b32 v44, s0, 0
	s_lshl_b64 s[12:13], s[0:1], 3
	s_add_u32 s46, s40, s12
	s_addc_u32 s48, s41, s13
	s_cmp_lg_u32 s49, 0
	s_cselect_b64 s[36:37], -1, 0
	s_or_b32 s8, s51, s50
	s_cmp_eq_u32 s8, 0
	v_writelane_b32 v44, s1, 1
	s_cselect_b64 s[8:9], -1, 0
	v_writelane_b32 v44, s8, 2
	s_cmp_lg_u64 s[52:53], 0
	v_writelane_b32 v44, s9, 3
	s_cselect_b64 s[8:9], -1, 0
	s_and_b64 s[90:91], s[36:37], s[8:9]
	s_add_u32 s56, s4, 0xc8
	s_addc_u32 s57, s5, 0
	s_cmp_lg_u64 s[34:35], 0
	s_cselect_b64 s[8:9], -1, 0
	s_cmp_lg_u32 s50, 0
	s_cselect_b64 s[14:15], -1, 0
	s_and_b64 s[92:93], s[14:15], s[8:9]
	s_cmp_lg_u64 s[54:55], 0
	s_cselect_b64 s[8:9], -1, 0
	s_cmp_lg_u32 s51, 0
	s_cselect_b64 s[14:15], -1, 0
	s_and_b64 s[94:95], s[14:15], s[8:9]
	s_add_u32 s8, s22, -8
	v_writelane_b32 v44, s8, 4
	s_addc_u32 s8, s33, -1
	v_writelane_b32 v44, s8, 5
	s_add_u32 s8, s30, s10
	s_addc_u32 s9, s31, s11
	v_writelane_b32 v44, s8, 6
	s_add_u32 s8, s8, 24
	v_writelane_b32 v44, s8, 7
	v_writelane_b32 v44, s9, 8
	s_addc_u32 s8, s9, 0
	v_writelane_b32 v44, s8, 9
	v_cmp_gt_i32_e64 s[8:9], s49, v0
	v_writelane_b32 v44, s8, 10
	v_writelane_b32 v44, s9, 11
	v_cmp_gt_i32_e64 s[8:9], s50, v0
	v_writelane_b32 v44, s8, 12
	v_writelane_b32 v44, s9, 13
	s_load_dword s8, s[4:5], 0x78
	s_load_dwordx2 s[14:15], s[4:5], 0x80
	s_add_u32 s10, s40, -8
	s_addc_u32 s11, s41, -1
	s_load_dword s60, s[4:5], 0xb0
	s_load_dword s9, s[4:5], 0xcc
	s_add_u32 s4, s10, s12
	s_waitcnt lgkmcnt(0)
	v_writelane_b32 v44, s14, 14
	v_writelane_b32 v44, s15, 15
	;; [unrolled: 1-line block ×3, first 2 shown]
	v_mov_b32_e32 v2, s33
	v_add_co_u32_e32 v19, vcc, s22, v18
	v_writelane_b32 v44, s4, 17
	v_addc_co_u32_e32 v20, vcc, 0, v2, vcc
	v_writelane_b32 v44, s11, 18
	s_addc_u32 s4, s11, s13
	s_movk_i32 s0, 0x80
	v_mov_b32_e32 v2, s48
	v_add_co_u32_e32 v21, vcc, s46, v18
	v_writelane_b32 v44, s4, 19
	v_cmp_gt_i32_e64 s[4:5], s51, v0
	s_mov_b32 s40, 0
	v_cmp_gt_u32_e64 s[0:1], s0, v0
	v_cmp_gt_u32_e64 s[2:3], 64, v0
	v_cmp_eq_u32_e64 s[16:17], 0, v0
	v_addc_co_u32_e32 v22, vcc, 0, v2, vcc
	v_mov_b32_e32 v6, 0
	v_add_u32_e32 v24, -1, v23
	v_add_u32_e32 v26, -1, v25
	v_mov_b32_e32 v27, 0x260
	v_mov_b32_e32 v28, 1
	v_writelane_b32 v44, s4, 20
	s_brev_b32 s41, 8
	v_writelane_b32 v44, s5, 21
	s_branch .LBB231_11
.LBB231_9:                              ;   in Loop: Header=BB231_11 Depth=1
	s_or_b64 exec, exec, s[12:13]
.LBB231_10:                             ;   in Loop: Header=BB231_11 Depth=1
	s_add_i32 s7, s9, s7
	v_cmp_lt_i32_e32 vcc, s7, v1
	s_cbranch_vccz .LBB231_180
.LBB231_11:                             ; =>This Loop Header: Depth=1
                                        ;     Child Loop BB231_15 Depth 2
                                        ;     Child Loop BB231_40 Depth 2
	;; [unrolled: 1-line block ×5, first 2 shown]
                                        ;       Child Loop BB231_165 Depth 3
                                        ;     Child Loop BB231_170 Depth 2
                                        ;       Child Loop BB231_172 Depth 3
                                        ;     Child Loop BB231_177 Depth 2
                                        ;       Child Loop BB231_179 Depth 3
	s_lshl_b32 s4, s7, 2
	s_ashr_i32 s5, s4, 31
	s_lshl_b64 s[4:5], s[4:5], 2
	s_add_u32 s12, s6, s4
	s_addc_u32 s13, s20, s5
	global_load_dwordx2 v[2:3], v6, s[12:13] offset:4
	s_waitcnt vmcnt(0)
	v_readfirstlane_b32 s66, v2
	v_readfirstlane_b32 s64, v3
	s_cmp_le_i32 s64, s66
	s_cbranch_scc1 .LBB231_10
; %bb.12:                               ;   in Loop: Header=BB231_11 Depth=1
	global_load_dword v2, v6, s[12:13] offset:12
	s_waitcnt vmcnt(0)
	v_cmp_le_i32_e32 vcc, s8, v2
	s_cbranch_vccnz .LBB231_10
; %bb.13:                               ;   in Loop: Header=BB231_11 Depth=1
	s_sub_i32 s62, s64, s66
	s_ashr_i32 s67, s66, 31
	v_cmp_ge_i32_e32 vcc, s62, v0
	v_pk_mov_b32 v[2:3], 0, 0
	s_and_saveexec_b64 s[4:5], vcc
	s_cbranch_execz .LBB231_17
; %bb.14:                               ;   in Loop: Header=BB231_11 Depth=1
	s_lshl_b64 s[10:11], s[66:67], 3
	v_mov_b32_e32 v2, s11
	v_add_co_u32_e32 v4, vcc, s10, v19
	v_addc_co_u32_e32 v5, vcc, v20, v2, vcc
	s_mov_b64 s[14:15], 0
	v_pk_mov_b32 v[2:3], 0, 0
	v_mov_b32_e32 v7, v0
.LBB231_15:                             ;   Parent Loop BB231_11 Depth=1
                                        ; =>  This Inner Loop Header: Depth=2
	global_load_dwordx2 v[8:9], v[4:5], off
	v_add_co_u32_e32 v4, vcc, 0x800, v4
	v_add_u32_e32 v7, 0x100, v7
	v_addc_co_u32_e32 v5, vcc, 0, v5, vcc
	v_cmp_lt_i32_e32 vcc, s62, v7
	s_or_b64 s[14:15], vcc, s[14:15]
	s_waitcnt vmcnt(0)
	v_and_b32_e32 v10, 0x7fffffff, v9
	v_cmp_lt_f64_e64 vcc, v[2:3], |v[8:9]|
	v_cndmask_b32_e32 v3, v3, v10, vcc
	v_cndmask_b32_e32 v2, v2, v8, vcc
	s_andn2_b64 exec, exec, s[14:15]
	s_cbranch_execnz .LBB231_15
; %bb.16:                               ;   in Loop: Header=BB231_11 Depth=1
	s_or_b64 exec, exec, s[14:15]
.LBB231_17:                             ;   in Loop: Header=BB231_11 Depth=1
	s_or_b64 exec, exec, s[4:5]
	s_cmp_lt_i32 s62, 1
	ds_write_b64 v18, v[2:3]
	s_waitcnt lgkmcnt(0)
	s_barrier
	s_cbranch_scc1 .LBB231_38
; %bb.18:                               ;   in Loop: Header=BB231_11 Depth=1
	s_and_saveexec_b64 s[4:5], s[0:1]
	s_cbranch_execz .LBB231_22
; %bb.19:                               ;   in Loop: Header=BB231_11 Depth=1
	ds_read_b64 v[4:5], v18 offset:1024
	s_waitcnt lgkmcnt(0)
	v_cmp_lt_f64_e32 vcc, v[2:3], v[4:5]
	s_and_saveexec_b64 s[14:15], vcc
	s_cbranch_execz .LBB231_21
; %bb.20:                               ;   in Loop: Header=BB231_11 Depth=1
	v_pk_mov_b32 v[2:3], v[4:5], v[4:5] op_sel:[0,1]
	ds_write_b64 v18, v[4:5]
.LBB231_21:                             ;   in Loop: Header=BB231_11 Depth=1
	s_or_b64 exec, exec, s[14:15]
.LBB231_22:                             ;   in Loop: Header=BB231_11 Depth=1
	s_or_b64 exec, exec, s[4:5]
	s_waitcnt lgkmcnt(0)
	s_barrier
	s_and_saveexec_b64 s[4:5], s[2:3]
	s_cbranch_execz .LBB231_37
; %bb.23:                               ;   in Loop: Header=BB231_11 Depth=1
	ds_read_b64 v[4:5], v18 offset:512
	s_waitcnt lgkmcnt(0)
	v_cmp_lt_f64_e32 vcc, v[2:3], v[4:5]
	s_and_saveexec_b64 s[14:15], vcc
	s_cbranch_execz .LBB231_25
; %bb.24:                               ;   in Loop: Header=BB231_11 Depth=1
	v_pk_mov_b32 v[2:3], v[4:5], v[4:5] op_sel:[0,1]
	ds_write_b64 v18, v[4:5]
.LBB231_25:                             ;   in Loop: Header=BB231_11 Depth=1
	s_or_b64 exec, exec, s[14:15]
	ds_read_b64 v[4:5], v18 offset:256
	s_waitcnt lgkmcnt(0)
	v_cmp_lt_f64_e32 vcc, v[2:3], v[4:5]
	s_and_saveexec_b64 s[14:15], vcc
	s_cbranch_execz .LBB231_27
; %bb.26:                               ;   in Loop: Header=BB231_11 Depth=1
	v_pk_mov_b32 v[2:3], v[4:5], v[4:5] op_sel:[0,1]
	ds_write_b64 v18, v[4:5]
.LBB231_27:                             ;   in Loop: Header=BB231_11 Depth=1
	s_or_b64 exec, exec, s[14:15]
	;; [unrolled: 10-line block ×6, first 2 shown]
	ds_read_b64 v[4:5], v18 offset:8
	s_waitcnt lgkmcnt(0)
	v_cmp_lt_f64_e32 vcc, v[2:3], v[4:5]
	s_and_b64 exec, exec, vcc
	s_cbranch_execz .LBB231_37
; %bb.36:                               ;   in Loop: Header=BB231_11 Depth=1
	ds_write_b64 v18, v[4:5]
.LBB231_37:                             ;   in Loop: Header=BB231_11 Depth=1
	s_or_b64 exec, exec, s[4:5]
.LBB231_38:                             ;   in Loop: Header=BB231_11 Depth=1
	v_cmp_gt_i32_e32 vcc, s62, v0
	v_pk_mov_b32 v[2:3], 0, 0
	s_waitcnt lgkmcnt(0)
	s_barrier
	s_and_saveexec_b64 s[4:5], vcc
	s_cbranch_execz .LBB231_42
; %bb.39:                               ;   in Loop: Header=BB231_11 Depth=1
	s_lshl_b64 s[10:11], s[66:67], 3
	v_mov_b32_e32 v2, s11
	v_add_co_u32_e32 v4, vcc, s10, v21
	v_addc_co_u32_e32 v5, vcc, v22, v2, vcc
	s_mov_b64 s[14:15], 0
	v_pk_mov_b32 v[2:3], 0, 0
	v_mov_b32_e32 v7, v0
.LBB231_40:                             ;   Parent Loop BB231_11 Depth=1
                                        ; =>  This Inner Loop Header: Depth=2
	global_load_dwordx2 v[8:9], v[4:5], off
	v_add_co_u32_e32 v4, vcc, 0x800, v4
	v_add_u32_e32 v7, 0x100, v7
	v_addc_co_u32_e32 v5, vcc, 0, v5, vcc
	v_cmp_le_i32_e32 vcc, s62, v7
	s_or_b64 s[14:15], vcc, s[14:15]
	s_waitcnt vmcnt(0)
	v_and_b32_e32 v10, 0x7fffffff, v9
	v_cmp_lt_f64_e64 vcc, v[2:3], |v[8:9]|
	v_cndmask_b32_e32 v3, v3, v10, vcc
	v_cndmask_b32_e32 v2, v2, v8, vcc
	s_andn2_b64 exec, exec, s[14:15]
	s_cbranch_execnz .LBB231_40
; %bb.41:                               ;   in Loop: Header=BB231_11 Depth=1
	s_or_b64 exec, exec, s[14:15]
.LBB231_42:                             ;   in Loop: Header=BB231_11 Depth=1
	s_or_b64 exec, exec, s[4:5]
	s_cmp_lt_i32 s62, 2
	ds_write_b64 v18, v[2:3] offset:8
	s_waitcnt lgkmcnt(0)
	s_barrier
	s_cbranch_scc1 .LBB231_63
; %bb.43:                               ;   in Loop: Header=BB231_11 Depth=1
	s_and_saveexec_b64 s[4:5], s[0:1]
	s_cbranch_execz .LBB231_47
; %bb.44:                               ;   in Loop: Header=BB231_11 Depth=1
	ds_read_b64 v[4:5], v18 offset:1032
	s_waitcnt lgkmcnt(0)
	v_cmp_lt_f64_e32 vcc, v[2:3], v[4:5]
	s_and_saveexec_b64 s[14:15], vcc
	s_cbranch_execz .LBB231_46
; %bb.45:                               ;   in Loop: Header=BB231_11 Depth=1
	v_pk_mov_b32 v[2:3], v[4:5], v[4:5] op_sel:[0,1]
	ds_write_b64 v18, v[4:5] offset:8
.LBB231_46:                             ;   in Loop: Header=BB231_11 Depth=1
	s_or_b64 exec, exec, s[14:15]
.LBB231_47:                             ;   in Loop: Header=BB231_11 Depth=1
	s_or_b64 exec, exec, s[4:5]
	s_waitcnt lgkmcnt(0)
	s_barrier
	s_and_saveexec_b64 s[4:5], s[2:3]
	s_cbranch_execz .LBB231_62
; %bb.48:                               ;   in Loop: Header=BB231_11 Depth=1
	ds_read_b64 v[4:5], v18 offset:520
	s_waitcnt lgkmcnt(0)
	v_cmp_lt_f64_e32 vcc, v[2:3], v[4:5]
	s_and_saveexec_b64 s[14:15], vcc
	s_cbranch_execz .LBB231_50
; %bb.49:                               ;   in Loop: Header=BB231_11 Depth=1
	v_pk_mov_b32 v[2:3], v[4:5], v[4:5] op_sel:[0,1]
	ds_write_b64 v18, v[4:5] offset:8
.LBB231_50:                             ;   in Loop: Header=BB231_11 Depth=1
	s_or_b64 exec, exec, s[14:15]
	ds_read_b64 v[4:5], v18 offset:264
	s_waitcnt lgkmcnt(0)
	v_cmp_lt_f64_e32 vcc, v[2:3], v[4:5]
	s_and_saveexec_b64 s[14:15], vcc
	s_cbranch_execz .LBB231_52
; %bb.51:                               ;   in Loop: Header=BB231_11 Depth=1
	v_pk_mov_b32 v[2:3], v[4:5], v[4:5] op_sel:[0,1]
	ds_write_b64 v18, v[4:5] offset:8
.LBB231_52:                             ;   in Loop: Header=BB231_11 Depth=1
	s_or_b64 exec, exec, s[14:15]
	;; [unrolled: 10-line block ×6, first 2 shown]
	ds_read_b64 v[4:5], v18 offset:16
	s_waitcnt lgkmcnt(0)
	v_cmp_lt_f64_e32 vcc, v[2:3], v[4:5]
	s_and_b64 exec, exec, vcc
	s_cbranch_execz .LBB231_62
; %bb.61:                               ;   in Loop: Header=BB231_11 Depth=1
	ds_write_b64 v18, v[4:5] offset:8
.LBB231_62:                             ;   in Loop: Header=BB231_11 Depth=1
	s_or_b64 exec, exec, s[4:5]
.LBB231_63:                             ;   in Loop: Header=BB231_11 Depth=1
	s_lshl_b64 s[68:69], s[66:67], 3
	s_add_u32 s10, s46, s68
	s_addc_u32 s11, s48, s69
	s_add_u32 s14, s22, s68
	s_addc_u32 s15, s33, s69
	s_waitcnt lgkmcnt(0)
	s_barrier
	s_and_saveexec_b64 s[70:71], s[16:17]
	s_cbranch_execz .LBB231_78
; %bb.64:                               ;   in Loop: Header=BB231_11 Depth=1
	s_ashr_i32 s65, s64, 31
	s_lshl_b64 s[4:5], s[64:65], 3
	s_add_u32 s4, s22, s4
	s_addc_u32 s5, s33, s5
	global_load_dwordx2 v[2:3], v6, s[14:15]
	global_load_dwordx2 v[4:5], v6, s[4:5]
	s_ashr_i32 s63, s62, 31
	s_lshl_b64 s[4:5], s[62:63], 3
	s_add_u32 s21, s14, s4
	s_addc_u32 s28, s15, s5
	s_waitcnt vmcnt(0)
	v_cmp_ge_f64_e64 s[4:5], |v[2:3]|, |v[4:5]|
	s_and_b64 s[18:19], s[4:5], exec
	s_cselect_b32 s19, s15, s28
	s_cselect_b32 s18, s14, s21
	global_load_dwordx2 v[8:9], v6, s[18:19]
	v_cndmask_b32_e64 v7, 0, 1, s[4:5]
	s_cmp_lt_i32 s62, 1
	ds_write_b32 v6, v7 offset:2064
	s_waitcnt vmcnt(0)
	v_and_b32_e32 v9, 0x7fffffff, v9
	s_cbranch_scc1 .LBB231_71
; %bb.65:                               ;   in Loop: Header=BB231_11 Depth=1
	s_not_b32 s18, s66
	s_add_i32 s18, s18, s64
	s_mov_b32 s19, 0
	v_pk_mov_b32 v[10:11], v[8:9], v[8:9] op_sel:[0,1]
	s_branch .LBB231_67
.LBB231_66:                             ;   in Loop: Header=BB231_67 Depth=2
	s_add_i32 s19, s19, 1
	s_and_b64 s[28:29], s[4:5], exec
	s_cselect_b32 s28, s19, s18
	s_ashr_i32 s29, s28, 31
	s_lshl_b64 s[28:29], s[28:29], 3
	s_add_u32 s28, s14, s28
	s_addc_u32 s29, s15, s29
	global_load_dwordx2 v[14:15], v6, s[28:29]
	v_add_f64 v[12:13], v[10:11], |v[12:13]|
	v_div_scale_f64 v[16:17], s[28:29], v[12:13], v[12:13], v[10:11]
	v_rcp_f64_e32 v[30:31], v[16:17]
	v_div_scale_f64 v[32:33], vcc, v[10:11], v[12:13], v[10:11]
	s_add_i32 s18, s18, -1
	v_fma_f64 v[34:35], -v[16:17], v[30:31], 1.0
	v_fmac_f64_e32 v[30:31], v[30:31], v[34:35]
	v_fma_f64 v[34:35], -v[16:17], v[30:31], 1.0
	v_fmac_f64_e32 v[30:31], v[30:31], v[34:35]
	v_mul_f64 v[34:35], v[32:33], v[30:31]
	v_fma_f64 v[16:17], -v[16:17], v[34:35], v[32:33]
	v_div_fmas_f64 v[16:17], v[16:17], v[30:31], v[34:35]
	v_div_fixup_f64 v[10:11], v[16:17], v[12:13], v[10:11]
	s_cmp_eq_u32 s18, -1
	s_mov_b64 s[38:39], 0
	s_cselect_b64 s[72:73], -1, 0
	s_waitcnt vmcnt(0)
	v_mul_f64 v[10:11], v[10:11], |v[14:15]|
	v_cmp_lt_f64_e32 vcc, v[10:11], v[8:9]
	v_cndmask_b32_e32 v9, v9, v11, vcc
	v_cndmask_b32_e32 v8, v8, v10, vcc
	s_andn2_b64 vcc, exec, s[72:73]
	s_cbranch_vccz .LBB231_69
.LBB231_67:                             ;   Parent Loop BB231_11 Depth=1
                                        ; =>  This Inner Loop Header: Depth=2
	s_and_b64 s[28:29], s[4:5], exec
	s_cselect_b32 s28, s19, s18
	s_ashr_i32 s29, s28, 31
	s_lshl_b64 s[28:29], s[28:29], 3
	s_add_u32 s30, s10, s28
	s_addc_u32 s31, s11, s29
	global_load_dwordx2 v[12:13], v6, s[30:31]
	v_mul_f64 v[14:15], v[10:11], s[24:25]
	s_waitcnt vmcnt(0)
	v_cmp_nle_f64_e64 s[28:29], |v[12:13]|, v[14:15]
	s_and_b64 vcc, exec, s[28:29]
	s_cbranch_vccnz .LBB231_66
; %bb.68:                               ;   in Loop: Header=BB231_11 Depth=1
	s_mov_b64 s[38:39], -1
                                        ; implicit-def: $vgpr10_vgpr11
                                        ; implicit-def: $sgpr18
                                        ; implicit-def: $sgpr19
                                        ; implicit-def: $vgpr8_vgpr9
.LBB231_69:                             ;   in Loop: Header=BB231_11 Depth=1
	s_and_b64 vcc, exec, s[38:39]
	s_cbranch_vccz .LBB231_71
; %bb.70:                               ;   in Loop: Header=BB231_11 Depth=1
	v_mov_b32_e32 v8, 0
	v_mov_b32_e32 v7, v6
	;; [unrolled: 1-line block ×3, first 2 shown]
	global_store_dwordx2 v6, v[6:7], s[30:31]
.LBB231_71:                             ;   in Loop: Header=BB231_11 Depth=1
	v_cmp_nle_f64_e32 vcc, 0, v[8:9]
	v_and_b32_e32 v3, 0x7fffffff, v3
	v_and_b32_e32 v5, 0x7fffffff, v5
	ds_write_b64 v6, v[8:9] offset:2056
	ds_write_b8 v6, v6 offset:2068
	s_cbranch_vccnz .LBB231_78
; %bb.72:                               ;   in Loop: Header=BB231_11 Depth=1
	ds_read_b128 v[10:13], v6
	s_mov_b64 s[30:31], -1
	s_waitcnt lgkmcnt(0)
	v_cmp_lt_f64_e32 vcc, v[10:11], v[12:13]
	v_cndmask_b32_e32 v11, v11, v13, vcc
	v_cndmask_b32_e32 v10, v10, v12, vcc
	v_div_scale_f64 v[12:13], s[18:19], v[10:11], v[10:11], v[8:9]
	v_rcp_f64_e32 v[14:15], v[12:13]
	v_div_scale_f64 v[16:17], vcc, v[8:9], v[10:11], v[8:9]
	v_fma_f64 v[30:31], -v[12:13], v[14:15], 1.0
	v_fmac_f64_e32 v[14:15], v[14:15], v[30:31]
	v_fma_f64 v[30:31], -v[12:13], v[14:15], 1.0
	v_fmac_f64_e32 v[14:15], v[14:15], v[30:31]
	v_mul_f64 v[30:31], v[16:17], v[14:15]
	v_fma_f64 v[12:13], -v[12:13], v[30:31], v[16:17]
	v_div_fmas_f64 v[12:13], v[12:13], v[14:15], v[30:31]
	v_div_fixup_f64 v[10:11], v[12:13], v[10:11], v[8:9]
	v_cmp_ge_f64_e32 vcc, s[26:27], v[10:11]
	s_cbranch_vccnz .LBB231_75
; %bb.73:                               ;   in Loop: Header=BB231_11 Depth=1
	v_cndmask_b32_e64 v3, v5, v3, s[4:5]
	v_cndmask_b32_e64 v2, v4, v2, s[4:5]
	v_cmp_lt_f64_e32 vcc, 0, v[2:3]
	s_mov_b64 s[30:31], 0
	s_cbranch_vccz .LBB231_75
; %bb.74:                               ;   in Loop: Header=BB231_11 Depth=1
	v_mul_f64 v[4:5], v[8:9], v[8:9]
	v_div_scale_f64 v[8:9], s[4:5], v[2:3], v[2:3], v[4:5]
	v_rcp_f64_e32 v[10:11], v[8:9]
	v_div_scale_f64 v[12:13], vcc, v[4:5], v[2:3], v[4:5]
	v_fma_f64 v[14:15], -v[8:9], v[10:11], 1.0
	v_fmac_f64_e32 v[10:11], v[10:11], v[14:15]
	v_fma_f64 v[14:15], -v[8:9], v[10:11], 1.0
	v_fmac_f64_e32 v[10:11], v[10:11], v[14:15]
	v_mul_f64 v[14:15], v[12:13], v[10:11]
	v_fma_f64 v[8:9], -v[8:9], v[14:15], v[12:13]
	v_div_fmas_f64 v[8:9], v[8:9], v[10:11], v[14:15]
	v_div_fixup_f64 v[4:5], v[8:9], v[2:3], v[4:5]
	v_div_scale_f64 v[8:9], s[4:5], v[2:3], v[2:3], v[4:5]
	v_rcp_f64_e32 v[10:11], v[8:9]
	v_readlane_b32 s4, v44, 14
	v_readlane_b32 s5, v44, 15
	v_fma_f64 v[12:13], -v[8:9], v[10:11], 1.0
	v_fmac_f64_e32 v[10:11], v[10:11], v[12:13]
	v_fma_f64 v[12:13], -v[8:9], v[10:11], 1.0
	v_fmac_f64_e32 v[10:11], v[10:11], v[12:13]
	v_div_scale_f64 v[12:13], vcc, v[4:5], v[2:3], v[4:5]
	v_mul_f64 v[14:15], v[12:13], v[10:11]
	v_fma_f64 v[8:9], -v[8:9], v[14:15], v[12:13]
	s_nop 1
	v_div_fmas_f64 v[8:9], v[8:9], v[10:11], v[14:15]
	v_div_fixup_f64 v[2:3], v[8:9], v[2:3], v[4:5]
	v_cmp_gt_f64_e64 s[30:31], s[4:5], v[2:3]
.LBB231_75:                             ;   in Loop: Header=BB231_11 Depth=1
	s_and_b64 vcc, exec, s[30:31]
	s_cbranch_vccz .LBB231_77
; %bb.76:                               ;   in Loop: Header=BB231_11 Depth=1
	v_mov_b32_e32 v7, v6
	ds_write_b64 v6, v[6:7] offset:2056
.LBB231_77:                             ;   in Loop: Header=BB231_11 Depth=1
	ds_write_b8 v6, v28 offset:2068
.LBB231_78:                             ;   in Loop: Header=BB231_11 Depth=1
	s_or_b64 exec, exec, s[70:71]
	s_waitcnt lgkmcnt(0)
	s_barrier
	ds_read_u8 v2, v6 offset:2068
	s_mov_b64 s[4:5], -1
	s_waitcnt lgkmcnt(0)
	v_cmp_eq_u32_e32 vcc, 0, v2
	s_cbranch_vccz .LBB231_82
; %bb.79:                               ;   in Loop: Header=BB231_11 Depth=1
	s_and_saveexec_b64 s[4:5], s[16:17]
	s_cbranch_execz .LBB231_81
; %bb.80:                               ;   in Loop: Header=BB231_11 Depth=1
	global_store_dword v6, v6, s[12:13]
.LBB231_81:                             ;   in Loop: Header=BB231_11 Depth=1
	s_or_b64 exec, exec, s[4:5]
	s_mov_b64 s[4:5], 0
.LBB231_82:                             ;   in Loop: Header=BB231_11 Depth=1
	s_andn2_b64 vcc, exec, s[4:5]
	s_cbranch_vccnz .LBB231_10
; %bb.83:                               ;   in Loop: Header=BB231_11 Depth=1
	ds_read_b32 v2, v6 offset:2064
	s_waitcnt lgkmcnt(0)
	v_readfirstlane_b32 s70, v2
	s_and_saveexec_b64 s[4:5], s[16:17]
	s_cbranch_execz .LBB231_85
; %bb.84:                               ;   in Loop: Header=BB231_11 Depth=1
	s_cmp_eq_u32 s70, 0
	s_cselect_b32 s18, -1, 1
	v_mov_b32_e32 v2, s18
	global_store_dword v6, v2, s[12:13]
.LBB231_85:                             ;   in Loop: Header=BB231_11 Depth=1
	s_or_b64 exec, exec, s[4:5]
	s_add_i32 s80, s62, 1
	s_mul_i32 s72, s66, s60
	s_sub_i32 s78, 1, s70
	s_ashr_i32 s73, s72, 31
	s_sub_i32 s74, s70, s78
	s_lshl_b32 s12, s80, 1
	s_and_b64 s[4:5], s[36:37], exec
	s_cselect_b32 s63, s12, 0
	s_and_saveexec_b64 s[4:5], s[16:17]
	s_cbranch_execz .LBB231_157
; %bb.86:                               ;   in Loop: Header=BB231_11 Depth=1
	s_cmp_lg_u32 s70, 0
	s_cselect_b64 s[76:77], -1, 0
	s_and_b64 s[12:13], s[76:77], exec
	s_cselect_b32 s86, 0, s62
	s_ashr_i32 s87, s86, 31
	s_lshl_b64 s[12:13], s[86:87], 3
	s_add_u32 s14, s14, s12
	s_addc_u32 s15, s15, s13
	global_load_dwordx2 v[2:3], v6, s[14:15]
	v_pk_mov_b32 v[4:5], 0, 0
	s_waitcnt vmcnt(0)
	v_cmp_eq_f64_e32 vcc, 0, v[2:3]
	s_cbranch_vccnz .LBB231_88
; %bb.87:                               ;   in Loop: Header=BB231_11 Depth=1
	ds_read_b64 v[4:5], v6 offset:2056
	v_cmp_lt_f64_e32 vcc, 0, v[2:3]
	v_cndmask_b32_e64 v7, 0, 1, vcc
	v_cmp_gt_f64_e32 vcc, 0, v[2:3]
	v_subbrev_co_u32_e32 v7, vcc, 0, v7, vcc
	s_waitcnt lgkmcnt(0)
	v_div_scale_f64 v[8:9], s[12:13], v[2:3], v[2:3], v[4:5]
	v_rcp_f64_e32 v[10:11], v[8:9]
	v_add_f64 v[12:13], |v[2:3]|, -v[4:5]
	v_cvt_f64_i32_e32 v[14:15], v7
	v_fma_f64 v[16:17], -v[8:9], v[10:11], 1.0
	v_fmac_f64_e32 v[10:11], v[10:11], v[16:17]
	v_fma_f64 v[16:17], -v[8:9], v[10:11], 1.0
	v_fmac_f64_e32 v[10:11], v[10:11], v[16:17]
	v_div_scale_f64 v[16:17], vcc, v[4:5], v[2:3], v[4:5]
	v_mul_f64 v[30:31], v[16:17], v[10:11]
	v_fma_f64 v[8:9], -v[8:9], v[30:31], v[16:17]
	s_nop 1
	v_div_fmas_f64 v[8:9], v[8:9], v[10:11], v[30:31]
	v_div_fixup_f64 v[4:5], v[8:9], v[2:3], v[4:5]
	v_add_f64 v[4:5], v[4:5], v[14:15]
	v_mul_f64 v[4:5], v[12:13], v[4:5]
.LBB231_88:                             ;   in Loop: Header=BB231_11 Depth=1
	s_cmp_gt_i32 s62, 0
	s_cbranch_scc1 .LBB231_90
; %bb.89:                               ;   in Loop: Header=BB231_11 Depth=1
	s_add_i32 s65, s62, -1
	s_cbranch_execz .LBB231_91
	s_branch .LBB231_156
.LBB231_90:                             ;   in Loop: Header=BB231_11 Depth=1
                                        ; implicit-def: $sgpr65
.LBB231_91:                             ;   in Loop: Header=BB231_11 Depth=1
	s_ashr_i32 s71, s70, 31
	s_sub_u32 s21, 0, s70
	s_subb_u32 s28, 0, s71
	s_add_u32 s82, s86, s70
	s_addc_u32 s83, s87, s71
	s_lshl_b64 s[84:85], s[82:83], 3
	s_add_u32 s88, s10, s84
	s_addc_u32 s89, s11, s85
	global_load_dwordx2 v[8:9], v6, s[88:89] offset:-8
	v_writelane_b32 v44, s90, 22
	v_writelane_b32 v44, s91, 23
	v_pk_mov_b32 v[10:11], 0, 0
	v_writelane_b32 v44, s92, 24
	v_writelane_b32 v44, s93, 25
	s_waitcnt vmcnt(0)
	v_cmp_eq_f64_e32 vcc, 0, v[8:9]
	s_cbranch_vccnz .LBB231_95
; %bb.92:                               ;   in Loop: Header=BB231_11 Depth=1
	v_cmp_eq_f64_e32 vcc, 0, v[4:5]
	v_pk_mov_b32 v[12:13], 0, 0
	s_cbranch_vccnz .LBB231_96
; %bb.93:                               ;   in Loop: Header=BB231_11 Depth=1
	v_cmp_gt_f64_e64 s[12:13], |v[8:9]|, |v[4:5]|
	s_and_b64 vcc, exec, s[12:13]
	s_cbranch_vccnz .LBB231_97
; %bb.94:                               ;   in Loop: Header=BB231_11 Depth=1
	v_div_scale_f64 v[10:11], s[12:13], v[4:5], v[4:5], -v[8:9]
	v_rcp_f64_e32 v[12:13], v[10:11]
	v_div_scale_f64 v[14:15], vcc, -v[8:9], v[4:5], -v[8:9]
	v_fma_f64 v[16:17], -v[10:11], v[12:13], 1.0
	v_fmac_f64_e32 v[12:13], v[12:13], v[16:17]
	v_fma_f64 v[16:17], -v[10:11], v[12:13], 1.0
	v_fmac_f64_e32 v[12:13], v[12:13], v[16:17]
	v_mul_f64 v[16:17], v[14:15], v[12:13]
	v_fma_f64 v[10:11], -v[10:11], v[16:17], v[14:15]
	v_div_fmas_f64 v[10:11], v[10:11], v[12:13], v[16:17]
	v_div_fixup_f64 v[10:11], v[10:11], v[4:5], -v[8:9]
	v_fma_f64 v[12:13], v[10:11], v[10:11], 1.0
	v_cmp_gt_f64_e32 vcc, s[40:41], v[12:13]
	v_cndmask_b32_e64 v7, 0, 1, vcc
	v_lshlrev_b32_e32 v7, 8, v7
	v_ldexp_f64 v[12:13], v[12:13], v7
	v_rsq_f64_e32 v[14:15], v[12:13]
	s_and_b64 s[12:13], vcc, exec
	s_cselect_b32 s12, 0xffffff80, 0
	v_cmp_class_f64_e32 vcc, v[12:13], v27
	v_mul_f64 v[16:17], v[12:13], v[14:15]
	v_mul_f64 v[14:15], v[14:15], 0.5
	v_fma_f64 v[30:31], -v[14:15], v[16:17], 0.5
	v_fmac_f64_e32 v[16:17], v[16:17], v[30:31]
	v_fmac_f64_e32 v[14:15], v[14:15], v[30:31]
	v_fma_f64 v[30:31], -v[16:17], v[16:17], v[12:13]
	v_fmac_f64_e32 v[16:17], v[30:31], v[14:15]
	v_fma_f64 v[30:31], -v[16:17], v[16:17], v[12:13]
	v_fmac_f64_e32 v[16:17], v[30:31], v[14:15]
	v_ldexp_f64 v[14:15], v[16:17], s12
	v_cndmask_b32_e32 v13, v15, v13, vcc
	v_cndmask_b32_e32 v12, v14, v12, vcc
	v_div_scale_f64 v[14:15], s[12:13], v[12:13], v[12:13], 1.0
	v_rcp_f64_e32 v[16:17], v[14:15]
	s_mov_b64 s[12:13], 0
	v_fma_f64 v[30:31], -v[14:15], v[16:17], 1.0
	v_fmac_f64_e32 v[16:17], v[16:17], v[30:31]
	v_fma_f64 v[30:31], -v[14:15], v[16:17], 1.0
	v_fmac_f64_e32 v[16:17], v[16:17], v[30:31]
	v_div_scale_f64 v[30:31], vcc, 1.0, v[12:13], 1.0
	v_mul_f64 v[32:33], v[30:31], v[16:17]
	v_fma_f64 v[14:15], -v[14:15], v[32:33], v[30:31]
	s_nop 1
	v_div_fmas_f64 v[14:15], v[14:15], v[16:17], v[32:33]
	v_div_fixup_f64 v[12:13], v[14:15], v[12:13], 1.0
	v_mul_f64 v[10:11], v[10:11], v[12:13]
	s_branch .LBB231_98
.LBB231_95:                             ;   in Loop: Header=BB231_11 Depth=1
	v_mov_b32_e32 v12, 0
	v_mov_b32_e32 v13, 0x3ff00000
	s_branch .LBB231_100
.LBB231_96:                             ;   in Loop: Header=BB231_11 Depth=1
	v_mov_b32_e32 v10, 0
	v_mov_b32_e32 v11, 0x3ff00000
	s_branch .LBB231_100
.LBB231_97:                             ;   in Loop: Header=BB231_11 Depth=1
	s_mov_b64 s[12:13], -1
                                        ; implicit-def: $vgpr12_vgpr13
                                        ; implicit-def: $vgpr10_vgpr11
.LBB231_98:                             ;   in Loop: Header=BB231_11 Depth=1
	s_andn2_b64 vcc, exec, s[12:13]
	s_cbranch_vccnz .LBB231_100
; %bb.99:                               ;   in Loop: Header=BB231_11 Depth=1
	v_div_scale_f64 v[10:11], s[12:13], v[8:9], v[8:9], -v[4:5]
	v_rcp_f64_e32 v[12:13], v[10:11]
	v_div_scale_f64 v[14:15], vcc, -v[4:5], v[8:9], -v[4:5]
	v_fma_f64 v[16:17], -v[10:11], v[12:13], 1.0
	v_fmac_f64_e32 v[12:13], v[12:13], v[16:17]
	v_fma_f64 v[16:17], -v[10:11], v[12:13], 1.0
	v_fmac_f64_e32 v[12:13], v[12:13], v[16:17]
	v_mul_f64 v[16:17], v[14:15], v[12:13]
	v_fma_f64 v[10:11], -v[10:11], v[16:17], v[14:15]
	v_div_fmas_f64 v[10:11], v[10:11], v[12:13], v[16:17]
	v_div_fixup_f64 v[4:5], v[10:11], v[8:9], -v[4:5]
	v_fma_f64 v[10:11], v[4:5], v[4:5], 1.0
	v_cmp_gt_f64_e32 vcc, s[40:41], v[10:11]
	v_cndmask_b32_e64 v7, 0, 1, vcc
	v_lshlrev_b32_e32 v7, 8, v7
	v_ldexp_f64 v[10:11], v[10:11], v7
	v_rsq_f64_e32 v[12:13], v[10:11]
	s_and_b64 s[12:13], vcc, exec
	s_cselect_b32 s12, 0xffffff80, 0
	v_cmp_class_f64_e32 vcc, v[10:11], v27
	v_mul_f64 v[14:15], v[10:11], v[12:13]
	v_mul_f64 v[12:13], v[12:13], 0.5
	v_fma_f64 v[16:17], -v[12:13], v[14:15], 0.5
	v_fmac_f64_e32 v[14:15], v[14:15], v[16:17]
	v_fmac_f64_e32 v[12:13], v[12:13], v[16:17]
	v_fma_f64 v[16:17], -v[14:15], v[14:15], v[10:11]
	v_fmac_f64_e32 v[14:15], v[16:17], v[12:13]
	v_fma_f64 v[16:17], -v[14:15], v[14:15], v[10:11]
	v_fmac_f64_e32 v[14:15], v[16:17], v[12:13]
	v_ldexp_f64 v[12:13], v[14:15], s12
	v_cndmask_b32_e32 v11, v13, v11, vcc
	v_cndmask_b32_e32 v10, v12, v10, vcc
	v_div_scale_f64 v[12:13], s[12:13], v[10:11], v[10:11], 1.0
	v_rcp_f64_e32 v[14:15], v[12:13]
	v_fma_f64 v[16:17], -v[12:13], v[14:15], 1.0
	v_fmac_f64_e32 v[14:15], v[14:15], v[16:17]
	v_fma_f64 v[16:17], -v[12:13], v[14:15], 1.0
	v_fmac_f64_e32 v[14:15], v[14:15], v[16:17]
	v_div_scale_f64 v[16:17], vcc, 1.0, v[10:11], 1.0
	v_mul_f64 v[30:31], v[16:17], v[14:15]
	v_fma_f64 v[12:13], -v[12:13], v[30:31], v[16:17]
	s_nop 1
	v_div_fmas_f64 v[12:13], v[12:13], v[14:15], v[30:31]
	v_div_fixup_f64 v[10:11], v[12:13], v[10:11], 1.0
	v_mul_f64 v[12:13], v[4:5], v[10:11]
.LBB231_100:                            ;   in Loop: Header=BB231_11 Depth=1
	s_lshl_b64 s[90:91], s[72:73], 3
	s_and_b64 s[38:39], s[36:37], s[76:77]
	s_add_u32 s12, s44, s90
	s_addc_u32 s13, s45, s91
	s_add_u32 s18, s12, 32
	s_addc_u32 s19, s13, 0
	s_sub_u32 s92, s70, s21
	s_subb_u32 s93, s71, s28
	v_mul_f64 v[4:5], v[8:9], v[12:13]
	s_lshl_b64 s[12:13], s[92:93], 3
	v_fmac_f64_e32 v[4:5], v[2:3], v[10:11]
	s_add_u32 s30, s14, s12
	global_store_dwordx2 v6, v[4:5], s[88:89] offset:-8
	s_addc_u32 s31, s15, s13
	global_load_dwordx2 v[14:15], v6, s[30:31] offset:-8
	v_cndmask_b32_e64 v4, 0, 1, s[38:39]
	v_writelane_b32 v44, s94, 26
	v_cmp_ne_u32_e64 s[12:13], 1, v4
	s_andn2_b64 vcc, exec, s[38:39]
	v_writelane_b32 v44, s95, 27
	s_waitcnt vmcnt(0)
	v_mul_f64 v[4:5], v[12:13], v[14:15]
	global_store_dwordx2 v6, v[4:5], s[30:31] offset:-8
	s_cbranch_vccnz .LBB231_102
; %bb.101:                              ;   in Loop: Header=BB231_11 Depth=1
	s_add_u32 s28, s18, s84
	s_addc_u32 s29, s19, s85
	s_ashr_i32 s81, s80, 31
	s_lshl_b64 s[38:39], s[80:81], 3
	s_add_u32 s38, s28, s38
	s_addc_u32 s39, s29, s39
	global_store_dwordx2 v6, v[12:13], s[28:29] offset:-8
	global_store_dwordx2 v6, v[10:11], s[38:39] offset:-8
.LBB231_102:                            ;   in Loop: Header=BB231_11 Depth=1
	s_cmp_lg_u32 s70, 1
	s_cselect_b64 s[38:39], -1, 0
	s_cmp_eq_u32 s70, 1
	v_readlane_b32 s42, v44, 2
	s_cselect_b64 s[28:29], -1, 0
	v_readlane_b32 s43, v44, 3
	s_or_b64 s[94:95], s[42:43], s[28:29]
	s_and_b64 vcc, exec, s[94:95]
	s_cbranch_vccnz .LBB231_104
; %bb.103:                              ;   in Loop: Header=BB231_11 Depth=1
	s_ashr_i32 s21, s63, 31
	s_add_u32 s28, s82, s63
	s_addc_u32 s29, s83, s21
	s_lshl_b64 s[28:29], s[28:29], 3
	s_add_u32 s28, s18, s28
	s_addc_u32 s29, s19, s29
	s_ashr_i32 s81, s80, 31
	s_lshl_b64 s[42:43], s[80:81], 3
	s_add_u32 s42, s28, s42
	s_addc_u32 s43, s29, s43
	global_store_dwordx2 v6, v[12:13], s[28:29] offset:-8
	global_store_dwordx2 v6, v[10:11], s[42:43] offset:-8
.LBB231_104:                            ;   in Loop: Header=BB231_11 Depth=1
	v_mul_f64 v[4:5], v[8:9], v[10:11]
	v_fma_f64 v[4:5], v[2:3], v[12:13], -v[4:5]
	v_mul_f64 v[2:3], v[14:15], -v[10:11]
	v_cmp_eq_f64_e32 vcc, 0, v[2:3]
	v_pk_mov_b32 v[10:11], 0, 0
	s_cbranch_vccnz .LBB231_108
; %bb.105:                              ;   in Loop: Header=BB231_11 Depth=1
	v_cmp_eq_f64_e32 vcc, 0, v[4:5]
	s_cbranch_vccnz .LBB231_109
; %bb.106:                              ;   in Loop: Header=BB231_11 Depth=1
	v_cmp_gt_f64_e64 s[28:29], |v[2:3]|, |v[4:5]|
	s_and_b64 vcc, exec, s[28:29]
	s_cbranch_vccnz .LBB231_110
; %bb.107:                              ;   in Loop: Header=BB231_11 Depth=1
	v_div_scale_f64 v[8:9], s[28:29], v[4:5], v[4:5], -v[2:3]
	v_rcp_f64_e32 v[10:11], v[8:9]
	v_div_scale_f64 v[12:13], vcc, -v[2:3], v[4:5], -v[2:3]
	v_fma_f64 v[14:15], -v[8:9], v[10:11], 1.0
	v_fmac_f64_e32 v[10:11], v[10:11], v[14:15]
	v_fma_f64 v[14:15], -v[8:9], v[10:11], 1.0
	v_fmac_f64_e32 v[10:11], v[10:11], v[14:15]
	v_mul_f64 v[14:15], v[12:13], v[10:11]
	v_fma_f64 v[8:9], -v[8:9], v[14:15], v[12:13]
	v_div_fmas_f64 v[8:9], v[8:9], v[10:11], v[14:15]
	v_div_fixup_f64 v[10:11], v[8:9], v[4:5], -v[2:3]
	v_fma_f64 v[8:9], v[10:11], v[10:11], 1.0
	v_cmp_gt_f64_e32 vcc, s[40:41], v[8:9]
	v_cndmask_b32_e64 v7, 0, 1, vcc
	v_lshlrev_b32_e32 v7, 8, v7
	v_ldexp_f64 v[8:9], v[8:9], v7
	v_rsq_f64_e32 v[12:13], v[8:9]
	s_and_b64 s[28:29], vcc, exec
	s_cselect_b32 s21, 0xffffff80, 0
	v_cmp_class_f64_e32 vcc, v[8:9], v27
	v_mul_f64 v[14:15], v[8:9], v[12:13]
	v_mul_f64 v[12:13], v[12:13], 0.5
	v_fma_f64 v[16:17], -v[12:13], v[14:15], 0.5
	v_fmac_f64_e32 v[14:15], v[14:15], v[16:17]
	v_fmac_f64_e32 v[12:13], v[12:13], v[16:17]
	v_fma_f64 v[16:17], -v[14:15], v[14:15], v[8:9]
	v_fmac_f64_e32 v[14:15], v[16:17], v[12:13]
	v_fma_f64 v[16:17], -v[14:15], v[14:15], v[8:9]
	v_fmac_f64_e32 v[14:15], v[16:17], v[12:13]
	v_ldexp_f64 v[12:13], v[14:15], s21
	v_cndmask_b32_e32 v9, v13, v9, vcc
	v_cndmask_b32_e32 v8, v12, v8, vcc
	v_div_scale_f64 v[12:13], s[28:29], v[8:9], v[8:9], 1.0
	v_rcp_f64_e32 v[14:15], v[12:13]
	v_fma_f64 v[16:17], -v[12:13], v[14:15], 1.0
	v_fmac_f64_e32 v[14:15], v[14:15], v[16:17]
	v_fma_f64 v[16:17], -v[12:13], v[14:15], 1.0
	v_fmac_f64_e32 v[14:15], v[14:15], v[16:17]
	v_div_scale_f64 v[16:17], vcc, 1.0, v[8:9], 1.0
	v_mul_f64 v[30:31], v[16:17], v[14:15]
	v_fma_f64 v[12:13], -v[12:13], v[30:31], v[16:17]
	s_nop 1
	v_div_fmas_f64 v[12:13], v[12:13], v[14:15], v[30:31]
	v_div_fixup_f64 v[8:9], v[12:13], v[8:9], 1.0
	v_mul_f64 v[10:11], v[10:11], v[8:9]
	s_mov_b64 vcc, 0
	s_branch .LBB231_111
.LBB231_108:                            ;   in Loop: Header=BB231_11 Depth=1
	v_mov_b32_e32 v8, 0
	v_mov_b32_e32 v9, 0x3ff00000
	s_branch .LBB231_115
.LBB231_109:                            ;   in Loop: Header=BB231_11 Depth=1
                                        ; implicit-def: $vgpr4_vgpr5
                                        ; implicit-def: $vgpr8_vgpr9
                                        ; implicit-def: $vgpr10_vgpr11
	s_cbranch_execnz .LBB231_114
	s_branch .LBB231_115
.LBB231_110:                            ;   in Loop: Header=BB231_11 Depth=1
	s_mov_b64 vcc, -1
                                        ; implicit-def: $vgpr8_vgpr9
                                        ; implicit-def: $vgpr10_vgpr11
.LBB231_111:                            ;   in Loop: Header=BB231_11 Depth=1
	s_andn2_b64 vcc, exec, vcc
	s_cbranch_vccnz .LBB231_113
; %bb.112:                              ;   in Loop: Header=BB231_11 Depth=1
	v_div_scale_f64 v[8:9], s[28:29], v[2:3], v[2:3], -v[4:5]
	v_rcp_f64_e32 v[10:11], v[8:9]
	v_div_scale_f64 v[12:13], vcc, -v[4:5], v[2:3], -v[4:5]
	v_fma_f64 v[14:15], -v[8:9], v[10:11], 1.0
	v_fmac_f64_e32 v[10:11], v[10:11], v[14:15]
	v_fma_f64 v[14:15], -v[8:9], v[10:11], 1.0
	v_fmac_f64_e32 v[10:11], v[10:11], v[14:15]
	v_mul_f64 v[14:15], v[12:13], v[10:11]
	v_fma_f64 v[8:9], -v[8:9], v[14:15], v[12:13]
	v_div_fmas_f64 v[8:9], v[8:9], v[10:11], v[14:15]
	v_div_fixup_f64 v[8:9], v[8:9], v[2:3], -v[4:5]
	v_fma_f64 v[10:11], v[8:9], v[8:9], 1.0
	v_cmp_gt_f64_e32 vcc, s[40:41], v[10:11]
	v_cndmask_b32_e64 v7, 0, 1, vcc
	v_lshlrev_b32_e32 v7, 8, v7
	v_ldexp_f64 v[10:11], v[10:11], v7
	v_rsq_f64_e32 v[12:13], v[10:11]
	s_and_b64 s[28:29], vcc, exec
	s_cselect_b32 s21, 0xffffff80, 0
	v_cmp_class_f64_e32 vcc, v[10:11], v27
	v_mul_f64 v[14:15], v[10:11], v[12:13]
	v_mul_f64 v[12:13], v[12:13], 0.5
	v_fma_f64 v[16:17], -v[12:13], v[14:15], 0.5
	v_fmac_f64_e32 v[14:15], v[14:15], v[16:17]
	v_fmac_f64_e32 v[12:13], v[12:13], v[16:17]
	v_fma_f64 v[16:17], -v[14:15], v[14:15], v[10:11]
	v_fmac_f64_e32 v[14:15], v[16:17], v[12:13]
	v_fma_f64 v[16:17], -v[14:15], v[14:15], v[10:11]
	v_fmac_f64_e32 v[14:15], v[16:17], v[12:13]
	v_ldexp_f64 v[12:13], v[14:15], s21
	v_cndmask_b32_e32 v11, v13, v11, vcc
	v_cndmask_b32_e32 v10, v12, v10, vcc
	v_div_scale_f64 v[12:13], s[28:29], v[10:11], v[10:11], 1.0
	v_rcp_f64_e32 v[14:15], v[12:13]
	v_fma_f64 v[16:17], -v[12:13], v[14:15], 1.0
	v_fmac_f64_e32 v[14:15], v[14:15], v[16:17]
	v_fma_f64 v[16:17], -v[12:13], v[14:15], 1.0
	v_fmac_f64_e32 v[14:15], v[14:15], v[16:17]
	v_div_scale_f64 v[16:17], vcc, 1.0, v[10:11], 1.0
	v_mul_f64 v[30:31], v[16:17], v[14:15]
	v_fma_f64 v[12:13], -v[12:13], v[30:31], v[16:17]
	s_nop 1
	v_div_fmas_f64 v[12:13], v[12:13], v[14:15], v[30:31]
	v_div_fixup_f64 v[10:11], v[12:13], v[10:11], 1.0
	v_mul_f64 v[8:9], v[8:9], v[10:11]
.LBB231_113:                            ;   in Loop: Header=BB231_11 Depth=1
	v_mul_f64 v[12:13], v[2:3], v[10:11]
	v_fma_f64 v[4:5], v[4:5], v[8:9], -v[12:13]
	s_branch .LBB231_115
.LBB231_114:                            ;   in Loop: Header=BB231_11 Depth=1
	v_mov_b32_e32 v10, 0
	v_xor_b32_e32 v5, 0x80000000, v3
	v_mov_b32_e32 v4, v2
	v_pk_mov_b32 v[8:9], 0, 0
	v_mov_b32_e32 v11, 0x3ff00000
.LBB231_115:                            ;   in Loop: Header=BB231_11 Depth=1
	global_store_dwordx2 v6, v[4:5], s[14:15]
	global_load_dwordx2 v[12:13], v6, s[30:31] offset:-8
	s_nop 0
	global_load_dwordx2 v[4:5], v6, s[88:89] offset:-8
	s_cmp_eq_u32 s80, 2
	s_waitcnt vmcnt(1)
	v_mul_f64 v[14:15], v[8:9], v[12:13]
	s_waitcnt vmcnt(0)
	v_fmac_f64_e32 v[14:15], v[10:11], v[4:5]
	global_store_dwordx2 v6, v[14:15], s[30:31] offset:-8
	s_cbranch_scc1 .LBB231_117
; %bb.116:                              ;   in Loop: Header=BB231_11 Depth=1
	s_ashr_i32 s75, s74, 31
	s_lshl_b64 s[14:15], s[74:75], 3
	s_add_u32 s14, s88, s14
	s_addc_u32 s15, s89, s15
	global_load_dwordx2 v[14:15], v6, s[14:15] offset:-8
	s_waitcnt vmcnt(0)
	v_mul_f64 v[2:3], v[14:15], -v[10:11]
	v_mul_f64 v[14:15], v[8:9], v[14:15]
	global_store_dwordx2 v6, v[14:15], s[14:15] offset:-8
.LBB231_117:                            ;   in Loop: Header=BB231_11 Depth=1
	s_and_b64 s[28:29], s[36:37], s[38:39]
	v_cndmask_b32_e64 v7, 0, 1, s[28:29]
	v_cmp_ne_u32_e64 s[14:15], 1, v7
	s_andn2_b64 vcc, exec, s[28:29]
	s_cbranch_vccnz .LBB231_119
; %bb.118:                              ;   in Loop: Header=BB231_11 Depth=1
	s_add_u32 s28, s18, s84
	s_addc_u32 s29, s19, s85
	s_ashr_i32 s81, s80, 31
	s_lshl_b64 s[30:31], s[80:81], 3
	s_add_u32 s30, s28, s30
	s_addc_u32 s31, s29, s31
	global_store_dwordx2 v6, v[8:9], s[28:29] offset:-8
	global_store_dwordx2 v6, v[10:11], s[30:31] offset:-8
.LBB231_119:                            ;   in Loop: Header=BB231_11 Depth=1
	v_readlane_b32 s30, v44, 2
	s_xor_b64 s[28:29], s[76:77], -1
	v_readlane_b32 s31, v44, 3
	s_or_b64 s[30:31], s[30:31], s[28:29]
	s_and_b64 vcc, exec, s[30:31]
	s_cbranch_vccnz .LBB231_121
; %bb.120:                              ;   in Loop: Header=BB231_11 Depth=1
	s_ashr_i32 s21, s63, 31
	s_add_u32 s28, s82, s63
	s_addc_u32 s29, s83, s21
	s_lshl_b64 s[28:29], s[28:29], 3
	s_add_u32 s18, s18, s28
	s_addc_u32 s19, s19, s29
	s_ashr_i32 s81, s80, 31
	s_lshl_b64 s[28:29], s[80:81], 3
	s_add_u32 s28, s18, s28
	s_addc_u32 s29, s19, s29
	global_store_dwordx2 v6, v[8:9], s[18:19] offset:-8
	global_store_dwordx2 v6, v[10:11], s[28:29] offset:-8
.LBB231_121:                            ;   in Loop: Header=BB231_11 Depth=1
	v_mul_f64 v[10:11], v[10:11], v[12:13]
	v_fma_f64 v[4:5], v[8:9], v[4:5], -v[10:11]
	s_cmp_eq_u32 s62, 1
	s_mov_b32 s65, 0
	s_cbranch_scc1 .LBB231_155
; %bb.122:                              ;   in Loop: Header=BB231_11 Depth=1
	v_writelane_b32 v44, s60, 28
	v_writelane_b32 v44, s60, 29
	s_xor_b64 s[82:83], s[94:95], -1
	s_xor_b64 s[84:85], s[30:31], -1
	s_add_i32 s18, s86, s74
	s_add_i32 s65, s62, -1
	s_sub_i32 s30, s86, s78
	s_ashr_i32 s31, s63, 31
	s_ashr_i32 s81, s80, 31
	s_lshl_b64 s[38:39], s[70:71], 4
	v_writelane_b32 v44, s61, 30
	s_add_u32 s60, s38, s68
	s_addc_u32 s61, s39, s69
	s_ashr_i32 s19, s18, 31
	s_lshl_b64 s[18:19], s[18:19], 3
	s_add_u32 s21, s60, s18
	s_addc_u32 s28, s61, s19
	v_readlane_b32 s29, v44, 4
	s_add_u32 s71, s29, s21
	v_readlane_b32 s21, v44, 5
	s_addc_u32 s75, s21, s28
	s_lshl_b32 s21, s70, 1
	s_add_i32 s28, s21, -2
	s_ashr_i32 s29, s28, 31
	s_lshl_b64 s[86:87], s[28:29], 3
	s_or_b32 s86, s86, 8
	s_add_u32 s18, s68, s18
	s_addc_u32 s19, s69, s19
	s_add_u32 s95, s22, s18
	s_addc_u32 s21, s33, s19
	;; [unrolled: 2-line block ×3, first 2 shown]
	s_ashr_i32 s31, s30, 31
	s_add_u32 s18, s18, s30
	s_addc_u32 s19, s19, s31
	s_lshl_b64 s[18:19], s[18:19], 3
	s_add_u32 s28, s18, s90
	s_addc_u32 s29, s19, s91
	s_lshl_b64 s[18:19], s[80:81], 3
	s_add_u32 s42, s28, s18
	s_addc_u32 s43, s29, s19
	v_readlane_b32 s58, v44, 7
	s_add_u32 s92, s58, s42
	v_readlane_b32 s59, v44, 9
	s_addc_u32 s93, s59, s43
	s_add_u32 s28, s58, s28
	s_addc_u32 s29, s59, s29
	s_add_u32 s42, s38, s90
	s_addc_u32 s43, s39, s91
	s_lshl_b64 s[38:39], s[30:31], 3
	s_add_u32 s42, s42, s38
	s_addc_u32 s43, s43, s39
	s_add_u32 s18, s42, s18
	s_addc_u32 s19, s43, s19
	;; [unrolled: 2-line block ×4, first 2 shown]
	v_readlane_b32 s18, v44, 0
	v_readlane_b32 s19, v44, 1
	s_add_u32 s18, s18, s66
	s_addc_u32 s19, s19, s67
	s_add_u32 s18, s18, s30
	s_addc_u32 s19, s19, s31
	s_mul_i32 s59, s70, 24
	s_lshl_b64 s[18:19], s[18:19], 3
	s_mul_hi_i32 s58, s70, 24
	s_add_u32 s30, s59, s18
	s_addc_u32 s31, s58, s19
	s_ashr_i32 s79, s78, 31
	s_lshl_b64 s[18:19], s[78:79], 3
	s_sub_u32 s18, s30, s18
	s_subb_u32 s19, s31, s19
	v_readlane_b32 s30, v44, 16
	s_add_u32 s58, s30, s18
	v_readlane_b32 s18, v44, 18
	s_addc_u32 s59, s18, s19
	s_add_u32 s18, s60, s38
	s_addc_u32 s19, s61, s39
	v_readlane_b32 s30, v44, 17
	s_add_u32 s60, s30, s18
	v_readlane_b32 s18, v44, 19
	s_addc_u32 s61, s18, s19
	s_add_u32 s18, s68, s38
	s_addc_u32 s19, s69, s39
	s_add_u32 s18, s46, s18
	s_mov_b32 s94, 1
	s_addc_u32 s19, s48, s19
	s_mov_b64 s[78:79], 0
	s_branch .LBB231_124
.LBB231_123:                            ;   in Loop: Header=BB231_124 Depth=2
	s_add_i32 s94, s94, 1
	s_add_u32 s78, s78, s86
	v_mul_f64 v[10:11], v[10:11], v[12:13]
	s_addc_u32 s79, s79, s87
	s_cmp_eq_u32 s62, s94
	v_fma_f64 v[4:5], v[8:9], v[4:5], -v[10:11]
	s_cbranch_scc1 .LBB231_154
.LBB231_124:                            ;   Parent Loop BB231_11 Depth=1
                                        ; =>  This Inner Loop Header: Depth=2
	v_cmp_eq_f64_e32 vcc, 0, v[2:3]
	v_pk_mov_b32 v[8:9], 0, 0
	s_cbranch_vccnz .LBB231_128
; %bb.125:                              ;   in Loop: Header=BB231_124 Depth=2
	v_cmp_neq_f64_e32 vcc, 0, v[4:5]
	s_cbranch_vccz .LBB231_129
; %bb.126:                              ;   in Loop: Header=BB231_124 Depth=2
	v_cmp_ngt_f64_e64 s[30:31], |v[2:3]|, |v[4:5]|
	s_and_b64 vcc, exec, s[30:31]
	s_cbranch_vccz .LBB231_130
; %bb.127:                              ;   in Loop: Header=BB231_124 Depth=2
	v_div_scale_f64 v[8:9], s[30:31], v[4:5], v[4:5], -v[2:3]
	v_rcp_f64_e32 v[10:11], v[8:9]
	v_div_scale_f64 v[12:13], vcc, -v[2:3], v[4:5], -v[2:3]
	v_fma_f64 v[14:15], -v[8:9], v[10:11], 1.0
	v_fmac_f64_e32 v[10:11], v[10:11], v[14:15]
	v_fma_f64 v[14:15], -v[8:9], v[10:11], 1.0
	v_fmac_f64_e32 v[10:11], v[10:11], v[14:15]
	v_mul_f64 v[14:15], v[12:13], v[10:11]
	v_fma_f64 v[8:9], -v[8:9], v[14:15], v[12:13]
	v_div_fmas_f64 v[8:9], v[8:9], v[10:11], v[14:15]
	v_div_fixup_f64 v[8:9], v[8:9], v[4:5], -v[2:3]
	v_fma_f64 v[10:11], v[8:9], v[8:9], 1.0
	v_cmp_gt_f64_e32 vcc, s[40:41], v[10:11]
	v_cndmask_b32_e64 v7, 0, 1, vcc
	v_lshlrev_b32_e32 v7, 8, v7
	v_ldexp_f64 v[10:11], v[10:11], v7
	v_rsq_f64_e32 v[12:13], v[10:11]
	s_and_b64 s[30:31], vcc, exec
	s_cselect_b32 s30, 0xffffff80, 0
	v_cmp_class_f64_e32 vcc, v[10:11], v27
	v_mul_f64 v[14:15], v[10:11], v[12:13]
	v_mul_f64 v[12:13], v[12:13], 0.5
	v_fma_f64 v[16:17], -v[12:13], v[14:15], 0.5
	v_fmac_f64_e32 v[14:15], v[14:15], v[16:17]
	v_fmac_f64_e32 v[12:13], v[12:13], v[16:17]
	v_fma_f64 v[16:17], -v[14:15], v[14:15], v[10:11]
	v_fmac_f64_e32 v[14:15], v[16:17], v[12:13]
	v_fma_f64 v[16:17], -v[14:15], v[14:15], v[10:11]
	v_fmac_f64_e32 v[14:15], v[16:17], v[12:13]
	v_ldexp_f64 v[12:13], v[14:15], s30
	v_cndmask_b32_e32 v11, v13, v11, vcc
	v_cndmask_b32_e32 v10, v12, v10, vcc
	v_div_scale_f64 v[12:13], s[30:31], v[10:11], v[10:11], 1.0
	v_rcp_f64_e32 v[14:15], v[12:13]
	v_fma_f64 v[16:17], -v[12:13], v[14:15], 1.0
	v_fmac_f64_e32 v[14:15], v[14:15], v[16:17]
	v_fma_f64 v[16:17], -v[12:13], v[14:15], 1.0
	v_fmac_f64_e32 v[14:15], v[14:15], v[16:17]
	v_div_scale_f64 v[16:17], vcc, 1.0, v[10:11], 1.0
	v_mul_f64 v[30:31], v[16:17], v[14:15]
	v_fma_f64 v[12:13], -v[12:13], v[30:31], v[16:17]
	s_nop 1
	v_div_fmas_f64 v[12:13], v[12:13], v[14:15], v[30:31]
	v_div_fixup_f64 v[10:11], v[12:13], v[10:11], 1.0
	v_mul_f64 v[8:9], v[8:9], v[10:11]
	s_cbranch_execz .LBB231_131
	s_branch .LBB231_132
.LBB231_128:                            ;   in Loop: Header=BB231_124 Depth=2
	v_mov_b32_e32 v10, 0
	v_mov_b32_e32 v11, 0x3ff00000
	s_branch .LBB231_134
.LBB231_129:                            ;   in Loop: Header=BB231_124 Depth=2
                                        ; implicit-def: $vgpr4_vgpr5
                                        ; implicit-def: $vgpr10_vgpr11
                                        ; implicit-def: $vgpr8_vgpr9
	s_cbranch_execnz .LBB231_133
	s_branch .LBB231_134
.LBB231_130:                            ;   in Loop: Header=BB231_124 Depth=2
                                        ; implicit-def: $vgpr10_vgpr11
                                        ; implicit-def: $vgpr8_vgpr9
.LBB231_131:                            ;   in Loop: Header=BB231_124 Depth=2
	v_div_scale_f64 v[8:9], s[30:31], v[2:3], v[2:3], -v[4:5]
	v_rcp_f64_e32 v[10:11], v[8:9]
	v_div_scale_f64 v[12:13], vcc, -v[4:5], v[2:3], -v[4:5]
	v_fma_f64 v[14:15], -v[8:9], v[10:11], 1.0
	v_fmac_f64_e32 v[10:11], v[10:11], v[14:15]
	v_fma_f64 v[14:15], -v[8:9], v[10:11], 1.0
	v_fmac_f64_e32 v[10:11], v[10:11], v[14:15]
	v_mul_f64 v[14:15], v[12:13], v[10:11]
	v_fma_f64 v[8:9], -v[8:9], v[14:15], v[12:13]
	v_div_fmas_f64 v[8:9], v[8:9], v[10:11], v[14:15]
	v_div_fixup_f64 v[10:11], v[8:9], v[2:3], -v[4:5]
	v_fma_f64 v[8:9], v[10:11], v[10:11], 1.0
	v_cmp_gt_f64_e32 vcc, s[40:41], v[8:9]
	v_cndmask_b32_e64 v7, 0, 1, vcc
	v_lshlrev_b32_e32 v7, 8, v7
	v_ldexp_f64 v[8:9], v[8:9], v7
	v_rsq_f64_e32 v[12:13], v[8:9]
	s_and_b64 s[30:31], vcc, exec
	s_cselect_b32 s30, 0xffffff80, 0
	v_cmp_class_f64_e32 vcc, v[8:9], v27
	v_mul_f64 v[14:15], v[8:9], v[12:13]
	v_mul_f64 v[12:13], v[12:13], 0.5
	v_fma_f64 v[16:17], -v[12:13], v[14:15], 0.5
	v_fmac_f64_e32 v[14:15], v[14:15], v[16:17]
	v_fmac_f64_e32 v[12:13], v[12:13], v[16:17]
	v_fma_f64 v[16:17], -v[14:15], v[14:15], v[8:9]
	v_fmac_f64_e32 v[14:15], v[16:17], v[12:13]
	v_fma_f64 v[16:17], -v[14:15], v[14:15], v[8:9]
	v_fmac_f64_e32 v[14:15], v[16:17], v[12:13]
	v_ldexp_f64 v[12:13], v[14:15], s30
	v_cndmask_b32_e32 v9, v13, v9, vcc
	v_cndmask_b32_e32 v8, v12, v8, vcc
	v_div_scale_f64 v[12:13], s[30:31], v[8:9], v[8:9], 1.0
	v_rcp_f64_e32 v[14:15], v[12:13]
	v_fma_f64 v[16:17], -v[12:13], v[14:15], 1.0
	v_fmac_f64_e32 v[14:15], v[14:15], v[16:17]
	v_fma_f64 v[16:17], -v[12:13], v[14:15], 1.0
	v_fmac_f64_e32 v[14:15], v[14:15], v[16:17]
	v_div_scale_f64 v[16:17], vcc, 1.0, v[8:9], 1.0
	v_mul_f64 v[30:31], v[16:17], v[14:15]
	v_fma_f64 v[12:13], -v[12:13], v[30:31], v[16:17]
	s_nop 1
	v_div_fmas_f64 v[12:13], v[12:13], v[14:15], v[30:31]
	v_div_fixup_f64 v[8:9], v[12:13], v[8:9], 1.0
	v_mul_f64 v[10:11], v[10:11], v[8:9]
.LBB231_132:                            ;   in Loop: Header=BB231_124 Depth=2
	v_mul_f64 v[12:13], v[2:3], v[8:9]
	v_fma_f64 v[4:5], v[4:5], v[10:11], -v[12:13]
	s_branch .LBB231_134
.LBB231_133:                            ;   in Loop: Header=BB231_124 Depth=2
	v_xor_b32_e32 v3, 0x80000000, v3
	v_mov_b32_e32 v8, 0
	v_pk_mov_b32 v[10:11], 0, 0
	v_mov_b32_e32 v9, 0x3ff00000
	v_pk_mov_b32 v[4:5], v[2:3], v[2:3] op_sel:[0,1]
.LBB231_134:                            ;   in Loop: Header=BB231_124 Depth=2
	s_add_u32 s30, s18, s78
	s_addc_u32 s31, s19, s79
	global_store_dwordx2 v6, v[4:5], s[30:31]
	s_add_u32 s30, s95, s78
	s_addc_u32 s31, s21, s79
	s_add_u32 s38, s60, s78
	s_addc_u32 s39, s61, s79
	global_load_dwordx2 v[4:5], v6, s[38:39]
	global_load_dwordx2 v[2:3], v6, s[30:31]
	s_add_u32 s80, s71, s78
	s_addc_u32 s81, s75, s79
	s_and_b64 vcc, exec, s[12:13]
	s_waitcnt vmcnt(1)
	v_mul_f64 v[12:13], v[10:11], v[4:5]
	s_waitcnt vmcnt(0)
	v_fmac_f64_e32 v[12:13], v[8:9], v[2:3]
	global_store_dwordx2 v6, v[12:13], s[38:39]
	global_load_dwordx2 v[12:13], v6, s[80:81]
	s_waitcnt vmcnt(0)
	v_mul_f64 v[14:15], v[10:11], v[12:13]
	global_store_dwordx2 v6, v[14:15], s[80:81]
	s_cbranch_vccnz .LBB231_136
; %bb.135:                              ;   in Loop: Header=BB231_124 Depth=2
	s_add_u32 s88, s42, s78
	s_addc_u32 s89, s43, s79
	s_add_u32 vcc_lo, s90, s78
	s_addc_u32 vcc_hi, s91, s79
	global_store_dwordx2 v6, v[10:11], s[88:89]
	global_store_dwordx2 v6, v[8:9], vcc
.LBB231_136:                            ;   in Loop: Header=BB231_124 Depth=2
	s_andn2_b64 vcc, exec, s[82:83]
	s_cbranch_vccnz .LBB231_138
; %bb.137:                              ;   in Loop: Header=BB231_124 Depth=2
	s_add_u32 s88, s28, s78
	s_addc_u32 s89, s29, s79
	s_add_u32 vcc_lo, s92, s78
	s_addc_u32 vcc_hi, s93, s79
	global_store_dwordx2 v6, v[10:11], s[88:89]
	global_store_dwordx2 v6, v[8:9], vcc
.LBB231_138:                            ;   in Loop: Header=BB231_124 Depth=2
	v_mul_f64 v[4:5], v[8:9], v[4:5]
	v_fma_f64 v[4:5], v[10:11], v[2:3], -v[4:5]
	v_mul_f64 v[2:3], v[12:13], -v[8:9]
	v_cmp_eq_f64_e32 vcc, 0, v[2:3]
	v_pk_mov_b32 v[10:11], 0, 0
	s_cbranch_vccnz .LBB231_142
; %bb.139:                              ;   in Loop: Header=BB231_124 Depth=2
	v_cmp_neq_f64_e32 vcc, 0, v[4:5]
	s_cbranch_vccz .LBB231_143
; %bb.140:                              ;   in Loop: Header=BB231_124 Depth=2
	v_cmp_ngt_f64_e64 s[88:89], |v[2:3]|, |v[4:5]|
	s_and_b64 vcc, exec, s[88:89]
	s_cbranch_vccz .LBB231_144
; %bb.141:                              ;   in Loop: Header=BB231_124 Depth=2
	v_div_scale_f64 v[8:9], s[88:89], v[4:5], v[4:5], -v[2:3]
	v_rcp_f64_e32 v[10:11], v[8:9]
	v_div_scale_f64 v[12:13], vcc, -v[2:3], v[4:5], -v[2:3]
	v_fma_f64 v[14:15], -v[8:9], v[10:11], 1.0
	v_fmac_f64_e32 v[10:11], v[10:11], v[14:15]
	v_fma_f64 v[14:15], -v[8:9], v[10:11], 1.0
	v_fmac_f64_e32 v[10:11], v[10:11], v[14:15]
	v_mul_f64 v[14:15], v[12:13], v[10:11]
	v_fma_f64 v[8:9], -v[8:9], v[14:15], v[12:13]
	v_div_fmas_f64 v[8:9], v[8:9], v[10:11], v[14:15]
	v_div_fixup_f64 v[10:11], v[8:9], v[4:5], -v[2:3]
	v_fma_f64 v[8:9], v[10:11], v[10:11], 1.0
	v_cmp_gt_f64_e32 vcc, s[40:41], v[8:9]
	v_cndmask_b32_e64 v7, 0, 1, vcc
	v_lshlrev_b32_e32 v7, 8, v7
	v_ldexp_f64 v[8:9], v[8:9], v7
	v_rsq_f64_e32 v[12:13], v[8:9]
	s_and_b64 s[88:89], vcc, exec
	s_cselect_b32 s88, 0xffffff80, 0
	v_cmp_class_f64_e32 vcc, v[8:9], v27
	v_mul_f64 v[14:15], v[8:9], v[12:13]
	v_mul_f64 v[12:13], v[12:13], 0.5
	v_fma_f64 v[16:17], -v[12:13], v[14:15], 0.5
	v_fmac_f64_e32 v[14:15], v[14:15], v[16:17]
	v_fmac_f64_e32 v[12:13], v[12:13], v[16:17]
	v_fma_f64 v[16:17], -v[14:15], v[14:15], v[8:9]
	v_fmac_f64_e32 v[14:15], v[16:17], v[12:13]
	v_fma_f64 v[16:17], -v[14:15], v[14:15], v[8:9]
	v_fmac_f64_e32 v[14:15], v[16:17], v[12:13]
	v_ldexp_f64 v[12:13], v[14:15], s88
	v_cndmask_b32_e32 v9, v13, v9, vcc
	v_cndmask_b32_e32 v8, v12, v8, vcc
	v_div_scale_f64 v[12:13], s[88:89], v[8:9], v[8:9], 1.0
	v_rcp_f64_e32 v[14:15], v[12:13]
	v_fma_f64 v[16:17], -v[12:13], v[14:15], 1.0
	v_fmac_f64_e32 v[14:15], v[14:15], v[16:17]
	v_fma_f64 v[16:17], -v[12:13], v[14:15], 1.0
	v_fmac_f64_e32 v[14:15], v[14:15], v[16:17]
	v_div_scale_f64 v[16:17], vcc, 1.0, v[8:9], 1.0
	v_mul_f64 v[30:31], v[16:17], v[14:15]
	v_fma_f64 v[12:13], -v[12:13], v[30:31], v[16:17]
	s_nop 1
	v_div_fmas_f64 v[12:13], v[12:13], v[14:15], v[30:31]
	v_div_fixup_f64 v[8:9], v[12:13], v[8:9], 1.0
	v_mul_f64 v[10:11], v[10:11], v[8:9]
	s_cbranch_execz .LBB231_145
	s_branch .LBB231_146
.LBB231_142:                            ;   in Loop: Header=BB231_124 Depth=2
	v_mov_b32_e32 v8, 0
	v_mov_b32_e32 v9, 0x3ff00000
	s_branch .LBB231_148
.LBB231_143:                            ;   in Loop: Header=BB231_124 Depth=2
                                        ; implicit-def: $vgpr4_vgpr5
                                        ; implicit-def: $vgpr8_vgpr9
                                        ; implicit-def: $vgpr10_vgpr11
	s_cbranch_execnz .LBB231_147
	s_branch .LBB231_148
.LBB231_144:                            ;   in Loop: Header=BB231_124 Depth=2
                                        ; implicit-def: $vgpr8_vgpr9
                                        ; implicit-def: $vgpr10_vgpr11
.LBB231_145:                            ;   in Loop: Header=BB231_124 Depth=2
	v_div_scale_f64 v[8:9], s[88:89], v[2:3], v[2:3], -v[4:5]
	v_rcp_f64_e32 v[10:11], v[8:9]
	v_div_scale_f64 v[12:13], vcc, -v[4:5], v[2:3], -v[4:5]
	v_fma_f64 v[14:15], -v[8:9], v[10:11], 1.0
	v_fmac_f64_e32 v[10:11], v[10:11], v[14:15]
	v_fma_f64 v[14:15], -v[8:9], v[10:11], 1.0
	v_fmac_f64_e32 v[10:11], v[10:11], v[14:15]
	v_mul_f64 v[14:15], v[12:13], v[10:11]
	v_fma_f64 v[8:9], -v[8:9], v[14:15], v[12:13]
	v_div_fmas_f64 v[8:9], v[8:9], v[10:11], v[14:15]
	v_div_fixup_f64 v[8:9], v[8:9], v[2:3], -v[4:5]
	v_fma_f64 v[10:11], v[8:9], v[8:9], 1.0
	v_cmp_gt_f64_e32 vcc, s[40:41], v[10:11]
	v_cndmask_b32_e64 v7, 0, 1, vcc
	v_lshlrev_b32_e32 v7, 8, v7
	v_ldexp_f64 v[10:11], v[10:11], v7
	v_rsq_f64_e32 v[12:13], v[10:11]
	s_and_b64 s[88:89], vcc, exec
	s_cselect_b32 s88, 0xffffff80, 0
	v_cmp_class_f64_e32 vcc, v[10:11], v27
	v_mul_f64 v[14:15], v[10:11], v[12:13]
	v_mul_f64 v[12:13], v[12:13], 0.5
	v_fma_f64 v[16:17], -v[12:13], v[14:15], 0.5
	v_fmac_f64_e32 v[14:15], v[14:15], v[16:17]
	v_fmac_f64_e32 v[12:13], v[12:13], v[16:17]
	v_fma_f64 v[16:17], -v[14:15], v[14:15], v[10:11]
	v_fmac_f64_e32 v[14:15], v[16:17], v[12:13]
	v_fma_f64 v[16:17], -v[14:15], v[14:15], v[10:11]
	v_fmac_f64_e32 v[14:15], v[16:17], v[12:13]
	v_ldexp_f64 v[12:13], v[14:15], s88
	v_cndmask_b32_e32 v11, v13, v11, vcc
	v_cndmask_b32_e32 v10, v12, v10, vcc
	v_div_scale_f64 v[12:13], s[88:89], v[10:11], v[10:11], 1.0
	v_rcp_f64_e32 v[14:15], v[12:13]
	v_fma_f64 v[16:17], -v[12:13], v[14:15], 1.0
	v_fmac_f64_e32 v[14:15], v[14:15], v[16:17]
	v_fma_f64 v[16:17], -v[12:13], v[14:15], 1.0
	v_fmac_f64_e32 v[14:15], v[14:15], v[16:17]
	v_div_scale_f64 v[16:17], vcc, 1.0, v[10:11], 1.0
	v_mul_f64 v[30:31], v[16:17], v[14:15]
	v_fma_f64 v[12:13], -v[12:13], v[30:31], v[16:17]
	s_nop 1
	v_div_fmas_f64 v[12:13], v[12:13], v[14:15], v[30:31]
	v_div_fixup_f64 v[10:11], v[12:13], v[10:11], 1.0
	v_mul_f64 v[8:9], v[8:9], v[10:11]
.LBB231_146:                            ;   in Loop: Header=BB231_124 Depth=2
	v_mul_f64 v[12:13], v[2:3], v[10:11]
	v_fma_f64 v[4:5], v[4:5], v[8:9], -v[12:13]
	s_branch .LBB231_148
.LBB231_147:                            ;   in Loop: Header=BB231_124 Depth=2
	v_mov_b32_e32 v10, 0
	v_xor_b32_e32 v5, 0x80000000, v3
	v_mov_b32_e32 v4, v2
	v_pk_mov_b32 v[8:9], 0, 0
	v_mov_b32_e32 v11, 0x3ff00000
.LBB231_148:                            ;   in Loop: Header=BB231_124 Depth=2
	global_store_dwordx2 v6, v[4:5], s[30:31]
	global_load_dwordx2 v[12:13], v6, s[80:81]
	s_nop 0
	global_load_dwordx2 v[4:5], v6, s[38:39]
	s_cmp_ge_i32 s94, s65
	s_waitcnt vmcnt(1)
	v_mul_f64 v[14:15], v[8:9], v[12:13]
	s_waitcnt vmcnt(0)
	v_fmac_f64_e32 v[14:15], v[10:11], v[4:5]
	global_store_dwordx2 v6, v[14:15], s[80:81]
	s_cbranch_scc0 .LBB231_151
; %bb.149:                              ;   in Loop: Header=BB231_124 Depth=2
	s_and_b64 vcc, exec, s[14:15]
	s_cbranch_vccz .LBB231_152
.LBB231_150:                            ;   in Loop: Header=BB231_124 Depth=2
	s_andn2_b64 vcc, exec, s[84:85]
	s_cbranch_vccnz .LBB231_123
	s_branch .LBB231_153
.LBB231_151:                            ;   in Loop: Header=BB231_124 Depth=2
	s_add_u32 s30, s58, s78
	s_addc_u32 s31, s59, s79
	global_load_dwordx2 v[14:15], v6, s[30:31]
	s_waitcnt vmcnt(0)
	v_mul_f64 v[2:3], v[14:15], -v[10:11]
	v_mul_f64 v[14:15], v[8:9], v[14:15]
	global_store_dwordx2 v6, v[14:15], s[30:31]
	s_and_b64 vcc, exec, s[14:15]
	s_cbranch_vccnz .LBB231_150
.LBB231_152:                            ;   in Loop: Header=BB231_124 Depth=2
	s_add_u32 s30, s42, s78
	s_addc_u32 s31, s43, s79
	s_add_u32 s38, s90, s78
	s_addc_u32 s39, s91, s79
	global_store_dwordx2 v6, v[8:9], s[30:31]
	global_store_dwordx2 v6, v[10:11], s[38:39]
	s_andn2_b64 vcc, exec, s[84:85]
	s_cbranch_vccnz .LBB231_123
.LBB231_153:                            ;   in Loop: Header=BB231_124 Depth=2
	s_add_u32 s30, s28, s78
	s_addc_u32 s31, s29, s79
	s_add_u32 s38, s92, s78
	s_addc_u32 s39, s93, s79
	global_store_dwordx2 v6, v[8:9], s[30:31]
	global_store_dwordx2 v6, v[10:11], s[38:39]
	s_branch .LBB231_123
.LBB231_154:                            ;   in Loop: Header=BB231_11 Depth=1
	v_readlane_b32 s60, v44, 29
	v_readlane_b32 s61, v44, 30
	;; [unrolled: 1-line block ×3, first 2 shown]
.LBB231_155:                            ;   in Loop: Header=BB231_11 Depth=1
	v_readlane_b32 s90, v44, 22
	v_readlane_b32 s92, v44, 24
	;; [unrolled: 1-line block ×6, first 2 shown]
.LBB231_156:                            ;   in Loop: Header=BB231_11 Depth=1
	s_and_b64 s[12:13], s[76:77], exec
	s_cselect_b32 s12, s65, 0
	s_ashr_i32 s13, s12, 31
	s_lshl_b64 s[12:13], s[12:13], 3
	s_add_u32 s10, s10, s12
	s_addc_u32 s11, s11, s13
	global_store_dwordx2 v6, v[4:5], s[10:11]
.LBB231_157:                            ;   in Loop: Header=BB231_11 Depth=1
	s_or_b64 exec, exec, s[4:5]
	s_andn2_b64 vcc, exec, s[90:91]
	s_barrier
	s_cbranch_vccz .LBB231_160
; %bb.158:                              ;   in Loop: Header=BB231_11 Depth=1
	s_andn2_b64 vcc, exec, s[92:93]
	s_cbranch_vccz .LBB231_167
.LBB231_159:                            ;   in Loop: Header=BB231_11 Depth=1
	s_andn2_b64 vcc, exec, s[94:95]
	s_cbranch_vccnz .LBB231_10
	s_branch .LBB231_174
.LBB231_160:                            ;   in Loop: Header=BB231_11 Depth=1
	s_mov_b64 s[12:13], exec
	v_readlane_b32 s4, v44, 10
	v_readlane_b32 s5, v44, 11
	s_and_b64 s[4:5], s[12:13], s[4:5]
	s_mov_b64 exec, s[4:5]
	s_cbranch_execz .LBB231_166
; %bb.161:                              ;   in Loop: Header=BB231_11 Depth=1
	s_lshl_b64 s[4:5], s[66:67], 4
	s_add_u32 s14, s52, s4
	s_addc_u32 s15, s53, s5
	s_load_dword s5, s[56:57], 0xc
	s_add_i32 s4, s62, -1
	s_cmp_eq_u32 s70, 0
	s_cselect_b32 s10, s62, 0
	s_cselect_b32 s4, s4, 0
	s_cmp_gt_i32 s62, 0
	s_cselect_b64 s[30:31], -1, 0
	s_waitcnt lgkmcnt(0)
	s_and_b32 s11, s5, 0xffff
	s_lshl_b32 s5, s70, 1
	s_add_i32 s42, s5, -2
	s_ashr_i32 s43, s42, 31
	s_lshl_b64 s[38:39], s[42:43], 4
	s_ashr_i32 s65, s64, 31
	s_or_b32 s38, s38, 16
	s_not_b64 s[76:77], s[42:43]
	s_add_i32 s5, s5, s10
	s_or_b32 s19, s42, 1
	s_lshl_b64 s[28:29], s[64:65], 3
	v_add_u32_e32 v10, s5, v24
	s_sub_u32 s5, s28, s68
	s_subb_u32 s29, s29, s69
	s_add_u32 s28, s5, 40
	s_addc_u32 s29, s29, 0
	s_ashr_i32 s5, s4, 31
	s_lshl_b64 s[4:5], s[4:5], 3
	s_lshl_b64 s[58:59], s[72:73], 3
	s_add_u32 s4, s4, s58
	s_addc_u32 s5, s5, s59
	v_readlane_b32 s58, v44, 6
	s_add_u32 s78, s58, s4
	v_readlane_b32 s4, v44, 8
	s_addc_u32 s79, s4, s5
	s_lshl_b64 s[80:81], s[42:43], 3
	v_add_u32_e32 v8, s10, v23
	s_mul_i32 s18, s23, s11
	s_mov_b32 s21, s43
	s_or_b32 s80, s80, 8
	s_mov_b64 s[82:83], 0
	v_mov_b32_e32 v7, v0
	s_branch .LBB231_163
.LBB231_162:                            ;   in Loop: Header=BB231_163 Depth=2
	v_lshlrev_b64 v[12:13], 4, v[12:13]
	v_mov_b32_e32 v9, s15
	v_add_co_u32_e32 v12, vcc, s14, v12
	v_addc_co_u32_e32 v13, vcc, v9, v13, vcc
	v_add_u32_e32 v7, s11, v7
	v_cmp_le_i32_e32 vcc, s49, v7
	v_add_u32_e32 v8, s18, v8
	s_or_b64 s[82:83], vcc, s[82:83]
	v_add_u32_e32 v10, s18, v10
	s_waitcnt vmcnt(0) lgkmcnt(0)
	flat_store_dwordx4 v[12:13], v[2:5]
	s_andn2_b64 exec, exec, s[82:83]
	s_cbranch_execz .LBB231_166
.LBB231_163:                            ;   Parent Loop BB231_11 Depth=1
                                        ; =>  This Loop Header: Depth=2
                                        ;       Child Loop BB231_165 Depth 3
	v_mul_lo_u32 v2, v7, s23
	v_add_u32_e32 v12, s10, v2
	v_ashrrev_i32_e32 v13, 31, v12
	v_lshlrev_b64 v[2:3], 4, v[12:13]
	v_mov_b32_e32 v4, s15
	v_add_co_u32_e32 v2, vcc, s14, v2
	v_addc_co_u32_e32 v3, vcc, v4, v3, vcc
	flat_load_dwordx4 v[2:5], v[2:3]
	s_andn2_b64 vcc, exec, s[30:31]
	s_cbranch_vccnz .LBB231_162
; %bb.164:                              ;   in Loop: Header=BB231_163 Depth=2
	v_ashrrev_i32_e32 v9, 31, v8
	v_lshlrev_b64 v[14:15], 4, v[8:9]
	v_ashrrev_i32_e32 v11, 31, v10
	v_mov_b32_e32 v9, s77
	v_add_co_u32_e32 v12, vcc, s76, v10
	v_addc_co_u32_e32 v13, vcc, v9, v11, vcc
	v_lshlrev_b64 v[16:17], 4, v[10:11]
	s_mov_b64 s[84:85], s[78:79]
	s_mov_b64 s[86:87], s[14:15]
	s_mov_b32 s42, s62
.LBB231_165:                            ;   Parent Loop BB231_11 Depth=1
                                        ;     Parent Loop BB231_163 Depth=2
                                        ; =>    This Inner Loop Header: Depth=3
	v_mov_b32_e32 v9, s87
	v_add_co_u32_e32 v30, vcc, s86, v16
	s_add_u32 s4, s84, s28
	v_addc_co_u32_e32 v31, vcc, v9, v17, vcc
	s_addc_u32 s5, s85, s29
	flat_load_dwordx4 v[30:33], v[30:31]
	s_nop 0
	global_load_dwordx2 v[38:39], v6, s[4:5]
	global_load_dwordx2 v[40:41], v6, s[84:85] offset:32
	s_add_i32 s42, s42, -1
	v_add_co_u32_e64 v42, s[4:5], s86, v14
	s_add_u32 s86, s86, s38
	s_addc_u32 s87, s87, s39
	s_add_u32 s84, s84, s80
	v_mov_b32_e32 v11, s21
	v_add_co_u32_e32 v12, vcc, s19, v12
	s_addc_u32 s85, s85, s81
	v_addc_co_u32_e64 v43, s[4:5], v9, v15, s[4:5]
	v_addc_co_u32_e32 v13, vcc, v13, v11, vcc
	s_cmp_eq_u32 s42, 0
	s_waitcnt vmcnt(0) lgkmcnt(0)
	v_mul_f64 v[34:35], v[30:31], v[38:39]
	v_mul_f64 v[36:37], v[32:33], v[38:39]
	v_fma_f64 v[34:35], v[2:3], v[40:41], -v[34:35]
	v_fma_f64 v[36:37], v[4:5], v[40:41], -v[36:37]
	v_mul_f64 v[2:3], v[2:3], v[38:39]
	v_mul_f64 v[4:5], v[4:5], v[38:39]
	v_fmac_f64_e32 v[2:3], v[30:31], v[40:41]
	v_fmac_f64_e32 v[4:5], v[32:33], v[40:41]
	flat_store_dwordx4 v[42:43], v[34:37]
	s_cbranch_scc0 .LBB231_165
	s_branch .LBB231_162
.LBB231_166:                            ;   in Loop: Header=BB231_11 Depth=1
	s_or_b64 exec, exec, s[12:13]
	s_andn2_b64 vcc, exec, s[92:93]
	s_cbranch_vccnz .LBB231_159
.LBB231_167:                            ;   in Loop: Header=BB231_11 Depth=1
	s_mov_b64 s[4:5], exec
	v_readlane_b32 s10, v44, 12
	v_readlane_b32 s11, v44, 13
	s_and_b64 s[10:11], s[4:5], s[10:11]
	s_mov_b64 exec, s[10:11]
	s_cbranch_execz .LBB231_173
; %bb.168:                              ;   in Loop: Header=BB231_11 Depth=1
	s_mul_i32 s10, s66, s61
	s_ashr_i32 s11, s10, 31
	s_lshl_b64 s[10:11], s[10:11], 4
	s_add_u32 s10, s34, s10
	s_addc_u32 s11, s35, s11
	s_add_i32 s12, s62, -1
	s_load_dword s15, s[56:57], 0xc
	s_cmp_eq_u32 s70, 0
	s_cselect_b32 s12, s12, 0
	s_cselect_b32 s38, s62, 0
	s_add_i32 s14, s12, s63
	s_cmp_gt_i32 s62, 0
	s_cselect_b64 s[12:13], -1, 0
	s_waitcnt lgkmcnt(0)
	s_and_b32 s19, s15, 0xffff
	s_ashr_i32 s15, s14, 31
	s_lshl_b64 s[28:29], s[72:73], 3
	s_lshl_b64 s[14:15], s[14:15], 3
	s_add_u32 s14, s28, s14
	s_addc_u32 s15, s29, s15
	v_readlane_b32 s21, v44, 6
	s_add_u32 s14, s21, s14
	v_readlane_b32 s21, v44, 8
	s_addc_u32 s15, s21, s15
	s_lshl_b32 s39, s70, 1
	s_add_i32 s28, s39, -2
	s_ashr_i32 s29, s28, 31
	s_lshl_b64 s[30:31], s[28:29], 3
	s_ashr_i32 s65, s64, 31
	s_or_b32 s30, s30, 8
	s_lshl_b64 s[28:29], s[64:65], 3
	s_sub_u32 s21, s28, s68
	s_subb_u32 s28, s29, s69
	s_add_u32 s21, s21, 40
	s_mul_i32 s18, s38, s61
	s_addc_u32 s28, s28, 0
	s_add_i32 s38, s38, s39
	s_add_i32 s38, s38, -1
	s_mul_i32 s38, s61, s38
	v_add_u32_e32 v7, s18, v0
	s_mul_i32 s29, s61, s74
	v_add_u32_e32 v10, s38, v0
	s_mov_b64 s[38:39], 0
	v_mov_b32_e32 v11, v0
	s_branch .LBB231_170
.LBB231_169:                            ;   in Loop: Header=BB231_170 Depth=2
	v_lshlrev_b64 v[8:9], 4, v[8:9]
	v_mov_b32_e32 v12, s11
	v_add_co_u32_e32 v8, vcc, s10, v8
	v_addc_co_u32_e32 v9, vcc, v12, v9, vcc
	v_add_u32_e32 v11, s19, v11
	v_cmp_le_i32_e32 vcc, s50, v11
	v_add_u32_e32 v7, s19, v7
	s_or_b64 s[38:39], vcc, s[38:39]
	v_add_u32_e32 v10, s19, v10
	s_waitcnt vmcnt(0) lgkmcnt(0)
	flat_store_dwordx4 v[8:9], v[2:5]
	s_andn2_b64 exec, exec, s[38:39]
	s_cbranch_execz .LBB231_173
.LBB231_170:                            ;   Parent Loop BB231_11 Depth=1
                                        ; =>  This Loop Header: Depth=2
                                        ;       Child Loop BB231_172 Depth 3
	v_add_u32_e32 v8, s18, v11
	v_ashrrev_i32_e32 v9, 31, v8
	v_lshlrev_b64 v[2:3], 4, v[8:9]
	v_mov_b32_e32 v4, s11
	v_add_co_u32_e32 v2, vcc, s10, v2
	v_addc_co_u32_e32 v3, vcc, v4, v3, vcc
	flat_load_dwordx4 v[2:5], v[2:3]
	s_andn2_b64 vcc, exec, s[12:13]
	s_cbranch_vccnz .LBB231_169
; %bb.171:                              ;   in Loop: Header=BB231_170 Depth=2
	s_mov_b32 s42, 0
	s_mov_b64 s[74:75], s[14:15]
	s_mov_b32 s43, s62
.LBB231_172:                            ;   Parent Loop BB231_11 Depth=1
                                        ;     Parent Loop BB231_170 Depth=2
                                        ; =>    This Inner Loop Header: Depth=3
	v_add_u32_e32 v8, s42, v10
	v_ashrrev_i32_e32 v9, 31, v8
	s_add_u32 s58, s74, s21
	v_lshlrev_b64 v[12:13], 4, v[8:9]
	v_mov_b32_e32 v29, s11
	s_addc_u32 s59, s75, s28
	v_add_co_u32_e32 v12, vcc, s10, v12
	global_load_dwordx2 v[16:17], v6, s[58:59]
	v_addc_co_u32_e32 v13, vcc, v29, v13, vcc
	flat_load_dwordx4 v[12:15], v[12:13]
	s_nop 0
	global_load_dwordx2 v[34:35], v6, s[74:75] offset:32
	v_add_u32_e32 v30, s42, v7
	v_ashrrev_i32_e32 v31, 31, v30
	v_lshlrev_b64 v[30:31], 4, v[30:31]
	s_add_i32 s43, s43, -1
	v_add_co_u32_e32 v36, vcc, s10, v30
	s_add_u32 s74, s74, s30
	v_addc_co_u32_e32 v37, vcc, v29, v31, vcc
	s_addc_u32 s75, s75, s31
	s_add_i32 s42, s42, s29
	s_cmp_eq_u32 s43, 0
	s_waitcnt vmcnt(0) lgkmcnt(0)
	v_mul_f64 v[30:31], v[12:13], v[16:17]
	v_mul_f64 v[32:33], v[14:15], v[16:17]
	v_fma_f64 v[30:31], v[2:3], v[34:35], -v[30:31]
	v_fma_f64 v[32:33], v[4:5], v[34:35], -v[32:33]
	v_mul_f64 v[2:3], v[2:3], v[16:17]
	v_mul_f64 v[4:5], v[4:5], v[16:17]
	v_fmac_f64_e32 v[2:3], v[12:13], v[34:35]
	v_fmac_f64_e32 v[4:5], v[14:15], v[34:35]
	flat_store_dwordx4 v[36:37], v[30:33]
	s_cbranch_scc0 .LBB231_172
	s_branch .LBB231_169
.LBB231_173:                            ;   in Loop: Header=BB231_11 Depth=1
	s_or_b64 exec, exec, s[4:5]
	s_andn2_b64 vcc, exec, s[94:95]
	s_cbranch_vccnz .LBB231_10
.LBB231_174:                            ;   in Loop: Header=BB231_11 Depth=1
	s_mov_b64 s[12:13], exec
	v_readlane_b32 s4, v44, 20
	v_readlane_b32 s5, v44, 21
	s_and_b64 s[4:5], s[12:13], s[4:5]
	s_mov_b64 exec, s[4:5]
	s_cbranch_execz .LBB231_9
; %bb.175:                              ;   in Loop: Header=BB231_11 Depth=1
	s_lshl_b64 s[4:5], s[66:67], 4
	s_add_u32 s14, s54, s4
	s_addc_u32 s15, s55, s5
	s_add_i32 s4, s62, -1
	s_load_dword s5, s[56:57], 0xc
	s_cmp_eq_u32 s70, 0
	s_cselect_b32 s4, s4, 0
	s_cselect_b32 s10, s62, 0
	s_add_i32 s4, s4, s63
	s_cmp_gt_i32 s62, 0
	s_cselect_b64 s[30:31], -1, 0
	s_waitcnt lgkmcnt(0)
	s_and_b32 s11, s5, 0xffff
	s_ashr_i32 s5, s4, 31
	s_lshl_b64 s[18:19], s[72:73], 3
	s_lshl_b64 s[4:5], s[4:5], 3
	s_add_u32 s4, s18, s4
	s_addc_u32 s5, s19, s5
	v_readlane_b32 s18, v44, 6
	s_add_u32 s38, s18, s4
	v_readlane_b32 s4, v44, 8
	s_addc_u32 s39, s4, s5
	s_lshl_b32 s21, s70, 1
	s_add_i32 s66, s21, -2
	s_ashr_i32 s67, s66, 31
	s_lshl_b64 s[70:71], s[66:67], 3
	s_ashr_i32 s65, s64, 31
	s_or_b32 s70, s70, 8
	s_lshl_b64 s[4:5], s[64:65], 3
	s_sub_u32 s4, s4, s68
	s_subb_u32 s5, s5, s69
	s_add_u32 s18, s4, 40
	s_addc_u32 s19, s5, 0
	s_add_i32 s21, s21, s10
	s_lshl_b64 s[64:65], s[66:67], 4
	v_add_u32_e32 v8, s21, v26
	s_mul_i32 s21, s47, s11
	s_or_b32 s64, s64, 16
	v_add_u32_e32 v10, s10, v25
	s_not_b64 s[68:69], s[66:67]
	s_or_b32 s66, s66, 1
	s_mov_b64 s[72:73], 0
	v_mov_b32_e32 v7, v0
	s_branch .LBB231_177
.LBB231_176:                            ;   in Loop: Header=BB231_177 Depth=2
	v_lshlrev_b64 v[12:13], 4, v[12:13]
	v_mov_b32_e32 v9, s15
	v_add_co_u32_e32 v12, vcc, s14, v12
	v_addc_co_u32_e32 v13, vcc, v9, v13, vcc
	v_add_u32_e32 v7, s11, v7
	v_cmp_le_i32_e32 vcc, s51, v7
	v_add_u32_e32 v8, s21, v8
	s_or_b64 s[72:73], vcc, s[72:73]
	v_add_u32_e32 v10, s21, v10
	s_waitcnt vmcnt(0) lgkmcnt(0)
	flat_store_dwordx4 v[12:13], v[2:5]
	s_andn2_b64 exec, exec, s[72:73]
	s_cbranch_execz .LBB231_9
.LBB231_177:                            ;   Parent Loop BB231_11 Depth=1
                                        ; =>  This Loop Header: Depth=2
                                        ;       Child Loop BB231_179 Depth 3
	v_mul_lo_u32 v2, v7, s47
	v_add_u32_e32 v12, s10, v2
	v_ashrrev_i32_e32 v13, 31, v12
	v_lshlrev_b64 v[2:3], 4, v[12:13]
	v_mov_b32_e32 v4, s15
	v_add_co_u32_e32 v2, vcc, s14, v2
	v_addc_co_u32_e32 v3, vcc, v4, v3, vcc
	flat_load_dwordx4 v[2:5], v[2:3]
	s_andn2_b64 vcc, exec, s[30:31]
	s_cbranch_vccnz .LBB231_176
; %bb.178:                              ;   in Loop: Header=BB231_177 Depth=2
	v_ashrrev_i32_e32 v11, 31, v10
	v_ashrrev_i32_e32 v9, 31, v8
	v_lshlrev_b64 v[16:17], 4, v[10:11]
	v_mov_b32_e32 v11, s69
	v_add_co_u32_e32 v12, vcc, s68, v8
	v_lshlrev_b64 v[14:15], 4, v[8:9]
	v_addc_co_u32_e32 v13, vcc, v11, v9, vcc
	s_mov_b64 s[74:75], s[14:15]
	s_mov_b64 s[76:77], s[38:39]
	s_mov_b32 s28, s62
.LBB231_179:                            ;   Parent Loop BB231_11 Depth=1
                                        ;     Parent Loop BB231_177 Depth=2
                                        ; =>    This Inner Loop Header: Depth=3
	v_mov_b32_e32 v9, s75
	v_add_co_u32_e32 v30, vcc, s74, v14
	s_add_u32 s4, s76, s18
	v_addc_co_u32_e32 v31, vcc, v9, v15, vcc
	s_addc_u32 s5, s77, s19
	flat_load_dwordx4 v[30:33], v[30:31]
	s_nop 0
	global_load_dwordx2 v[38:39], v6, s[4:5]
	global_load_dwordx2 v[40:41], v6, s[76:77] offset:32
	s_add_i32 s28, s28, -1
	s_add_u32 s76, s76, s70
	s_addc_u32 s77, s77, s71
	v_add_co_u32_e64 v42, s[4:5], s74, v16
	s_add_u32 s74, s74, s64
	v_mov_b32_e32 v11, s67
	v_add_co_u32_e32 v12, vcc, s66, v12
	s_addc_u32 s75, s75, s65
	v_addc_co_u32_e64 v43, s[4:5], v9, v17, s[4:5]
	v_addc_co_u32_e32 v13, vcc, v13, v11, vcc
	s_cmp_eq_u32 s28, 0
	s_waitcnt vmcnt(0) lgkmcnt(0)
	v_mul_f64 v[34:35], v[30:31], v[38:39]
	v_mul_f64 v[36:37], v[32:33], v[38:39]
	v_fma_f64 v[34:35], v[2:3], v[40:41], -v[34:35]
	v_fma_f64 v[36:37], v[4:5], v[40:41], -v[36:37]
	v_mul_f64 v[2:3], v[2:3], v[38:39]
	v_mul_f64 v[4:5], v[4:5], v[38:39]
	v_fmac_f64_e32 v[2:3], v[30:31], v[40:41]
	v_fmac_f64_e32 v[4:5], v[32:33], v[40:41]
	flat_store_dwordx4 v[42:43], v[34:37]
	s_cbranch_scc0 .LBB231_179
	s_branch .LBB231_176
.LBB231_180:
	s_endpgm
	.section	.rodata,"a",@progbits
	.p2align	6, 0x0
	.amdhsa_kernel _ZN9rocsolver6v33100L13bdsqr_computeILi256E19rocblas_complex_numIdEdPS3_PKS4_S6_EEviiiiPT1_lS8_lT2_iilT3_iilT4_iiliS7_S7_S7_S7_PiS8_ilSC_
		.amdhsa_group_segment_fixed_size 2072
		.amdhsa_private_segment_fixed_size 0
		.amdhsa_kernarg_size 456
		.amdhsa_user_sgpr_count 6
		.amdhsa_user_sgpr_private_segment_buffer 1
		.amdhsa_user_sgpr_dispatch_ptr 0
		.amdhsa_user_sgpr_queue_ptr 0
		.amdhsa_user_sgpr_kernarg_segment_ptr 1
		.amdhsa_user_sgpr_dispatch_id 0
		.amdhsa_user_sgpr_flat_scratch_init 0
		.amdhsa_user_sgpr_kernarg_preload_length 0
		.amdhsa_user_sgpr_kernarg_preload_offset 0
		.amdhsa_user_sgpr_private_segment_size 0
		.amdhsa_uses_dynamic_stack 0
		.amdhsa_system_sgpr_private_segment_wavefront_offset 0
		.amdhsa_system_sgpr_workgroup_id_x 1
		.amdhsa_system_sgpr_workgroup_id_y 1
		.amdhsa_system_sgpr_workgroup_id_z 1
		.amdhsa_system_sgpr_workgroup_info 0
		.amdhsa_system_vgpr_workitem_id 0
		.amdhsa_next_free_vgpr 45
		.amdhsa_next_free_sgpr 96
		.amdhsa_accum_offset 48
		.amdhsa_reserve_vcc 1
		.amdhsa_reserve_flat_scratch 0
		.amdhsa_float_round_mode_32 0
		.amdhsa_float_round_mode_16_64 0
		.amdhsa_float_denorm_mode_32 3
		.amdhsa_float_denorm_mode_16_64 3
		.amdhsa_dx10_clamp 1
		.amdhsa_ieee_mode 1
		.amdhsa_fp16_overflow 0
		.amdhsa_tg_split 0
		.amdhsa_exception_fp_ieee_invalid_op 0
		.amdhsa_exception_fp_denorm_src 0
		.amdhsa_exception_fp_ieee_div_zero 0
		.amdhsa_exception_fp_ieee_overflow 0
		.amdhsa_exception_fp_ieee_underflow 0
		.amdhsa_exception_fp_ieee_inexact 0
		.amdhsa_exception_int_div_zero 0
	.end_amdhsa_kernel
	.section	.text._ZN9rocsolver6v33100L13bdsqr_computeILi256E19rocblas_complex_numIdEdPS3_PKS4_S6_EEviiiiPT1_lS8_lT2_iilT3_iilT4_iiliS7_S7_S7_S7_PiS8_ilSC_,"axG",@progbits,_ZN9rocsolver6v33100L13bdsqr_computeILi256E19rocblas_complex_numIdEdPS3_PKS4_S6_EEviiiiPT1_lS8_lT2_iilT3_iilT4_iiliS7_S7_S7_S7_PiS8_ilSC_,comdat
.Lfunc_end231:
	.size	_ZN9rocsolver6v33100L13bdsqr_computeILi256E19rocblas_complex_numIdEdPS3_PKS4_S6_EEviiiiPT1_lS8_lT2_iilT3_iilT4_iiliS7_S7_S7_S7_PiS8_ilSC_, .Lfunc_end231-_ZN9rocsolver6v33100L13bdsqr_computeILi256E19rocblas_complex_numIdEdPS3_PKS4_S6_EEviiiiPT1_lS8_lT2_iilT3_iilT4_iiliS7_S7_S7_S7_PiS8_ilSC_
                                        ; -- End function
	.section	.AMDGPU.csdata,"",@progbits
; Kernel info:
; codeLenInByte = 9440
; NumSgprs: 100
; NumVgprs: 45
; NumAgprs: 0
; TotalNumVgprs: 45
; ScratchSize: 0
; MemoryBound: 0
; FloatMode: 240
; IeeeMode: 1
; LDSByteSize: 2072 bytes/workgroup (compile time only)
; SGPRBlocks: 12
; VGPRBlocks: 5
; NumSGPRsForWavesPerEU: 100
; NumVGPRsForWavesPerEU: 45
; AccumOffset: 48
; Occupancy: 8
; WaveLimiterHint : 1
; COMPUTE_PGM_RSRC2:SCRATCH_EN: 0
; COMPUTE_PGM_RSRC2:USER_SGPR: 6
; COMPUTE_PGM_RSRC2:TRAP_HANDLER: 0
; COMPUTE_PGM_RSRC2:TGID_X_EN: 1
; COMPUTE_PGM_RSRC2:TGID_Y_EN: 1
; COMPUTE_PGM_RSRC2:TGID_Z_EN: 1
; COMPUTE_PGM_RSRC2:TIDIG_COMP_CNT: 0
; COMPUTE_PGM_RSRC3_GFX90A:ACCUM_OFFSET: 11
; COMPUTE_PGM_RSRC3_GFX90A:TG_SPLIT: 0
	.section	.text._ZN9rocsolver6v33100L12bdsqr_rotateI19rocblas_complex_numIdEdPS3_PKS4_S6_EEviiiiT1_iilT2_iilT3_iiliPiPT0_ilSA_,"axG",@progbits,_ZN9rocsolver6v33100L12bdsqr_rotateI19rocblas_complex_numIdEdPS3_PKS4_S6_EEviiiiT1_iilT2_iilT3_iiliPiPT0_ilSA_,comdat
	.globl	_ZN9rocsolver6v33100L12bdsqr_rotateI19rocblas_complex_numIdEdPS3_PKS4_S6_EEviiiiT1_iilT2_iilT3_iiliPiPT0_ilSA_ ; -- Begin function _ZN9rocsolver6v33100L12bdsqr_rotateI19rocblas_complex_numIdEdPS3_PKS4_S6_EEviiiiT1_iilT2_iilT3_iiliPiPT0_ilSA_
	.p2align	8
	.type	_ZN9rocsolver6v33100L12bdsqr_rotateI19rocblas_complex_numIdEdPS3_PKS4_S6_EEviiiiT1_iilT2_iilT3_iiliPiPT0_ilSA_,@function
_ZN9rocsolver6v33100L12bdsqr_rotateI19rocblas_complex_numIdEdPS3_PKS4_S6_EEviiiiT1_iilT2_iilT3_iiliPiPT0_ilSA_: ; @_ZN9rocsolver6v33100L12bdsqr_rotateI19rocblas_complex_numIdEdPS3_PKS4_S6_EEviiiiT1_iilT2_iilT3_iiliPiPT0_ilSA_
; %bb.0:
	s_load_dwordx4 s[0:3], s[4:5], 0x78
	s_ashr_i32 s9, s8, 31
	s_lshl_b64 s[10:11], s[8:9], 2
	s_waitcnt lgkmcnt(0)
	s_add_u32 s2, s2, s10
	s_addc_u32 s3, s3, s11
	s_load_dword s2, s[2:3], 0x8
	s_waitcnt lgkmcnt(0)
	s_cmp_lg_u32 s2, 0
	s_cbranch_scc1 .LBB232_25
; %bb.1:
	s_load_dwordx8 s[12:19], s[4:5], 0x10
	s_add_u32 s26, s4, 0x88
	s_addc_u32 s27, s5, 0
	s_mov_b64 s[2:3], 0
	s_mov_b64 s[10:11], 0
	s_waitcnt lgkmcnt(0)
	s_cmp_eq_u64 s[12:13], 0
	s_cbranch_scc1 .LBB232_3
; %bb.2:
	s_ashr_i32 s11, s14, 31
	s_mov_b32 s10, s14
	s_mul_i32 s14, s8, s17
	s_mul_hi_u32 s17, s8, s16
	s_add_i32 s14, s17, s14
	s_mul_i32 s17, s9, s16
	s_add_i32 s17, s14, s17
	s_mul_i32 s16, s8, s16
	s_lshl_b64 s[16:17], s[16:17], 4
	s_add_u32 s12, s12, s16
	s_addc_u32 s13, s13, s17
	s_lshl_b64 s[10:11], s[10:11], 4
	s_add_u32 s10, s12, s10
	s_addc_u32 s11, s13, s11
.LBB232_3:
	s_load_dwordx2 s[12:13], s[4:5], 0x30
	s_cmp_eq_u64 s[18:19], 0
	s_cbranch_scc1 .LBB232_5
; %bb.4:
	s_lshl_b64 s[2:3], s[8:9], 3
	s_add_u32 s2, s18, s2
	s_addc_u32 s3, s19, s3
	s_load_dwordx2 s[2:3], s[2:3], 0x0
	s_waitcnt lgkmcnt(0)
	s_ashr_i32 s17, s12, 31
	s_mov_b32 s16, s12
	s_lshl_b64 s[16:17], s[16:17], 4
	s_add_u32 s2, s2, s16
	s_addc_u32 s3, s3, s17
.LBB232_5:
	s_load_dwordx4 s[16:19], s[4:5], 0x40
	s_mov_b64 s[24:25], 0
	s_waitcnt lgkmcnt(0)
	s_cmp_eq_u64 s[16:17], 0
	s_cbranch_scc1 .LBB232_7
; %bb.6:
	s_lshl_b64 s[20:21], s[8:9], 3
	s_add_u32 s16, s16, s20
	s_addc_u32 s17, s17, s21
	s_load_dwordx2 s[16:17], s[16:17], 0x0
	s_ashr_i32 s21, s18, 31
	s_mov_b32 s20, s18
	s_lshl_b64 s[20:21], s[20:21], 4
	s_waitcnt lgkmcnt(0)
	s_add_u32 s24, s16, s20
	s_addc_u32 s25, s17, s21
.LBB232_7:
	s_load_dwordx4 s[20:23], s[4:5], 0x60
	s_mul_i32 s1, s8, s1
	s_mul_hi_u32 s12, s8, s0
	s_add_i32 s1, s12, s1
	s_mul_i32 s9, s9, s0
	s_add_i32 s1, s1, s9
	s_mul_i32 s0, s8, s0
	s_lshl_b64 s[16:17], s[0:1], 3
	s_waitcnt lgkmcnt(0)
	s_add_u32 s0, s22, s16
	s_addc_u32 s1, s23, s17
	s_load_dwordx2 s[0:1], s[0:1], 0x10
	s_waitcnt lgkmcnt(0)
	v_cvt_i32_f64_e32 v8, s[0:1]
	v_cmp_ge_i32_e32 vcc, s7, v8
	s_cbranch_vccnz .LBB232_25
; %bb.8:
	s_load_dwordx4 s[28:31], s[4:5], 0x0
	s_load_dword s12, s[4:5], 0x58
	s_load_dword s9, s[4:5], 0x94
	;; [unrolled: 1-line block ×3, first 2 shown]
	v_mov_b32_e32 v12, 0
	s_waitcnt lgkmcnt(0)
	s_mul_i32 s0, s8, s28
	s_lshl_b32 s0, s0, 1
	s_ashr_i32 s1, s0, 31
	s_lshl_b64 s[0:1], s[0:1], 2
	s_add_u32 s40, s20, s0
	s_addc_u32 s41, s21, s1
	s_and_b32 s0, 0xffff, s9
	s_mul_i32 s6, s6, s0
	s_cmp_eq_u32 s29, 0
	v_add_u32_e32 v9, s6, v0
	s_cselect_b64 s[0:1], -1, 0
	s_cmp_lg_u64 s[10:11], 0
	s_cselect_b64 s[4:5], -1, 0
	v_cmp_gt_i32_e32 vcc, s29, v9
	s_and_b64 s[4:5], vcc, s[4:5]
	s_cmp_lg_u64 s[2:3], 0
	s_cselect_b64 s[8:9], -1, 0
	v_cmp_gt_i32_e32 vcc, s30, v9
	s_and_b64 s[8:9], vcc, s[8:9]
	s_cmp_lg_u64 s[24:25], 0
	s_load_dword s6, s[26:27], 0x4
	v_mul_lo_u32 v10, v9, s15
	s_cselect_b64 s[14:15], -1, 0
	v_cmp_gt_i32_e32 vcc, s31, v9
	s_and_b64 s[14:15], vcc, s[14:15]
	s_add_u32 s42, s22, s16
	v_mul_lo_u32 v11, v9, s19
	s_addc_u32 s43, s23, s17
	s_branch .LBB232_12
.LBB232_9:                              ;   in Loop: Header=BB232_12 Depth=1
	v_mov_b32_e32 v4, s27
	v_subrev_co_u32_e32 v5, vcc, s26, v6
	v_subb_co_u32_e32 v6, vcc, v7, v4, vcc
	v_mov_b32_e32 v7, s19
	v_add_co_u32_e32 v4, vcc, s18, v5
	v_addc_co_u32_e32 v5, vcc, v7, v6, vcc
	flat_store_dwordx4 v[4:5], v[0:3]
.LBB232_10:                             ;   in Loop: Header=BB232_12 Depth=1
	s_or_b64 exec, exec, s[28:29]
.LBB232_11:                             ;   in Loop: Header=BB232_12 Depth=1
	s_add_i32 s7, s6, s7
	v_cmp_lt_i32_e32 vcc, s7, v8
	s_cbranch_vccz .LBB232_25
.LBB232_12:                             ; =>This Loop Header: Depth=1
                                        ;     Child Loop BB232_16 Depth 2
                                        ;     Child Loop BB232_20 Depth 2
	;; [unrolled: 1-line block ×3, first 2 shown]
	s_lshl_b32 s16, s7, 2
	s_ashr_i32 s17, s16, 31
	s_lshl_b64 s[16:17], s[16:17], 2
	s_add_u32 s16, s40, s16
	s_addc_u32 s17, s41, s17
	s_load_dwordx2 s[18:19], s[16:17], 0x0
	s_load_dword s26, s[16:17], 0x8
	s_waitcnt lgkmcnt(0)
	s_cmp_le_i32 s26, s19
	s_cbranch_scc1 .LBB232_11
; %bb.13:                               ;   in Loop: Header=BB232_12 Depth=1
	s_load_dword s16, s[16:17], 0xc
	s_waitcnt lgkmcnt(0)
	s_cmp_lt_i32 s16, s12
	s_cselect_b64 s[16:17], -1, 0
	s_cmp_lg_u32 s18, 0
	s_cselect_b64 s[20:21], -1, 0
	s_and_b64 s[16:17], s[16:17], s[20:21]
	s_andn2_b64 vcc, exec, s[16:17]
	s_cbranch_vccnz .LBB232_11
; %bb.14:                               ;   in Loop: Header=BB232_12 Depth=1
	s_mul_i32 s20, s19, s33
	s_ashr_i32 s21, s20, 31
	s_cmp_gt_i32 s18, 0
	s_cselect_b64 s[22:23], -1, 0
	s_sub_i32 s16, s26, s19
	s_and_saveexec_b64 s[28:29], s[4:5]
	s_cbranch_execz .LBB232_18
; %bb.15:                               ;   in Loop: Header=BB232_12 Depth=1
	s_and_b64 s[30:31], s[22:23], exec
	s_cselect_b32 s17, s19, s26
	v_add_u32_e32 v6, s17, v10
	v_ashrrev_i32_e32 v7, 31, v6
	v_lshlrev_b64 v[4:5], 4, v[6:7]
	v_mov_b32_e32 v1, s11
	v_add_co_u32_e32 v0, vcc, s10, v4
	v_addc_co_u32_e32 v1, vcc, v1, v5, vcc
	flat_load_dwordx4 v[0:3], v[0:1]
	s_add_i32 s17, s16, -1
	s_and_b64 s[30:31], s[22:23], exec
	s_cselect_b32 s34, 0, s17
	s_ashr_i32 s37, s18, 31
	s_mov_b32 s36, s18
	s_ashr_i32 s35, s34, 31
	s_lshl_b64 s[30:31], s[36:37], 4
	s_lshl_b64 s[34:35], s[34:35], 3
	;; [unrolled: 1-line block ×3, first 2 shown]
	s_add_u32 s17, s34, s38
	s_addc_u32 s27, s35, s39
	s_add_u32 s34, s42, s17
	s_addc_u32 s35, s43, s27
	s_ashr_i32 s27, s26, 31
	s_ashr_i32 s45, s19, 31
	s_mov_b32 s44, s19
	s_lshl_b64 s[36:37], s[36:37], 3
	s_lshl_b64 s[38:39], s[26:27], 3
	;; [unrolled: 1-line block ×3, first 2 shown]
	s_sub_u32 s17, s38, s44
	v_add_u32_e32 v6, s18, v6
	s_subb_u32 s27, s39, s45
	v_ashrrev_i32_e32 v7, 31, v6
	s_add_u32 s17, s17, 40
	v_lshlrev_b64 v[6:7], 4, v[6:7]
	s_addc_u32 s27, s27, 0
	s_mov_b32 s44, s16
	s_mov_b64 s[38:39], s[10:11]
.LBB232_16:                             ;   Parent Loop BB232_12 Depth=1
                                        ; =>  This Inner Loop Header: Depth=2
	v_mov_b32_e32 v13, s39
	v_add_co_u32_e32 v14, vcc, s38, v6
	s_add_u32 s46, s34, s17
	v_addc_co_u32_e32 v15, vcc, v13, v7, vcc
	global_load_dwordx2 v[22:23], v12, s[34:35] offset:32
	s_addc_u32 s47, s35, s27
	flat_load_dwordx4 v[14:17], v[14:15]
	s_nop 0
	global_load_dwordx2 v[24:25], v12, s[46:47]
	v_add_co_u32_e32 v26, vcc, s38, v4
	s_add_u32 s38, s38, s30
	s_addc_u32 s39, s39, s31
	s_add_u32 s34, s34, s36
	s_addc_u32 s35, s35, s37
	s_add_i32 s44, s44, -1
	v_addc_co_u32_e32 v27, vcc, v13, v5, vcc
	s_cmp_eq_u32 s44, 0
	s_waitcnt vmcnt(0) lgkmcnt(0)
	v_mul_f64 v[18:19], v[14:15], v[24:25]
	v_mul_f64 v[20:21], v[16:17], v[24:25]
	v_fma_f64 v[18:19], v[0:1], v[22:23], -v[18:19]
	v_fma_f64 v[20:21], v[2:3], v[22:23], -v[20:21]
	v_mul_f64 v[0:1], v[0:1], v[24:25]
	v_mul_f64 v[2:3], v[2:3], v[24:25]
	v_fmac_f64_e32 v[0:1], v[14:15], v[22:23]
	v_fmac_f64_e32 v[2:3], v[16:17], v[22:23]
	flat_store_dwordx4 v[26:27], v[18:21]
	s_cbranch_scc0 .LBB232_16
; %bb.17:                               ;   in Loop: Header=BB232_12 Depth=1
	v_mov_b32_e32 v4, s31
	v_subrev_co_u32_e32 v5, vcc, s30, v6
	v_subb_co_u32_e32 v6, vcc, v7, v4, vcc
	v_mov_b32_e32 v7, s39
	v_add_co_u32_e32 v4, vcc, s38, v5
	v_addc_co_u32_e32 v5, vcc, v7, v6, vcc
	flat_store_dwordx4 v[4:5], v[0:3]
.LBB232_18:                             ;   in Loop: Header=BB232_12 Depth=1
	s_or_b64 exec, exec, s[28:29]
	s_lshl_b32 s17, s16, 1
	s_add_i32 s17, s17, 2
	s_and_b64 s[28:29], s[0:1], exec
	s_cselect_b32 s27, 0, s17
	s_and_saveexec_b64 s[28:29], s[8:9]
	s_cbranch_execz .LBB232_22
; %bb.19:                               ;   in Loop: Header=BB232_12 Depth=1
	s_and_b64 s[30:31], s[22:23], exec
	s_cselect_b32 s34, s19, s26
	s_mul_i32 s36, s34, s13
	v_add_u32_e32 v0, s36, v9
	v_ashrrev_i32_e32 v1, 31, v0
	v_lshlrev_b64 v[0:1], 4, v[0:1]
	v_mov_b32_e32 v2, s3
	v_add_co_u32_e32 v0, vcc, s2, v0
	v_addc_co_u32_e32 v1, vcc, v2, v1, vcc
	flat_load_dwordx4 v[0:3], v[0:1]
	s_add_i32 s17, s16, -1
	s_and_b64 s[30:31], s[22:23], exec
	s_cselect_b32 s17, 0, s17
	s_add_i32 s30, s27, s17
	s_add_i32 s34, s34, s18
	s_ashr_i32 s31, s30, 31
	s_ashr_i32 s17, s16, 31
	s_mul_i32 s37, s13, s34
	s_lshl_b64 s[34:35], s[20:21], 3
	s_lshl_b64 s[30:31], s[30:31], 3
	s_add_u32 s30, s34, s30
	s_addc_u32 s31, s35, s31
	s_add_u32 s30, s42, s30
	s_addc_u32 s31, s43, s31
	s_ashr_i32 s35, s18, 31
	s_mov_b32 s34, s18
	s_lshl_b64 s[34:35], s[34:35], 3
	s_lshl_b64 s[44:45], s[16:17], 3
	s_add_u32 s17, s44, 40
	s_mul_i32 s38, s13, s18
	s_addc_u32 s39, s45, 0
	s_mov_b32 s44, s16
	v_mov_b32_e32 v6, v9
.LBB232_20:                             ;   Parent Loop BB232_12 Depth=1
                                        ; =>  This Inner Loop Header: Depth=2
	v_add_u32_e32 v4, s37, v6
	v_ashrrev_i32_e32 v5, 31, v4
	v_lshlrev_b64 v[4:5], 4, v[4:5]
	v_mov_b32_e32 v7, s3
	s_add_u32 s46, s30, s17
	v_add_co_u32_e32 v4, vcc, s2, v4
	s_addc_u32 s47, s31, s39
	v_addc_co_u32_e32 v5, vcc, v7, v5, vcc
	global_load_dwordx2 v[22:23], v12, s[30:31] offset:32
	global_load_dwordx2 v[24:25], v12, s[46:47]
	flat_load_dwordx4 v[14:17], v[4:5]
	v_add_u32_e32 v18, s36, v6
	v_ashrrev_i32_e32 v19, 31, v18
	v_lshlrev_b64 v[18:19], 4, v[18:19]
	v_add_co_u32_e32 v26, vcc, s2, v18
	s_add_u32 s30, s30, s34
	v_addc_co_u32_e32 v27, vcc, v7, v19, vcc
	s_addc_u32 s31, s31, s35
	s_add_i32 s44, s44, -1
	v_add_u32_e32 v6, s38, v6
	s_cmp_eq_u32 s44, 0
	s_waitcnt vmcnt(0) lgkmcnt(0)
	v_mul_f64 v[18:19], v[14:15], v[24:25]
	v_mul_f64 v[20:21], v[16:17], v[24:25]
	v_fma_f64 v[18:19], v[0:1], v[22:23], -v[18:19]
	v_fma_f64 v[20:21], v[2:3], v[22:23], -v[20:21]
	v_mul_f64 v[0:1], v[0:1], v[24:25]
	v_mul_f64 v[2:3], v[2:3], v[24:25]
	v_fmac_f64_e32 v[0:1], v[14:15], v[22:23]
	v_fmac_f64_e32 v[2:3], v[16:17], v[22:23]
	flat_store_dwordx4 v[26:27], v[18:21]
	s_cbranch_scc0 .LBB232_20
; %bb.21:                               ;   in Loop: Header=BB232_12 Depth=1
	flat_store_dwordx4 v[4:5], v[0:3]
.LBB232_22:                             ;   in Loop: Header=BB232_12 Depth=1
	s_or_b64 exec, exec, s[28:29]
	s_and_saveexec_b64 s[28:29], s[14:15]
	s_cbranch_execz .LBB232_10
; %bb.23:                               ;   in Loop: Header=BB232_12 Depth=1
	s_and_b64 s[30:31], s[22:23], exec
	s_cselect_b32 s17, s19, s26
	v_add_u32_e32 v6, s17, v11
	v_ashrrev_i32_e32 v7, 31, v6
	v_lshlrev_b64 v[4:5], 4, v[6:7]
	v_mov_b32_e32 v1, s25
	v_add_co_u32_e32 v0, vcc, s24, v4
	v_addc_co_u32_e32 v1, vcc, v1, v5, vcc
	flat_load_dwordx4 v[0:3], v[0:1]
	s_add_i32 s17, s16, -1
	s_and_b64 s[22:23], s[22:23], exec
	s_cselect_b32 s17, 0, s17
	s_add_i32 s22, s27, s17
	s_ashr_i32 s23, s22, 31
	s_ashr_i32 s17, s16, 31
	s_lshl_b64 s[20:21], s[20:21], 3
	s_lshl_b64 s[22:23], s[22:23], 3
	s_add_u32 s19, s20, s22
	s_addc_u32 s21, s21, s23
	s_add_u32 s20, s42, s19
	s_addc_u32 s21, s43, s21
	s_ashr_i32 s19, s18, 31
	s_lshl_b64 s[22:23], s[18:19], 3
	s_lshl_b64 s[26:27], s[16:17], 3
	v_add_u32_e32 v6, s18, v6
	s_add_u32 s17, s26, 40
	v_ashrrev_i32_e32 v7, 31, v6
	s_addc_u32 s30, s27, 0
	v_lshlrev_b64 v[6:7], 4, v[6:7]
	s_lshl_b64 s[26:27], s[18:19], 4
	s_mov_b64 s[18:19], s[24:25]
.LBB232_24:                             ;   Parent Loop BB232_12 Depth=1
                                        ; =>  This Inner Loop Header: Depth=2
	v_mov_b32_e32 v13, s19
	v_add_co_u32_e32 v18, vcc, s18, v6
	s_add_u32 s34, s20, s17
	v_addc_co_u32_e32 v19, vcc, v13, v7, vcc
	global_load_dwordx2 v[22:23], v12, s[20:21] offset:32
	s_addc_u32 s35, s21, s30
	flat_load_dwordx4 v[14:17], v[18:19]
	global_load_dwordx2 v[24:25], v12, s[34:35]
	s_add_i32 s16, s16, -1
	s_add_u32 s20, s20, s22
	s_addc_u32 s21, s21, s23
	v_add_co_u32_e32 v26, vcc, s18, v4
	s_add_u32 s18, s18, s26
	s_addc_u32 s19, s19, s27
	v_addc_co_u32_e32 v27, vcc, v13, v5, vcc
	s_cmp_eq_u32 s16, 0
	s_waitcnt vmcnt(0) lgkmcnt(0)
	v_mul_f64 v[18:19], v[14:15], v[24:25]
	v_mul_f64 v[20:21], v[16:17], v[24:25]
	v_fma_f64 v[18:19], v[0:1], v[22:23], -v[18:19]
	v_fma_f64 v[20:21], v[2:3], v[22:23], -v[20:21]
	v_mul_f64 v[0:1], v[0:1], v[24:25]
	v_mul_f64 v[2:3], v[2:3], v[24:25]
	v_fmac_f64_e32 v[0:1], v[14:15], v[22:23]
	v_fmac_f64_e32 v[2:3], v[16:17], v[22:23]
	flat_store_dwordx4 v[26:27], v[18:21]
	s_cbranch_scc0 .LBB232_24
	s_branch .LBB232_9
.LBB232_25:
	s_endpgm
	.section	.rodata,"a",@progbits
	.p2align	6, 0x0
	.amdhsa_kernel _ZN9rocsolver6v33100L12bdsqr_rotateI19rocblas_complex_numIdEdPS3_PKS4_S6_EEviiiiT1_iilT2_iilT3_iiliPiPT0_ilSA_
		.amdhsa_group_segment_fixed_size 0
		.amdhsa_private_segment_fixed_size 0
		.amdhsa_kernarg_size 392
		.amdhsa_user_sgpr_count 6
		.amdhsa_user_sgpr_private_segment_buffer 1
		.amdhsa_user_sgpr_dispatch_ptr 0
		.amdhsa_user_sgpr_queue_ptr 0
		.amdhsa_user_sgpr_kernarg_segment_ptr 1
		.amdhsa_user_sgpr_dispatch_id 0
		.amdhsa_user_sgpr_flat_scratch_init 0
		.amdhsa_user_sgpr_kernarg_preload_length 0
		.amdhsa_user_sgpr_kernarg_preload_offset 0
		.amdhsa_user_sgpr_private_segment_size 0
		.amdhsa_uses_dynamic_stack 0
		.amdhsa_system_sgpr_private_segment_wavefront_offset 0
		.amdhsa_system_sgpr_workgroup_id_x 1
		.amdhsa_system_sgpr_workgroup_id_y 1
		.amdhsa_system_sgpr_workgroup_id_z 1
		.amdhsa_system_sgpr_workgroup_info 0
		.amdhsa_system_vgpr_workitem_id 0
		.amdhsa_next_free_vgpr 28
		.amdhsa_next_free_sgpr 48
		.amdhsa_accum_offset 28
		.amdhsa_reserve_vcc 1
		.amdhsa_reserve_flat_scratch 0
		.amdhsa_float_round_mode_32 0
		.amdhsa_float_round_mode_16_64 0
		.amdhsa_float_denorm_mode_32 3
		.amdhsa_float_denorm_mode_16_64 3
		.amdhsa_dx10_clamp 1
		.amdhsa_ieee_mode 1
		.amdhsa_fp16_overflow 0
		.amdhsa_tg_split 0
		.amdhsa_exception_fp_ieee_invalid_op 0
		.amdhsa_exception_fp_denorm_src 0
		.amdhsa_exception_fp_ieee_div_zero 0
		.amdhsa_exception_fp_ieee_overflow 0
		.amdhsa_exception_fp_ieee_underflow 0
		.amdhsa_exception_fp_ieee_inexact 0
		.amdhsa_exception_int_div_zero 0
	.end_amdhsa_kernel
	.section	.text._ZN9rocsolver6v33100L12bdsqr_rotateI19rocblas_complex_numIdEdPS3_PKS4_S6_EEviiiiT1_iilT2_iilT3_iiliPiPT0_ilSA_,"axG",@progbits,_ZN9rocsolver6v33100L12bdsqr_rotateI19rocblas_complex_numIdEdPS3_PKS4_S6_EEviiiiT1_iilT2_iilT3_iiliPiPT0_ilSA_,comdat
.Lfunc_end232:
	.size	_ZN9rocsolver6v33100L12bdsqr_rotateI19rocblas_complex_numIdEdPS3_PKS4_S6_EEviiiiT1_iilT2_iilT3_iiliPiPT0_ilSA_, .Lfunc_end232-_ZN9rocsolver6v33100L12bdsqr_rotateI19rocblas_complex_numIdEdPS3_PKS4_S6_EEviiiiT1_iilT2_iilT3_iiliPiPT0_ilSA_
                                        ; -- End function
	.section	.AMDGPU.csdata,"",@progbits
; Kernel info:
; codeLenInByte = 1680
; NumSgprs: 52
; NumVgprs: 28
; NumAgprs: 0
; TotalNumVgprs: 28
; ScratchSize: 0
; MemoryBound: 0
; FloatMode: 240
; IeeeMode: 1
; LDSByteSize: 0 bytes/workgroup (compile time only)
; SGPRBlocks: 6
; VGPRBlocks: 3
; NumSGPRsForWavesPerEU: 52
; NumVGPRsForWavesPerEU: 28
; AccumOffset: 28
; Occupancy: 8
; WaveLimiterHint : 1
; COMPUTE_PGM_RSRC2:SCRATCH_EN: 0
; COMPUTE_PGM_RSRC2:USER_SGPR: 6
; COMPUTE_PGM_RSRC2:TRAP_HANDLER: 0
; COMPUTE_PGM_RSRC2:TGID_X_EN: 1
; COMPUTE_PGM_RSRC2:TGID_Y_EN: 1
; COMPUTE_PGM_RSRC2:TGID_Z_EN: 1
; COMPUTE_PGM_RSRC2:TIDIG_COMP_CNT: 0
; COMPUTE_PGM_RSRC3_GFX90A:ACCUM_OFFSET: 6
; COMPUTE_PGM_RSRC3_GFX90A:TG_SPLIT: 0
	.section	.text._ZN9rocsolver6v33100L14bdsqr_finalizeI19rocblas_complex_numIdEdPS3_PKS4_S6_EEviiiiPT0_lS8_lT1_iilT2_iilT3_iilPiSC_SC_,"axG",@progbits,_ZN9rocsolver6v33100L14bdsqr_finalizeI19rocblas_complex_numIdEdPS3_PKS4_S6_EEviiiiPT0_lS8_lT1_iilT2_iilT3_iilPiSC_SC_,comdat
	.globl	_ZN9rocsolver6v33100L14bdsqr_finalizeI19rocblas_complex_numIdEdPS3_PKS4_S6_EEviiiiPT0_lS8_lT1_iilT2_iilT3_iilPiSC_SC_ ; -- Begin function _ZN9rocsolver6v33100L14bdsqr_finalizeI19rocblas_complex_numIdEdPS3_PKS4_S6_EEviiiiPT0_lS8_lT1_iilT2_iilT3_iilPiSC_SC_
	.p2align	8
	.type	_ZN9rocsolver6v33100L14bdsqr_finalizeI19rocblas_complex_numIdEdPS3_PKS4_S6_EEviiiiPT0_lS8_lT1_iilT2_iilT3_iilPiSC_SC_,@function
_ZN9rocsolver6v33100L14bdsqr_finalizeI19rocblas_complex_numIdEdPS3_PKS4_S6_EEviiiiPT0_lS8_lT1_iilT2_iilT3_iilPiSC_SC_: ; @_ZN9rocsolver6v33100L14bdsqr_finalizeI19rocblas_complex_numIdEdPS3_PKS4_S6_EEviiiiPT0_lS8_lT1_iilT2_iilT3_iilPiSC_SC_
; %bb.0:
	s_add_u32 flat_scratch_lo, s8, s12
	s_addc_u32 flat_scratch_hi, s9, 0
	s_load_dwordx2 s[8:9], s[6:7], 0x88
	s_add_u32 s0, s0, s12
	s_addc_u32 s1, s1, 0
	s_mov_b32 s14, s11
	s_ashr_i32 s15, s11, 31
	s_lshl_b64 s[26:27], s[14:15], 2
	s_waitcnt lgkmcnt(0)
	s_add_u32 s8, s8, s26
	s_addc_u32 s9, s9, s27
	s_load_dword s8, s[8:9], 0x8
	s_movk_i32 s32, 0x1400
	s_waitcnt lgkmcnt(0)
	s_cmp_gt_i32 s8, 1
	s_cbranch_scc1 .LBB233_260
; %bb.1:
	s_load_dwordx2 s[8:9], s[6:7], 0x9c
	s_load_dwordx8 s[36:43], s[6:7], 0x30
	s_load_dwordx8 s[44:51], s[6:7], 0x10
	s_mov_b64 s[28:29], 0
	s_mov_b64 s[34:35], 0
	s_waitcnt lgkmcnt(0)
	s_and_b32 s9, s9, 0xffff
	s_cmp_eq_u64 s[36:37], 0
	s_cbranch_scc1 .LBB233_3
; %bb.2:
	s_mul_i32 s12, s14, s41
	s_mul_hi_u32 s13, s14, s40
	s_add_i32 s12, s13, s12
	s_mul_i32 s13, s15, s40
	s_add_i32 s13, s12, s13
	s_mul_i32 s12, s14, s40
	s_ashr_i32 s11, s38, 31
	s_lshl_b64 s[12:13], s[12:13], 4
	s_mov_b32 s10, s38
	s_add_u32 s12, s36, s12
	s_addc_u32 s13, s37, s13
	s_lshl_b64 s[10:11], s[10:11], 4
	s_add_u32 s34, s12, s10
	s_addc_u32 s35, s13, s11
.LBB233_3:
	s_load_dwordx2 s[36:37], s[6:7], 0x50
	s_cmp_eq_u64 s[42:43], 0
	s_cbranch_scc1 .LBB233_5
; %bb.4:
	s_lshl_b64 s[10:11], s[14:15], 3
	s_add_u32 s10, s42, s10
	s_addc_u32 s11, s43, s11
	s_load_dwordx2 s[10:11], s[10:11], 0x0
	s_waitcnt lgkmcnt(0)
	s_ashr_i32 s13, s36, 31
	s_mov_b32 s12, s36
	s_lshl_b64 s[12:13], s[12:13], 4
	s_add_u32 s28, s10, s12
	s_addc_u32 s29, s11, s13
.LBB233_5:
	s_load_dwordx4 s[56:59], s[6:7], 0x60
	s_load_dwordx4 s[40:43], s[6:7], 0x78
	s_mov_b64 s[60:61], 0
	s_waitcnt lgkmcnt(0)
	s_cmp_eq_u64 s[56:57], 0
	s_cbranch_scc1 .LBB233_7
; %bb.6:
	s_lshl_b64 s[10:11], s[14:15], 3
	s_add_u32 s10, s56, s10
	s_addc_u32 s11, s57, s11
	s_load_dwordx2 s[10:11], s[10:11], 0x0
	s_ashr_i32 s13, s58, 31
	s_mov_b32 s12, s58
	s_lshl_b64 s[12:13], s[12:13], 4
	s_waitcnt lgkmcnt(0)
	s_add_u32 s60, s10, s12
	s_addc_u32 s61, s11, s13
.LBB233_7:
	s_mul_i32 s10, s14, s47
	s_mul_hi_u32 s11, s14, s46
	s_add_i32 s10, s11, s10
	s_mul_i32 s11, s15, s46
	s_add_i32 s11, s10, s11
	s_mul_i32 s10, s14, s46
	s_lshl_b64 s[56:57], s[10:11], 3
	s_add_u32 s46, s44, s56
	s_load_dwordx4 s[52:55], s[6:7], 0x0
	s_addc_u32 s47, s45, s57
	s_lshr_b32 s10, s8, 16
	s_and_b32 s36, s8, 0xffff
	v_bfe_u32 v43, v0, 10, 10
	v_bfe_u32 v44, v0, 20, 10
	s_mul_i32 s58, s10, s36
	v_and_b32_e32 v42, 0x3ff, v0
	v_mul_u32_u24_e32 v0, s36, v43
	v_mul_lo_u32 v1, s58, v44
	v_add3_u32 v41, v0, v42, v1
	s_and_b32 s8, s9, 0xffff
	s_mul_i32 s58, s58, s8
	s_waitcnt lgkmcnt(0)
	s_cmp_lt_i32 s52, 1
	v_cmp_eq_u32_e64 s[8:9], 0, v41
	s_cbranch_scc1 .LBB233_22
; %bb.8:
	s_mul_i32 s10, s14, s51
	s_mul_hi_u32 s11, s14, s50
	s_add_i32 s10, s11, s10
	s_mul_i32 s11, s15, s50
	s_add_i32 s11, s10, s11
	s_mul_i32 s10, s14, s50
	s_lshl_b64 s[10:11], s[10:11], 3
	s_add_u32 s15, s48, s10
	s_addc_u32 s24, s49, s11
	s_add_i32 s25, s52, -1
	s_cmp_lg_u32 s53, 0
	s_cselect_b64 s[12:13], -1, 0
	s_mov_b32 s17, 0
	v_cndmask_b32_e64 v0, 0, 1, s[12:13]
	v_cmp_gt_u32_e64 s[10:11], s53, v41
	s_ashr_i32 s30, s39, 31
	s_mov_b32 s31, s39
	v_mov_b32_e32 v2, 0
	v_cmp_ne_u32_e64 s[12:13], 1, v0
	v_mov_b32_e32 v3, s35
	s_mov_b32 s16, s17
	s_mov_b32 s38, s17
	s_branch .LBB233_11
.LBB233_9:                              ;   in Loop: Header=BB233_11 Depth=1
	s_or_b64 exec, exec, s[20:21]
.LBB233_10:                             ;   in Loop: Header=BB233_11 Depth=1
	s_add_i32 s16, s16, 1
	s_cmp_eq_u32 s16, s52
	s_cbranch_scc1 .LBB233_23
.LBB233_11:                             ; =>This Loop Header: Depth=1
                                        ;     Child Loop BB233_18 Depth 2
	s_cmp_ge_i32 s16, s25
	s_cbranch_scc1 .LBB233_14
; %bb.12:                               ;   in Loop: Header=BB233_11 Depth=1
	s_lshl_b64 s[18:19], s[16:17], 3
	s_add_u32 s18, s15, s18
	s_addc_u32 s19, s24, s19
	global_load_dwordx2 v[0:1], v2, s[18:19]
	s_waitcnt vmcnt(0)
	v_cmp_eq_f64_e32 vcc, 0, v[0:1]
	s_cbranch_vccnz .LBB233_14
; %bb.13:                               ;   in Loop: Header=BB233_11 Depth=1
	s_add_i32 s38, s38, 1
.LBB233_14:                             ;   in Loop: Header=BB233_11 Depth=1
	s_lshl_b64 s[18:19], s[16:17], 3
	s_add_u32 s18, s46, s18
	s_addc_u32 s19, s47, s19
	global_load_dwordx2 v[0:1], v2, s[18:19]
	s_waitcnt vmcnt(0)
	v_cmp_ngt_f64_e32 vcc, 0, v[0:1]
	s_cbranch_vccnz .LBB233_10
; %bb.15:                               ;   in Loop: Header=BB233_11 Depth=1
	s_and_b64 vcc, exec, s[12:13]
	s_cbranch_vccnz .LBB233_20
; %bb.16:                               ;   in Loop: Header=BB233_11 Depth=1
	s_and_saveexec_b64 s[20:21], s[10:11]
	s_cbranch_execz .LBB233_19
; %bb.17:                               ;   in Loop: Header=BB233_11 Depth=1
	s_mov_b64 s[22:23], 0
	v_pk_mov_b32 v[0:1], s[16:17], s[16:17] op_sel:[0,1]
	v_mov_b32_e32 v4, v41
.LBB233_18:                             ;   Parent Loop BB233_11 Depth=1
                                        ; =>  This Inner Loop Header: Depth=2
	v_mad_u64_u32 v[6:7], s[48:49], v4, s31, v[0:1]
	v_mov_b32_e32 v8, v7
	v_mad_u64_u32 v[8:9], s[48:49], v4, s30, v[8:9]
	v_mov_b32_e32 v7, v8
	v_lshlrev_b64 v[6:7], 4, v[6:7]
	v_add_co_u32_e32 v10, vcc, s34, v6
	v_addc_co_u32_e32 v11, vcc, v3, v7, vcc
	flat_load_dwordx4 v[6:9], v[10:11]
	v_add_u32_e32 v4, s58, v4
	v_cmp_le_u32_e32 vcc, s53, v4
	s_or_b64 s[22:23], vcc, s[22:23]
	s_waitcnt vmcnt(0) lgkmcnt(0)
	v_xor_b32_e32 v7, 0x80000000, v7
	v_xor_b32_e32 v9, 0x80000000, v9
	flat_store_dwordx4 v[10:11], v[6:9]
	s_andn2_b64 exec, exec, s[22:23]
	s_cbranch_execnz .LBB233_18
.LBB233_19:                             ;   in Loop: Header=BB233_11 Depth=1
	s_or_b64 exec, exec, s[20:21]
	s_waitcnt lgkmcnt(0)
	s_barrier
.LBB233_20:                             ;   in Loop: Header=BB233_11 Depth=1
	s_and_saveexec_b64 s[20:21], s[8:9]
	s_cbranch_execz .LBB233_9
; %bb.21:                               ;   in Loop: Header=BB233_11 Depth=1
	global_load_dwordx2 v[0:1], v2, s[18:19]
	s_waitcnt vmcnt(0)
	v_xor_b32_e32 v1, 0x80000000, v1
	global_store_dwordx2 v2, v[0:1], s[18:19]
	s_branch .LBB233_9
.LBB233_22:
	s_mov_b32 s38, 0
.LBB233_23:
	s_cmp_lt_i32 s38, 1
	s_mov_b64 s[8:9], -1
	s_cbranch_scc0 .LBB233_257
; %bb.24:
	s_mul_i32 s8, s14, s52
	s_lshl_b32 s8, s8, 1
	s_ashr_i32 s9, s8, 31
	s_lshl_b64 s[8:9], s[8:9], 2
	s_add_u32 s8, s42, s8
	s_addc_u32 s9, s43, s9
	s_cmp_lg_u64 s[42:43], 0
	s_cselect_b32 s49, s9, 0
	s_cselect_b32 s48, s8, 0
	s_mov_b64 s[62:63], 0
	s_cmp_lg_u64 s[48:49], 0
	s_barrier
	s_cbranch_scc0 .LBB233_38
; %bb.25:
	s_or_b32 s8, s54, s53
	s_or_b32 s10, s8, s55
	s_cmp_gt_i32 s52, 0
	s_cselect_b64 s[64:65], -1, 0
	s_cmp_lg_u64 s[44:45], 0
	s_cselect_b64 s[8:9], -1, 0
	s_and_b64 s[42:43], s[64:65], s[8:9]
	s_cmp_eq_u32 s10, 0
	s_cbranch_scc1 .LBB233_39
; %bb.26:
	s_mov_b64 s[66:67], -1
	s_mov_b64 s[50:51], 0
	s_and_b64 vcc, exec, s[42:43]
	s_cbranch_vccz .LBB233_117
; %bb.27:
	v_cmp_gt_u32_e32 vcc, s52, v41
	s_barrier
	s_and_saveexec_b64 s[8:9], vcc
	s_cbranch_execz .LBB233_30
; %bb.28:
	s_mov_b64 s[10:11], 0
	v_mov_b32_e32 v1, 0
	v_mov_b32_e32 v2, s49
	;; [unrolled: 1-line block ×3, first 2 shown]
.LBB233_29:                             ; =>This Inner Loop Header: Depth=1
	v_lshlrev_b64 v[4:5], 2, v[0:1]
	v_add_co_u32_e32 v4, vcc, s48, v4
	v_addc_co_u32_e32 v5, vcc, v2, v5, vcc
	global_store_dword v[4:5], v0, off
	v_add_u32_e32 v0, s58, v0
	v_cmp_le_u32_e32 vcc, s52, v0
	s_or_b64 s[10:11], vcc, s[10:11]
	s_andn2_b64 exec, exec, s[10:11]
	s_cbranch_execnz .LBB233_29
.LBB233_30:
	s_or_b64 exec, exec, s[8:9]
	v_or3_b32 v0, v43, v44, v42
	v_cmp_eq_u32_e32 vcc, 0, v0
	s_barrier
	s_and_saveexec_b64 s[8:9], vcc
	s_cbranch_execz .LBB233_101
; %bb.31:
	s_cmpk_lt_i32 s52, 0x2be
	s_cbranch_scc1 .LBB233_40
; %bb.32:
	s_add_u32 s10, s48, 0xaf4
	s_addc_u32 s11, s49, 0
	s_mov_b64 s[12:13], 0x2bd
	s_mov_b32 s15, 0
	v_mov_b32_e32 v4, 0
	v_mov_b32_e32 v5, 0x1000
	s_mov_b64 s[16:17], s[46:47]
	s_branch .LBB233_34
.LBB233_33:                             ;   in Loop: Header=BB233_34 Depth=1
	s_lshl_b64 s[18:19], s[24:25], 3
	s_add_u32 s18, s46, s18
	s_addc_u32 s19, s47, s19
	global_store_dwordx2 v4, v[0:1], s[18:19]
	s_lshl_b64 s[18:19], s[24:25], 2
	s_add_u32 s18, s48, s18
	s_addc_u32 s19, s49, s19
	s_add_u32 s12, s12, 1
	s_addc_u32 s13, s13, 0
	s_add_u32 s16, s16, 8
	s_addc_u32 s17, s17, 0
	s_add_u32 s10, s10, 4
	s_addc_u32 s11, s11, 0
	s_cmp_eq_u32 s12, s52
	global_store_dword v4, v6, s[18:19]
	s_cbranch_scc1 .LBB233_40
.LBB233_34:                             ; =>This Loop Header: Depth=1
                                        ;     Child Loop BB233_36 Depth 2
	s_mov_b32 s14, s12
	s_lshl_b64 s[18:19], s[14:15], 3
	s_add_u32 s18, s46, s18
	s_addc_u32 s19, s47, s19
	s_lshl_b64 s[20:21], s[14:15], 2
	s_add_u32 s20, s48, s20
	s_addc_u32 s21, s49, s21
	global_load_dwordx2 v[0:1], v4, s[18:19]
	global_load_dword v6, v4, s[20:21]
	s_mov_b64 s[22:23], s[10:11]
	s_mov_b64 s[18:19], s[16:17]
	;; [unrolled: 1-line block ×3, first 2 shown]
	s_branch .LBB233_36
.LBB233_35:                             ;   in Loop: Header=BB233_36 Depth=2
	global_load_dword v7, v4, s[22:23] offset:-2804
	s_add_u32 s62, s22, 0xfffff50c
	s_addc_u32 s63, s23, -1
	s_add_u32 s24, s20, 0xfffffd43
	s_addc_u32 s25, s21, -1
	global_store_dwordx2 v5, v[2:3], s[18:19] offset:1512
	s_add_u32 s18, s18, 0xffffea18
	s_addc_u32 s19, s19, -1
	s_cmpk_lt_i32 s20, 0x57a
	s_mov_b64 s[20:21], s[24:25]
	s_cselect_b64 s[30:31], -1, 0
	s_waitcnt vmcnt(1)
	global_store_dword v4, v7, s[22:23]
	s_mov_b64 s[22:23], s[62:63]
	s_andn2_b64 vcc, exec, s[30:31]
	s_cbranch_vccz .LBB233_33
.LBB233_36:                             ;   Parent Loop BB233_34 Depth=1
                                        ; =>  This Inner Loop Header: Depth=2
	global_load_dwordx2 v[2:3], v4, s[18:19]
	s_mov_b64 s[30:31], -1
	s_waitcnt vmcnt(0)
	v_cmp_nlt_f64_e32 vcc, v[2:3], v[0:1]
	s_cbranch_vccz .LBB233_35
; %bb.37:                               ;   in Loop: Header=BB233_36 Depth=2
                                        ; implicit-def: $sgpr18_sgpr19
                                        ; implicit-def: $sgpr22_sgpr23
	s_mov_b64 s[24:25], s[20:21]
	s_andn2_b64 vcc, exec, s[30:31]
	s_cbranch_vccnz .LBB233_36
	s_branch .LBB233_33
.LBB233_38:
	s_branch .LBB233_233
.LBB233_39:
	s_mov_b64 s[50:51], 0
	s_cbranch_execnz .LBB233_142
	s_branch .LBB233_228
.LBB233_40:
	s_cmpk_lt_i32 s52, 0x12e
	s_cbranch_scc1 .LBB233_49
; %bb.41:
	s_add_u32 s10, s48, 0x4b4
	s_addc_u32 s11, s49, 0
	s_mov_b64 s[12:13], 0x12d
	s_mov_b32 s15, 0
	v_mov_b32_e32 v4, 0
	s_mov_b64 s[16:17], s[46:47]
	s_branch .LBB233_43
.LBB233_42:                             ;   in Loop: Header=BB233_43 Depth=1
	s_lshl_b64 s[20:21], s[18:19], 3
	s_add_u32 s20, s46, s20
	s_addc_u32 s21, s47, s21
	s_lshl_b64 s[18:19], s[18:19], 2
	s_add_u32 s18, s48, s18
	s_addc_u32 s19, s49, s19
	s_add_u32 s12, s12, 1
	s_addc_u32 s13, s13, 0
	;; [unrolled: 2-line block ×4, first 2 shown]
	s_cmp_lg_u32 s12, s52
	global_store_dwordx2 v4, v[0:1], s[20:21]
	global_store_dword v4, v5, s[18:19]
	s_cbranch_scc0 .LBB233_49
.LBB233_43:                             ; =>This Loop Header: Depth=1
                                        ;     Child Loop BB233_45 Depth 2
	s_mov_b32 s14, s12
	s_lshl_b64 s[18:19], s[14:15], 3
	s_add_u32 s18, s46, s18
	s_addc_u32 s19, s47, s19
	s_lshl_b64 s[20:21], s[14:15], 2
	s_add_u32 s20, s48, s20
	s_addc_u32 s21, s49, s21
	global_load_dwordx2 v[0:1], v4, s[18:19]
	global_load_dword v5, v4, s[20:21]
	s_mov_b64 s[20:21], s[16:17]
	s_mov_b64 s[22:23], s[10:11]
	;; [unrolled: 1-line block ×3, first 2 shown]
	s_branch .LBB233_45
.LBB233_44:                             ;   in Loop: Header=BB233_45 Depth=2
	global_load_dword v6, v4, s[22:23] offset:-1204
	s_add_u32 s66, s22, 0xfffffb4c
	s_addc_u32 s67, s23, -1
	s_add_u32 s30, s18, 0xfffffed3
	s_addc_u32 s31, s19, -1
	global_store_dwordx2 v4, v[2:3], s[20:21] offset:2408
	s_add_u32 s20, s20, 0xfffff698
	s_addc_u32 s21, s21, -1
	s_cmpk_lt_i32 s18, 0x25a
	s_mov_b64 s[24:25], 0
	s_mov_b64 s[18:19], s[30:31]
	s_cselect_b64 s[62:63], -1, 0
	s_waitcnt vmcnt(1)
	global_store_dword v4, v6, s[22:23]
	s_mov_b64 s[22:23], s[66:67]
	s_andn2_b64 vcc, exec, s[62:63]
	s_cbranch_vccz .LBB233_47
.LBB233_45:                             ;   Parent Loop BB233_43 Depth=1
                                        ; =>  This Inner Loop Header: Depth=2
	global_load_dwordx2 v[2:3], v4, s[20:21]
	s_mov_b64 s[24:25], -1
	s_waitcnt vmcnt(0)
	v_cmp_nlt_f64_e32 vcc, v[2:3], v[0:1]
	s_cbranch_vccz .LBB233_44
; %bb.46:                               ;   in Loop: Header=BB233_43 Depth=1
                                        ; implicit-def: $sgpr22_sgpr23
                                        ; implicit-def: $sgpr20_sgpr21
                                        ; implicit-def: $sgpr30_sgpr31
.LBB233_47:                             ;   in Loop: Header=BB233_43 Depth=1
	s_andn2_b64 vcc, exec, s[24:25]
	s_cbranch_vccz .LBB233_42
; %bb.48:                               ;   in Loop: Header=BB233_43 Depth=1
	s_bfe_i64 s[18:19], s[30:31], 0x200000
	s_branch .LBB233_42
.LBB233_49:
	s_cmpk_lt_i32 s52, 0x85
	s_cbranch_scc1 .LBB233_58
; %bb.50:
	s_add_u32 s10, s48, 0x210
	s_addc_u32 s11, s49, 0
	s_mov_b64 s[12:13], 0x84
	s_mov_b32 s15, 0
	v_mov_b32_e32 v4, 0
	s_mov_b64 s[16:17], s[46:47]
	s_branch .LBB233_52
.LBB233_51:                             ;   in Loop: Header=BB233_52 Depth=1
	s_lshl_b64 s[20:21], s[18:19], 3
	s_add_u32 s20, s46, s20
	s_addc_u32 s21, s47, s21
	s_lshl_b64 s[18:19], s[18:19], 2
	s_add_u32 s18, s48, s18
	s_addc_u32 s19, s49, s19
	s_add_u32 s12, s12, 1
	s_addc_u32 s13, s13, 0
	;; [unrolled: 2-line block ×4, first 2 shown]
	s_cmp_lg_u32 s12, s52
	global_store_dwordx2 v4, v[0:1], s[20:21]
	global_store_dword v4, v5, s[18:19]
	s_cbranch_scc0 .LBB233_58
.LBB233_52:                             ; =>This Loop Header: Depth=1
                                        ;     Child Loop BB233_54 Depth 2
	s_mov_b32 s14, s12
	s_lshl_b64 s[18:19], s[14:15], 3
	s_add_u32 s18, s46, s18
	s_addc_u32 s19, s47, s19
	s_lshl_b64 s[20:21], s[14:15], 2
	s_add_u32 s20, s48, s20
	s_addc_u32 s21, s49, s21
	global_load_dwordx2 v[0:1], v4, s[18:19]
	global_load_dword v5, v4, s[20:21]
	s_mov_b64 s[20:21], s[16:17]
	s_mov_b64 s[22:23], s[10:11]
	;; [unrolled: 1-line block ×3, first 2 shown]
	s_branch .LBB233_54
.LBB233_53:                             ;   in Loop: Header=BB233_54 Depth=2
	global_load_dword v6, v4, s[22:23] offset:-528
	s_add_u32 s66, s22, 0xfffffdf0
	s_addc_u32 s67, s23, -1
	s_add_u32 s30, s18, 0xffffff7c
	s_addc_u32 s31, s19, -1
	global_store_dwordx2 v4, v[2:3], s[20:21] offset:1056
	s_add_u32 s20, s20, 0xfffffbe0
	s_addc_u32 s21, s21, -1
	s_cmpk_lt_i32 s18, 0x108
	s_mov_b64 s[24:25], 0
	s_mov_b64 s[18:19], s[30:31]
	s_cselect_b64 s[62:63], -1, 0
	s_waitcnt vmcnt(1)
	global_store_dword v4, v6, s[22:23]
	s_mov_b64 s[22:23], s[66:67]
	s_andn2_b64 vcc, exec, s[62:63]
	s_cbranch_vccz .LBB233_56
.LBB233_54:                             ;   Parent Loop BB233_52 Depth=1
                                        ; =>  This Inner Loop Header: Depth=2
	global_load_dwordx2 v[2:3], v4, s[20:21]
	s_mov_b64 s[24:25], -1
	s_waitcnt vmcnt(0)
	v_cmp_nlt_f64_e32 vcc, v[2:3], v[0:1]
	s_cbranch_vccz .LBB233_53
; %bb.55:                               ;   in Loop: Header=BB233_52 Depth=1
                                        ; implicit-def: $sgpr22_sgpr23
                                        ; implicit-def: $sgpr20_sgpr21
                                        ; implicit-def: $sgpr30_sgpr31
.LBB233_56:                             ;   in Loop: Header=BB233_52 Depth=1
	s_andn2_b64 vcc, exec, s[24:25]
	s_cbranch_vccz .LBB233_51
; %bb.57:                               ;   in Loop: Header=BB233_52 Depth=1
	s_bfe_i64 s[18:19], s[30:31], 0x200000
	s_branch .LBB233_51
.LBB233_58:
	s_cmp_lt_i32 s52, 58
	s_cbranch_scc1 .LBB233_67
; %bb.59:
	s_add_u32 s10, s48, 0xe4
	s_addc_u32 s11, s49, 0
	s_mov_b64 s[12:13], 57
	s_mov_b32 s15, 0
	v_mov_b32_e32 v4, 0
	s_mov_b64 s[16:17], s[46:47]
	s_branch .LBB233_61
.LBB233_60:                             ;   in Loop: Header=BB233_61 Depth=1
	s_lshl_b64 s[20:21], s[18:19], 3
	s_add_u32 s20, s46, s20
	s_addc_u32 s21, s47, s21
	s_lshl_b64 s[18:19], s[18:19], 2
	s_add_u32 s18, s48, s18
	s_addc_u32 s19, s49, s19
	s_add_u32 s12, s12, 1
	s_addc_u32 s13, s13, 0
	;; [unrolled: 2-line block ×4, first 2 shown]
	s_cmp_lg_u32 s12, s52
	global_store_dwordx2 v4, v[0:1], s[20:21]
	global_store_dword v4, v5, s[18:19]
	s_cbranch_scc0 .LBB233_67
.LBB233_61:                             ; =>This Loop Header: Depth=1
                                        ;     Child Loop BB233_63 Depth 2
	s_mov_b32 s14, s12
	s_lshl_b64 s[18:19], s[14:15], 3
	s_add_u32 s18, s46, s18
	s_addc_u32 s19, s47, s19
	s_lshl_b64 s[20:21], s[14:15], 2
	s_add_u32 s20, s48, s20
	s_addc_u32 s21, s49, s21
	global_load_dwordx2 v[0:1], v4, s[18:19]
	global_load_dword v5, v4, s[20:21]
	s_mov_b64 s[20:21], s[16:17]
	s_mov_b64 s[22:23], s[10:11]
	;; [unrolled: 1-line block ×3, first 2 shown]
	s_branch .LBB233_63
.LBB233_62:                             ;   in Loop: Header=BB233_63 Depth=2
	global_load_dword v6, v4, s[22:23] offset:-228
	s_add_u32 s66, s22, 0xffffff1c
	s_addc_u32 s67, s23, -1
	s_add_u32 s30, s18, 0xffffffc7
	s_addc_u32 s31, s19, -1
	global_store_dwordx2 v4, v[2:3], s[20:21] offset:456
	s_add_u32 s20, s20, 0xfffffe38
	s_addc_u32 s21, s21, -1
	s_cmpk_lt_i32 s18, 0x72
	s_mov_b64 s[24:25], 0
	s_mov_b64 s[18:19], s[30:31]
	s_cselect_b64 s[62:63], -1, 0
	s_waitcnt vmcnt(1)
	global_store_dword v4, v6, s[22:23]
	s_mov_b64 s[22:23], s[66:67]
	s_andn2_b64 vcc, exec, s[62:63]
	s_cbranch_vccz .LBB233_65
.LBB233_63:                             ;   Parent Loop BB233_61 Depth=1
                                        ; =>  This Inner Loop Header: Depth=2
	global_load_dwordx2 v[2:3], v4, s[20:21]
	s_mov_b64 s[24:25], -1
	s_waitcnt vmcnt(0)
	v_cmp_nlt_f64_e32 vcc, v[2:3], v[0:1]
	s_cbranch_vccz .LBB233_62
; %bb.64:                               ;   in Loop: Header=BB233_61 Depth=1
                                        ; implicit-def: $sgpr22_sgpr23
                                        ; implicit-def: $sgpr20_sgpr21
                                        ; implicit-def: $sgpr30_sgpr31
.LBB233_65:                             ;   in Loop: Header=BB233_61 Depth=1
	s_andn2_b64 vcc, exec, s[24:25]
	s_cbranch_vccz .LBB233_60
; %bb.66:                               ;   in Loop: Header=BB233_61 Depth=1
	s_bfe_i64 s[18:19], s[30:31], 0x200000
	s_branch .LBB233_60
.LBB233_67:
	s_cmp_lt_i32 s52, 24
	s_cbranch_scc1 .LBB233_76
; %bb.68:
	s_add_u32 s10, s48, 0x5c
	s_addc_u32 s11, s49, 0
	s_mov_b64 s[12:13], 23
	s_mov_b32 s15, 0
	v_mov_b32_e32 v4, 0
	s_mov_b64 s[16:17], s[46:47]
	s_branch .LBB233_70
.LBB233_69:                             ;   in Loop: Header=BB233_70 Depth=1
	s_lshl_b64 s[20:21], s[18:19], 3
	s_add_u32 s20, s46, s20
	s_addc_u32 s21, s47, s21
	s_lshl_b64 s[18:19], s[18:19], 2
	s_add_u32 s18, s48, s18
	s_addc_u32 s19, s49, s19
	s_add_u32 s12, s12, 1
	s_addc_u32 s13, s13, 0
	;; [unrolled: 2-line block ×4, first 2 shown]
	s_cmp_lg_u32 s12, s52
	global_store_dwordx2 v4, v[0:1], s[20:21]
	global_store_dword v4, v5, s[18:19]
	s_cbranch_scc0 .LBB233_76
.LBB233_70:                             ; =>This Loop Header: Depth=1
                                        ;     Child Loop BB233_72 Depth 2
	s_mov_b32 s14, s12
	s_lshl_b64 s[18:19], s[14:15], 3
	s_add_u32 s18, s46, s18
	s_addc_u32 s19, s47, s19
	s_lshl_b64 s[20:21], s[14:15], 2
	s_add_u32 s20, s48, s20
	s_addc_u32 s21, s49, s21
	global_load_dwordx2 v[0:1], v4, s[18:19]
	global_load_dword v5, v4, s[20:21]
	s_mov_b64 s[20:21], s[16:17]
	s_mov_b64 s[22:23], s[10:11]
	;; [unrolled: 1-line block ×3, first 2 shown]
	s_branch .LBB233_72
.LBB233_71:                             ;   in Loop: Header=BB233_72 Depth=2
	global_load_dword v6, v4, s[22:23] offset:-92
	s_add_u32 s66, s22, 0xffffffa4
	s_addc_u32 s67, s23, -1
	s_add_u32 s30, s18, 0xffffffe9
	s_addc_u32 s31, s19, -1
	global_store_dwordx2 v4, v[2:3], s[20:21] offset:184
	s_add_u32 s20, s20, 0xffffff48
	s_addc_u32 s21, s21, -1
	s_cmp_lt_i32 s18, 46
	s_mov_b64 s[24:25], 0
	s_mov_b64 s[18:19], s[30:31]
	s_cselect_b64 s[62:63], -1, 0
	s_waitcnt vmcnt(1)
	global_store_dword v4, v6, s[22:23]
	s_mov_b64 s[22:23], s[66:67]
	s_andn2_b64 vcc, exec, s[62:63]
	s_cbranch_vccz .LBB233_74
.LBB233_72:                             ;   Parent Loop BB233_70 Depth=1
                                        ; =>  This Inner Loop Header: Depth=2
	global_load_dwordx2 v[2:3], v4, s[20:21]
	s_mov_b64 s[24:25], -1
	s_waitcnt vmcnt(0)
	v_cmp_nlt_f64_e32 vcc, v[2:3], v[0:1]
	s_cbranch_vccz .LBB233_71
; %bb.73:                               ;   in Loop: Header=BB233_70 Depth=1
                                        ; implicit-def: $sgpr22_sgpr23
                                        ; implicit-def: $sgpr20_sgpr21
                                        ; implicit-def: $sgpr30_sgpr31
.LBB233_74:                             ;   in Loop: Header=BB233_70 Depth=1
	s_andn2_b64 vcc, exec, s[24:25]
	s_cbranch_vccz .LBB233_69
; %bb.75:                               ;   in Loop: Header=BB233_70 Depth=1
	s_bfe_i64 s[18:19], s[30:31], 0x200000
	s_branch .LBB233_69
.LBB233_76:
	s_cmp_lt_i32 s52, 11
	s_cbranch_scc1 .LBB233_85
; %bb.77:
	s_add_u32 s10, s48, 40
	s_addc_u32 s11, s49, 0
	s_mov_b64 s[12:13], 10
	s_mov_b32 s15, 0
	v_mov_b32_e32 v4, 0
	s_mov_b64 s[16:17], s[46:47]
	s_branch .LBB233_79
.LBB233_78:                             ;   in Loop: Header=BB233_79 Depth=1
	s_lshl_b64 s[20:21], s[18:19], 3
	s_add_u32 s20, s46, s20
	s_addc_u32 s21, s47, s21
	s_lshl_b64 s[18:19], s[18:19], 2
	s_add_u32 s18, s48, s18
	s_addc_u32 s19, s49, s19
	s_add_u32 s12, s12, 1
	s_addc_u32 s13, s13, 0
	;; [unrolled: 2-line block ×4, first 2 shown]
	s_cmp_lg_u32 s12, s52
	global_store_dwordx2 v4, v[0:1], s[20:21]
	global_store_dword v4, v5, s[18:19]
	s_cbranch_scc0 .LBB233_85
.LBB233_79:                             ; =>This Loop Header: Depth=1
                                        ;     Child Loop BB233_81 Depth 2
	s_mov_b32 s14, s12
	s_lshl_b64 s[18:19], s[14:15], 3
	s_add_u32 s18, s46, s18
	s_addc_u32 s19, s47, s19
	s_lshl_b64 s[20:21], s[14:15], 2
	s_add_u32 s20, s48, s20
	s_addc_u32 s21, s49, s21
	global_load_dwordx2 v[0:1], v4, s[18:19]
	global_load_dword v5, v4, s[20:21]
	s_mov_b64 s[20:21], s[16:17]
	s_mov_b64 s[22:23], s[10:11]
	;; [unrolled: 1-line block ×3, first 2 shown]
	s_branch .LBB233_81
.LBB233_80:                             ;   in Loop: Header=BB233_81 Depth=2
	global_load_dword v6, v4, s[22:23] offset:-40
	s_add_u32 s66, s22, 0xffffffd8
	s_addc_u32 s67, s23, -1
	s_add_u32 s30, s18, -10
	s_addc_u32 s31, s19, -1
	global_store_dwordx2 v4, v[2:3], s[20:21] offset:80
	s_add_u32 s20, s20, 0xffffffb0
	s_addc_u32 s21, s21, -1
	s_cmp_lt_i32 s18, 20
	s_mov_b64 s[24:25], 0
	s_mov_b64 s[18:19], s[30:31]
	s_cselect_b64 s[62:63], -1, 0
	s_waitcnt vmcnt(1)
	global_store_dword v4, v6, s[22:23]
	s_mov_b64 s[22:23], s[66:67]
	s_andn2_b64 vcc, exec, s[62:63]
	s_cbranch_vccz .LBB233_83
.LBB233_81:                             ;   Parent Loop BB233_79 Depth=1
                                        ; =>  This Inner Loop Header: Depth=2
	global_load_dwordx2 v[2:3], v4, s[20:21]
	s_mov_b64 s[24:25], -1
	s_waitcnt vmcnt(0)
	v_cmp_nlt_f64_e32 vcc, v[2:3], v[0:1]
	s_cbranch_vccz .LBB233_80
; %bb.82:                               ;   in Loop: Header=BB233_79 Depth=1
                                        ; implicit-def: $sgpr22_sgpr23
                                        ; implicit-def: $sgpr20_sgpr21
                                        ; implicit-def: $sgpr30_sgpr31
.LBB233_83:                             ;   in Loop: Header=BB233_79 Depth=1
	s_andn2_b64 vcc, exec, s[24:25]
	s_cbranch_vccz .LBB233_78
; %bb.84:                               ;   in Loop: Header=BB233_79 Depth=1
	s_bfe_i64 s[18:19], s[30:31], 0x200000
	s_branch .LBB233_78
.LBB233_85:
	s_cmp_lt_i32 s52, 5
	s_cbranch_scc1 .LBB233_94
; %bb.86:
	s_add_u32 s10, s48, 16
	s_addc_u32 s11, s49, 0
	s_add_u32 s12, s56, s44
	s_addc_u32 s13, s57, s45
	s_add_u32 s12, s12, 32
	s_addc_u32 s13, s13, 0
	s_mov_b64 s[14:15], 4
	s_mov_b32 s17, 0
	v_mov_b32_e32 v4, 0
	s_branch .LBB233_88
.LBB233_87:                             ;   in Loop: Header=BB233_88 Depth=1
	s_lshl_b64 s[20:21], s[18:19], 3
	s_add_u32 s20, s46, s20
	s_addc_u32 s21, s47, s21
	s_lshl_b64 s[18:19], s[18:19], 2
	s_add_u32 s18, s48, s18
	s_addc_u32 s19, s49, s19
	s_add_u32 s14, s14, 1
	s_addc_u32 s15, s15, 0
	;; [unrolled: 2-line block ×4, first 2 shown]
	s_cmp_lg_u32 s14, s52
	global_store_dwordx2 v4, v[0:1], s[20:21]
	global_store_dword v4, v5, s[18:19]
	s_cbranch_scc0 .LBB233_94
.LBB233_88:                             ; =>This Loop Header: Depth=1
                                        ;     Child Loop BB233_90 Depth 2
	s_mov_b32 s16, s14
	s_lshl_b64 s[18:19], s[16:17], 3
	s_add_u32 s18, s46, s18
	s_addc_u32 s19, s47, s19
	s_lshl_b64 s[20:21], s[16:17], 2
	s_add_u32 s20, s48, s20
	s_addc_u32 s21, s49, s21
	global_load_dwordx2 v[0:1], v4, s[18:19]
	global_load_dword v5, v4, s[20:21]
	s_mov_b64 s[22:23], s[12:13]
	s_mov_b64 s[20:21], s[10:11]
	;; [unrolled: 1-line block ×3, first 2 shown]
	s_branch .LBB233_90
.LBB233_89:                             ;   in Loop: Header=BB233_90 Depth=2
	global_load_dword v6, v4, s[20:21] offset:-16
	s_mov_b64 s[24:25], 0
	global_store_dwordx2 v4, v[2:3], s[22:23]
	s_add_u32 s22, s20, -16
	s_addc_u32 s23, s21, -1
	s_add_u32 s30, s18, -4
	s_addc_u32 s31, s19, -1
	s_cmp_lt_i32 s18, 8
	s_mov_b64 s[18:19], s[30:31]
	s_cselect_b64 s[66:67], -1, 0
	s_waitcnt vmcnt(1)
	global_store_dword v4, v6, s[20:21]
	s_mov_b64 s[20:21], s[22:23]
	s_mov_b64 s[22:23], s[62:63]
	s_andn2_b64 vcc, exec, s[66:67]
	s_cbranch_vccz .LBB233_92
.LBB233_90:                             ;   Parent Loop BB233_88 Depth=1
                                        ; =>  This Inner Loop Header: Depth=2
	global_load_dwordx2 v[2:3], v4, s[22:23] offset:-32
	s_add_u32 s62, s22, 0xffffffe0
	s_addc_u32 s63, s23, -1
	s_mov_b64 s[24:25], -1
	s_waitcnt vmcnt(0)
	v_cmp_nlt_f64_e32 vcc, v[2:3], v[0:1]
	s_cbranch_vccz .LBB233_89
; %bb.91:                               ;   in Loop: Header=BB233_88 Depth=1
                                        ; implicit-def: $sgpr20_sgpr21
                                        ; implicit-def: $sgpr22_sgpr23
                                        ; implicit-def: $sgpr30_sgpr31
.LBB233_92:                             ;   in Loop: Header=BB233_88 Depth=1
	s_andn2_b64 vcc, exec, s[24:25]
	s_cbranch_vccz .LBB233_87
; %bb.93:                               ;   in Loop: Header=BB233_88 Depth=1
	s_bfe_i64 s[18:19], s[30:31], 0x200000
	s_branch .LBB233_87
.LBB233_94:
	s_cmp_lt_i32 s52, 2
	s_cbranch_scc1 .LBB233_101
; %bb.95:
	s_add_u32 s10, s48, 4
	s_addc_u32 s11, s49, 0
	s_add_u32 s12, s56, s44
	s_addc_u32 s13, s57, s45
	s_add_u32 s12, s12, 8
	s_addc_u32 s13, s13, 0
	s_mov_b64 s[14:15], 1
	s_mov_b32 s17, 0
	v_mov_b32_e32 v4, 0
	s_branch .LBB233_97
.LBB233_96:                             ;   in Loop: Header=BB233_97 Depth=1
	s_lshl_b64 s[18:19], s[24:25], 3
	s_add_u32 s18, s46, s18
	s_addc_u32 s19, s47, s19
	global_store_dwordx2 v4, v[0:1], s[18:19]
	s_lshl_b64 s[18:19], s[24:25], 2
	s_add_u32 s18, s48, s18
	s_addc_u32 s19, s49, s19
	s_add_u32 s14, s14, 1
	s_addc_u32 s15, s15, 0
	;; [unrolled: 2-line block ×4, first 2 shown]
	s_cmp_eq_u32 s14, s52
	global_store_dword v4, v5, s[18:19]
	s_cbranch_scc1 .LBB233_101
.LBB233_97:                             ; =>This Loop Header: Depth=1
                                        ;     Child Loop BB233_99 Depth 2
	s_mov_b32 s16, s14
	s_lshl_b64 s[18:19], s[16:17], 3
	s_add_u32 s18, s46, s18
	s_addc_u32 s19, s47, s19
	s_lshl_b64 s[20:21], s[16:17], 2
	s_add_u32 s20, s48, s20
	s_addc_u32 s21, s49, s21
	global_load_dwordx2 v[0:1], v4, s[18:19]
	global_load_dword v5, v4, s[20:21]
	s_mov_b64 s[22:23], s[12:13]
	s_mov_b64 s[18:19], s[10:11]
	;; [unrolled: 1-line block ×3, first 2 shown]
	s_branch .LBB233_99
.LBB233_98:                             ;   in Loop: Header=BB233_99 Depth=2
	global_load_dword v6, v4, s[18:19] offset:-4
	s_mov_b64 s[24:25], 0
	global_store_dwordx2 v4, v[2:3], s[22:23]
	s_add_u32 s22, s18, -4
	s_addc_u32 s23, s19, -1
	s_add_u32 s62, s20, -1
	s_addc_u32 s63, s21, -1
	s_cmp_lt_i32 s20, 2
	s_mov_b64 s[20:21], s[62:63]
	s_cselect_b64 s[62:63], -1, 0
	s_waitcnt vmcnt(1)
	global_store_dword v4, v6, s[18:19]
	s_mov_b64 s[18:19], s[22:23]
	s_mov_b64 s[22:23], s[30:31]
	s_andn2_b64 vcc, exec, s[62:63]
	s_cbranch_vccz .LBB233_96
.LBB233_99:                             ;   Parent Loop BB233_97 Depth=1
                                        ; =>  This Inner Loop Header: Depth=2
	global_load_dwordx2 v[2:3], v4, s[22:23] offset:-8
	s_add_u32 s30, s22, -8
	s_addc_u32 s31, s23, -1
	s_mov_b64 s[62:63], -1
	s_waitcnt vmcnt(0)
	v_cmp_nlt_f64_e32 vcc, v[2:3], v[0:1]
	s_cbranch_vccz .LBB233_98
; %bb.100:                              ;   in Loop: Header=BB233_99 Depth=2
                                        ; implicit-def: $sgpr18_sgpr19
                                        ; implicit-def: $sgpr22_sgpr23
	s_mov_b64 s[24:25], s[20:21]
	s_andn2_b64 vcc, exec, s[62:63]
	s_cbranch_vccnz .LBB233_99
	s_branch .LBB233_96
.LBB233_101:
	s_or_b64 exec, exec, s[8:9]
	s_cmp_lt_i32 s52, 2
	s_cselect_b64 s[12:13], -1, 0
	s_mov_b64 s[66:67], 0
	s_and_b64 vcc, exec, s[12:13]
	s_barrier
	s_cbranch_vccnz .LBB233_109
; %bb.102:
	s_add_i32 s22, s52, -1
	v_cmp_gt_u32_e32 vcc, s22, v41
	s_mov_b64 s[12:13], -1
	s_mov_b64 s[8:9], 0
	s_and_saveexec_b64 s[10:11], vcc
	s_cbranch_execz .LBB233_111
; %bb.103:
	s_add_u32 s23, s46, 8
	s_addc_u32 s24, s47, 0
	s_mov_b64 s[12:13], 0
	v_mov_b32_e32 v1, 0
	v_mov_b32_e32 v4, s47
	;; [unrolled: 1-line block ×3, first 2 shown]
                                        ; implicit-def: $sgpr14_sgpr15
	s_branch .LBB233_105
.LBB233_104:                            ;   in Loop: Header=BB233_105 Depth=1
	s_or_b64 exec, exec, s[20:21]
	s_xor_b64 s[16:17], s[16:17], -1
	s_and_b64 s[8:9], exec, s[8:9]
	s_or_b64 s[12:13], s[8:9], s[12:13]
	s_andn2_b64 s[8:9], s[14:15], exec
	s_and_b64 s[14:15], s[16:17], exec
	s_or_b64 s[14:15], s[8:9], s[14:15]
	s_andn2_b64 exec, exec, s[12:13]
	s_cbranch_execz .LBB233_110
.LBB233_105:                            ; =>This Inner Loop Header: Depth=1
	v_lshlrev_b64 v[2:3], 3, v[0:1]
	v_add_co_u32_e32 v2, vcc, s46, v2
	v_addc_co_u32_e32 v3, vcc, v4, v3, vcc
	global_load_dwordx2 v[2:3], v[2:3], off
                                        ; implicit-def: $sgpr16_sgpr17
	s_waitcnt vmcnt(0)
	v_cmp_u_f64_e64 s[18:19], v[2:3], v[2:3]
	v_cmp_o_f64_e32 vcc, v[2:3], v[2:3]
	s_and_saveexec_b64 s[20:21], vcc
	s_cbranch_execz .LBB233_107
; %bb.106:                              ;   in Loop: Header=BB233_105 Depth=1
	v_ashrrev_i32_e32 v7, 31, v0
	v_mov_b32_e32 v6, v0
	v_lshlrev_b64 v[6:7], 3, v[6:7]
	v_mov_b32_e32 v5, s24
	v_add_co_u32_e32 v6, vcc, s23, v6
	v_addc_co_u32_e32 v7, vcc, v5, v7, vcc
	global_load_dwordx2 v[6:7], v[6:7], off
	s_andn2_b64 s[18:19], s[18:19], exec
	s_mov_b64 s[16:17], -1
	s_waitcnt vmcnt(0)
	v_cmp_u_f64_e32 vcc, v[6:7], v[6:7]
	v_cmp_ge_f64_e64 s[8:9], v[2:3], v[6:7]
	s_or_b64 s[8:9], vcc, s[8:9]
	s_and_b64 s[8:9], s[8:9], exec
	s_or_b64 s[18:19], s[18:19], s[8:9]
.LBB233_107:                            ;   in Loop: Header=BB233_105 Depth=1
	s_or_b64 exec, exec, s[20:21]
	s_mov_b64 s[8:9], -1
	s_and_saveexec_b64 s[20:21], s[18:19]
	s_cbranch_execz .LBB233_104
; %bb.108:                              ;   in Loop: Header=BB233_105 Depth=1
	v_add_u32_e32 v0, s58, v0
	v_cmp_le_u32_e32 vcc, s22, v0
	s_andn2_b64 s[16:17], s[16:17], exec
	s_orn2_b64 s[8:9], vcc, exec
	s_branch .LBB233_104
.LBB233_109:
	s_mov_b64 s[8:9], 0
	s_branch .LBB233_112
.LBB233_110:
	s_or_b64 exec, exec, s[12:13]
	s_mov_b64 s[8:9], exec
	s_orn2_b64 s[12:13], s[14:15], exec
.LBB233_111:
	s_or_b64 exec, exec, s[10:11]
.LBB233_112:
	s_and_saveexec_b64 s[10:11], s[12:13]
	s_cbranch_execz .LBB233_114
; %bb.113:
	s_mov_b64 s[66:67], exec
	s_barrier
	s_andn2_b64 s[8:9], s[8:9], exec
.LBB233_114:
	s_or_b64 exec, exec, s[10:11]
	s_mov_b64 s[62:63], 0
	s_and_saveexec_b64 s[68:69], s[8:9]
	s_cbranch_execz .LBB233_116
; %bb.115:
	s_add_u32 s8, s6, 0x90
	s_addc_u32 s9, s7, 0
	s_getpc_b64 s[10:11]
	s_add_u32 s10, s10, __PRETTY_FUNCTION__._ZN9rocsolver6v33100L21shell_sort_descendingIdiEEvT0_PT_PS2_@rel32@lo+4
	s_addc_u32 s11, s11, __PRETTY_FUNCTION__._ZN9rocsolver6v33100L21shell_sort_descendingIdiEEvT0_PT_PS2_@rel32@hi+12
	v_mov_b32_e32 v0, s10
	v_mov_b32_e32 v1, s11
	s_getpc_b64 s[12:13]
	s_add_u32 s12, s12, __assert_fail@rel32@lo+4
	s_addc_u32 s13, s13, __assert_fail@rel32@hi+12
	s_mov_b64 s[62:63], s[6:7]
	s_mov_b64 s[70:71], s[4:5]
	s_swappc_b64 s[30:31], s[12:13]
	s_mov_b64 s[4:5], s[70:71]
	s_mov_b64 s[6:7], s[62:63]
	s_mov_b64 s[62:63], exec
.LBB233_116:
	s_or_b64 exec, exec, s[68:69]
.LBB233_117:
	s_and_saveexec_b64 s[18:19], s[66:67]
	s_cbranch_execz .LBB233_141
; %bb.118:
	s_andn2_b64 vcc, exec, s[64:65]
	s_barrier
	s_cbranch_vccnz .LBB233_140
; %bb.119:
	s_load_dwordx2 s[10:11], s[4:5], 0x4
	s_mov_b32 s21, 0
	v_cmp_eq_u32_e64 s[4:5], 0, v41
	v_cmp_gt_u32_e64 s[8:9], s53, v41
	s_mov_b32 s72, s39
	s_waitcnt lgkmcnt(0)
	s_lshr_b32 s10, s10, 16
	s_mul_i32 s10, s10, s11
	s_cmp_gt_i32 s53, 0
	v_mul_lo_u32 v0, s10, v42
	s_cselect_b64 s[14:15], -1, 0
	s_ashr_i32 s33, s39, 31
	v_mad_u32_u24 v0, v43, s11, v0
	s_cmp_gt_i32 s54, 0
	v_add_lshl_u32 v2, v0, v44, 4
	s_cselect_b64 s[16:17], -1, 0
	v_cndmask_b32_e64 v0, 0, 1, s[14:15]
	s_cmp_gt_i32 s55, 0
	v_cmp_ne_u32_e64 s[14:15], 1, v0
	v_cndmask_b32_e64 v0, 0, 1, s[16:17]
	v_add_u32_e32 v3, 0x4000, v2
	v_cmp_gt_u32_e64 s[10:11], s54, v41
	s_mov_b32 s73, s37
	s_cselect_b64 s[22:23], -1, 0
	v_cmp_gt_u32_e64 s[12:13], s55, v41
	s_ashr_i32 s74, s59, 31
	s_mov_b32 s75, s59
	v_mov_b32_e32 v1, 0
	v_cmp_ne_u32_e64 s[16:17], 1, v0
	s_mov_b32 s20, s21
	s_branch .LBB233_121
.LBB233_120:                            ;   in Loop: Header=BB233_121 Depth=1
	s_add_i32 s20, s20, 1
	s_cmp_eq_u32 s20, s52
	s_cbranch_scc1 .LBB233_140
.LBB233_121:                            ; =>This Loop Header: Depth=1
                                        ;     Child Loop BB233_124 Depth 2
                                        ;       Child Loop BB233_129 Depth 3
                                        ;       Child Loop BB233_134 Depth 3
	;; [unrolled: 1-line block ×3, first 2 shown]
	s_lshl_b64 s[24:25], s[20:21], 2
	s_add_u32 s24, s48, s24
	s_addc_u32 s25, s49, s25
	global_load_dword v0, v1, s[24:25]
	s_waitcnt vmcnt(0)
	v_cmp_eq_u32_e32 vcc, s20, v0
	v_readfirstlane_b32 s30, v0
	s_cbranch_vccz .LBB233_124
	s_branch .LBB233_120
.LBB233_122:                            ;   in Loop: Header=BB233_124 Depth=2
	s_or_b64 exec, exec, s[64:65]
	s_waitcnt lgkmcnt(0)
	s_barrier
.LBB233_123:                            ;   in Loop: Header=BB233_124 Depth=2
	global_load_dword v0, v1, s[24:25]
	s_waitcnt vmcnt(0)
	v_cmp_ne_u32_e32 vcc, s20, v0
	v_readfirstlane_b32 s30, v0
	s_cbranch_vccz .LBB233_120
.LBB233_124:                            ;   Parent Loop BB233_121 Depth=1
                                        ; =>  This Loop Header: Depth=2
                                        ;       Child Loop BB233_129 Depth 3
                                        ;       Child Loop BB233_134 Depth 3
	;; [unrolled: 1-line block ×3, first 2 shown]
	s_ashr_i32 s31, s30, 31
	s_lshl_b64 s[50:51], s[30:31], 2
	s_add_u32 s64, s48, s50
	s_addc_u32 s65, s49, s51
	global_load_dword v0, v1, s[64:65]
	s_barrier
	s_waitcnt vmcnt(0)
	v_readfirstlane_b32 s50, v0
	s_and_saveexec_b64 s[66:67], s[4:5]
	s_cbranch_execz .LBB233_126
; %bb.125:                              ;   in Loop: Header=BB233_124 Depth=2
	v_mov_b32_e32 v0, s30
	global_store_dword v1, v0, s[64:65]
	v_mov_b32_e32 v0, s50
	global_store_dword v1, v0, s[24:25]
.LBB233_126:                            ;   in Loop: Header=BB233_124 Depth=2
	s_or_b64 exec, exec, s[66:67]
	s_and_b64 vcc, exec, s[14:15]
	s_barrier
	s_cbranch_vccnz .LBB233_131
; %bb.127:                              ;   in Loop: Header=BB233_124 Depth=2
	s_and_saveexec_b64 s[64:65], s[8:9]
	s_cbranch_execz .LBB233_130
; %bb.128:                              ;   in Loop: Header=BB233_124 Depth=2
	s_ashr_i32 s51, s50, 31
	s_mov_b64 s[66:67], 0
	s_lshl_b64 s[68:69], s[30:31], 4
	s_lshl_b64 s[70:71], s[50:51], 4
	v_mov_b32_e32 v0, v41
.LBB233_129:                            ;   Parent Loop BB233_121 Depth=1
                                        ;     Parent Loop BB233_124 Depth=2
                                        ; =>    This Inner Loop Header: Depth=3
	v_mad_u64_u32 v[4:5], s[76:77], v0, s72, 0
	v_mov_b32_e32 v6, v5
	v_mad_u64_u32 v[6:7], s[76:77], v0, s33, v[6:7]
	v_mov_b32_e32 v5, v6
	v_lshlrev_b64 v[4:5], 4, v[4:5]
	v_mov_b32_e32 v8, s35
	v_add_co_u32_e32 v4, vcc, s34, v4
	v_addc_co_u32_e32 v5, vcc, v8, v5, vcc
	v_mov_b32_e32 v9, s69
	v_add_co_u32_e32 v12, vcc, s68, v4
	v_addc_co_u32_e32 v13, vcc, v5, v9, vcc
	;; [unrolled: 3-line block ×3, first 2 shown]
	flat_load_dwordx4 v[4:7], v[14:15]
	flat_load_dwordx4 v[8:11], v[12:13]
	v_add_u32_e32 v0, s58, v0
	v_cmp_le_u32_e32 vcc, s53, v0
	s_or_b64 s[66:67], vcc, s[66:67]
	s_waitcnt vmcnt(0) lgkmcnt(0)
	flat_store_dwordx4 v[12:13], v[4:7]
	flat_store_dwordx4 v[14:15], v[8:11]
	s_andn2_b64 exec, exec, s[66:67]
	s_cbranch_execnz .LBB233_129
.LBB233_130:                            ;   in Loop: Header=BB233_124 Depth=2
	s_or_b64 exec, exec, s[64:65]
	s_waitcnt lgkmcnt(0)
	s_barrier
.LBB233_131:                            ;   in Loop: Header=BB233_124 Depth=2
	s_and_b64 vcc, exec, s[16:17]
	s_cbranch_vccnz .LBB233_136
; %bb.132:                              ;   in Loop: Header=BB233_124 Depth=2
	s_and_saveexec_b64 s[64:65], s[10:11]
	s_cbranch_execz .LBB233_135
; %bb.133:                              ;   in Loop: Header=BB233_124 Depth=2
	s_mul_hi_i32 s67, s30, s73
	s_mul_i32 s66, s30, s73
	s_lshl_b64 s[66:67], s[66:67], 4
	s_add_u32 s51, s28, s66
	s_addc_u32 s69, s29, s67
	s_mul_hi_i32 s67, s50, s73
	s_mul_i32 s66, s50, s73
	s_lshl_b64 s[66:67], s[66:67], 4
	s_add_u32 s68, s28, s66
	s_addc_u32 s70, s29, s67
	s_mov_b64 s[66:67], 0
	v_mov_b32_e32 v4, s69
	v_mov_b32_e32 v5, s70
	;; [unrolled: 1-line block ×3, first 2 shown]
.LBB233_134:                            ;   Parent Loop BB233_121 Depth=1
                                        ;     Parent Loop BB233_124 Depth=2
                                        ; =>    This Inner Loop Header: Depth=3
	v_lshlrev_b64 v[10:11], 4, v[0:1]
	v_add_co_u32_e32 v12, vcc, s51, v10
	v_addc_co_u32_e32 v13, vcc, v4, v11, vcc
	flat_load_dwordx4 v[6:9], v[12:13]
	v_add_co_u32_e32 v10, vcc, s68, v10
	v_addc_co_u32_e32 v11, vcc, v5, v11, vcc
	v_add_u32_e32 v0, s58, v0
	v_cmp_le_u32_e32 vcc, s54, v0
	s_or_b64 s[66:67], vcc, s[66:67]
	s_waitcnt vmcnt(0) lgkmcnt(0)
	ds_write2_b64 v2, v[6:7], v[8:9] offset1:1
	flat_load_dwordx4 v[6:9], v[10:11]
	s_waitcnt vmcnt(0) lgkmcnt(0)
	flat_store_dwordx4 v[12:13], v[6:9]
	ds_read2_b64 v[6:9], v2 offset1:1
	s_waitcnt lgkmcnt(0)
	flat_store_dwordx4 v[10:11], v[6:9]
	s_andn2_b64 exec, exec, s[66:67]
	s_cbranch_execnz .LBB233_134
.LBB233_135:                            ;   in Loop: Header=BB233_124 Depth=2
	s_or_b64 exec, exec, s[64:65]
	s_waitcnt lgkmcnt(0)
	s_barrier
.LBB233_136:                            ;   in Loop: Header=BB233_124 Depth=2
	s_andn2_b64 vcc, exec, s[22:23]
	s_cbranch_vccnz .LBB233_123
; %bb.137:                              ;   in Loop: Header=BB233_124 Depth=2
	s_and_saveexec_b64 s[64:65], s[12:13]
	s_cbranch_execz .LBB233_122
; %bb.138:                              ;   in Loop: Header=BB233_124 Depth=2
	s_ashr_i32 s51, s50, 31
	s_mov_b64 s[66:67], 0
	s_lshl_b64 s[50:51], s[50:51], 4
	v_mov_b32_e32 v0, v41
.LBB233_139:                            ;   Parent Loop BB233_121 Depth=1
                                        ;     Parent Loop BB233_124 Depth=2
                                        ; =>    This Inner Loop Header: Depth=3
	v_mad_u64_u32 v[4:5], s[68:69], v0, s75, 0
	v_mov_b32_e32 v6, v5
	v_mad_u64_u32 v[6:7], s[70:71], v0, s74, v[6:7]
	v_mov_b32_e32 v5, v6
	v_lshlrev_b64 v[4:5], 4, v[4:5]
	v_mov_b32_e32 v8, s61
	v_add_co_u32_e32 v10, vcc, s60, v4
	s_lshl_b64 s[68:69], s[30:31], 4
	v_addc_co_u32_e32 v11, vcc, v8, v5, vcc
	v_mov_b32_e32 v9, s69
	v_add_co_u32_e32 v8, vcc, s68, v10
	v_addc_co_u32_e32 v9, vcc, v11, v9, vcc
	flat_load_dwordx4 v[4:7], v[8:9]
	v_mov_b32_e32 v12, s51
	v_add_co_u32_e32 v10, vcc, s50, v10
	v_addc_co_u32_e32 v11, vcc, v11, v12, vcc
	v_add_u32_e32 v0, s58, v0
	v_cmp_le_u32_e32 vcc, s55, v0
	s_or_b64 s[66:67], vcc, s[66:67]
	s_waitcnt vmcnt(0) lgkmcnt(0)
	ds_write2_b64 v3, v[4:5], v[6:7] offset1:1
	flat_load_dwordx4 v[4:7], v[10:11]
	s_waitcnt vmcnt(0) lgkmcnt(0)
	flat_store_dwordx4 v[8:9], v[4:7]
	ds_read2_b64 v[4:7], v3 offset1:1
	s_waitcnt lgkmcnt(0)
	flat_store_dwordx4 v[10:11], v[4:7]
	s_andn2_b64 exec, exec, s[66:67]
	s_cbranch_execnz .LBB233_139
	s_branch .LBB233_122
.LBB233_140:
	s_mov_b64 s[50:51], exec
.LBB233_141:
	s_or_b64 exec, exec, s[18:19]
	s_branch .LBB233_228
.LBB233_142:
	s_mov_b64 s[50:51], -1
	s_and_b64 vcc, exec, s[42:43]
	s_cbranch_vccz .LBB233_228
; %bb.143:
	v_or3_b32 v0, v43, v44, v42
	v_cmp_eq_u32_e32 vcc, 0, v0
	s_barrier
	s_barrier
	s_and_saveexec_b64 s[4:5], vcc
	s_cbranch_execz .LBB233_212
; %bb.144:
	s_cmpk_lt_u32 s52, 0x2be
	s_cbranch_scc1 .LBB233_151
; %bb.145:
	s_mov_b64 s[8:9], 0x2bd
	s_mov_b32 s11, 0
	v_mov_b32_e32 v4, 0
	v_mov_b32_e32 v5, 0x1000
	s_mov_b64 s[12:13], s[46:47]
	s_branch .LBB233_147
.LBB233_146:                            ;   in Loop: Header=BB233_147 Depth=1
	s_lshl_b64 s[14:15], s[18:19], 3
	s_add_u32 s14, s46, s14
	s_addc_u32 s15, s47, s15
	s_add_u32 s8, s8, 1
	s_addc_u32 s9, s9, 0
	;; [unrolled: 2-line block ×3, first 2 shown]
	s_cmp_eq_u32 s8, s52
	global_store_dwordx2 v4, v[0:1], s[14:15]
	s_cbranch_scc1 .LBB233_151
.LBB233_147:                            ; =>This Loop Header: Depth=1
                                        ;     Child Loop BB233_149 Depth 2
	s_mov_b32 s10, s8
	s_lshl_b64 s[14:15], s[10:11], 3
	s_add_u32 s14, s46, s14
	s_addc_u32 s15, s47, s15
	global_load_dwordx2 v[0:1], v4, s[14:15]
	s_mov_b64 s[14:15], s[12:13]
	s_mov_b64 s[16:17], s[8:9]
	s_branch .LBB233_149
.LBB233_148:                            ;   in Loop: Header=BB233_149 Depth=2
	s_add_u32 s18, s16, 0xfffffd43
	s_addc_u32 s19, s17, -1
	global_store_dwordx2 v5, v[2:3], s[14:15] offset:1512
	s_add_u32 s14, s14, 0xffffea18
	s_addc_u32 s15, s15, -1
	s_cmpk_lt_i32 s16, 0x57a
	s_cselect_b64 s[20:21], -1, 0
	s_mov_b64 s[16:17], s[18:19]
	s_andn2_b64 vcc, exec, s[20:21]
	s_cbranch_vccz .LBB233_146
.LBB233_149:                            ;   Parent Loop BB233_147 Depth=1
                                        ; =>  This Inner Loop Header: Depth=2
	global_load_dwordx2 v[2:3], v4, s[14:15]
	s_mov_b64 s[20:21], -1
	s_waitcnt vmcnt(0)
	v_cmp_nlt_f64_e32 vcc, v[2:3], v[0:1]
	s_cbranch_vccz .LBB233_148
; %bb.150:                              ;   in Loop: Header=BB233_149 Depth=2
                                        ; implicit-def: $sgpr14_sgpr15
	s_mov_b64 s[18:19], s[16:17]
	s_andn2_b64 vcc, exec, s[20:21]
	s_cbranch_vccnz .LBB233_149
	s_branch .LBB233_146
.LBB233_151:
	s_cmpk_lt_i32 s52, 0x12e
	s_cbranch_scc1 .LBB233_160
; %bb.152:
	s_mov_b64 s[8:9], 0x12d
	s_mov_b32 s11, 0
	v_mov_b32_e32 v4, 0
	s_mov_b64 s[12:13], s[46:47]
	s_branch .LBB233_154
.LBB233_153:                            ;   in Loop: Header=BB233_154 Depth=1
	s_lshl_b64 s[14:15], s[14:15], 3
	s_add_u32 s14, s46, s14
	s_addc_u32 s15, s47, s15
	s_add_u32 s8, s8, 1
	s_addc_u32 s9, s9, 0
	;; [unrolled: 2-line block ×3, first 2 shown]
	s_cmp_lg_u32 s8, s52
	global_store_dwordx2 v4, v[0:1], s[14:15]
	s_cbranch_scc0 .LBB233_160
.LBB233_154:                            ; =>This Loop Header: Depth=1
                                        ;     Child Loop BB233_156 Depth 2
	s_mov_b32 s10, s8
	s_lshl_b64 s[14:15], s[10:11], 3
	s_add_u32 s14, s46, s14
	s_addc_u32 s15, s47, s15
	global_load_dwordx2 v[0:1], v4, s[14:15]
	s_mov_b64 s[16:17], s[12:13]
	s_mov_b64 s[14:15], s[8:9]
	s_branch .LBB233_156
.LBB233_155:                            ;   in Loop: Header=BB233_156 Depth=2
	s_add_u32 s18, s14, 0xfffffed3
	s_addc_u32 s19, s15, -1
	global_store_dwordx2 v4, v[2:3], s[16:17] offset:2408
	s_add_u32 s16, s16, 0xfffff698
	s_addc_u32 s17, s17, -1
	s_cmpk_lt_i32 s14, 0x25a
	s_mov_b64 s[20:21], 0
	s_cselect_b64 s[22:23], -1, 0
	s_mov_b64 s[14:15], s[18:19]
	s_andn2_b64 vcc, exec, s[22:23]
	s_cbranch_vccz .LBB233_158
.LBB233_156:                            ;   Parent Loop BB233_154 Depth=1
                                        ; =>  This Inner Loop Header: Depth=2
	global_load_dwordx2 v[2:3], v4, s[16:17]
	s_mov_b64 s[20:21], -1
	s_waitcnt vmcnt(0)
	v_cmp_nlt_f64_e32 vcc, v[2:3], v[0:1]
	s_cbranch_vccz .LBB233_155
; %bb.157:                              ;   in Loop: Header=BB233_154 Depth=1
                                        ; implicit-def: $sgpr16_sgpr17
                                        ; implicit-def: $sgpr18_sgpr19
.LBB233_158:                            ;   in Loop: Header=BB233_154 Depth=1
	s_andn2_b64 vcc, exec, s[20:21]
	s_cbranch_vccz .LBB233_153
; %bb.159:                              ;   in Loop: Header=BB233_154 Depth=1
	s_bfe_i64 s[14:15], s[18:19], 0x200000
	s_branch .LBB233_153
.LBB233_160:
	s_cmpk_lt_i32 s52, 0x85
	s_cbranch_scc1 .LBB233_169
; %bb.161:
	s_mov_b64 s[8:9], 0x84
	s_mov_b32 s11, 0
	v_mov_b32_e32 v4, 0
	s_mov_b64 s[12:13], s[46:47]
	s_branch .LBB233_163
.LBB233_162:                            ;   in Loop: Header=BB233_163 Depth=1
	s_lshl_b64 s[14:15], s[14:15], 3
	s_add_u32 s14, s46, s14
	s_addc_u32 s15, s47, s15
	s_add_u32 s8, s8, 1
	s_addc_u32 s9, s9, 0
	;; [unrolled: 2-line block ×3, first 2 shown]
	s_cmp_lg_u32 s8, s52
	global_store_dwordx2 v4, v[0:1], s[14:15]
	s_cbranch_scc0 .LBB233_169
.LBB233_163:                            ; =>This Loop Header: Depth=1
                                        ;     Child Loop BB233_165 Depth 2
	s_mov_b32 s10, s8
	s_lshl_b64 s[14:15], s[10:11], 3
	s_add_u32 s14, s46, s14
	s_addc_u32 s15, s47, s15
	global_load_dwordx2 v[0:1], v4, s[14:15]
	s_mov_b64 s[16:17], s[12:13]
	s_mov_b64 s[14:15], s[8:9]
	s_branch .LBB233_165
.LBB233_164:                            ;   in Loop: Header=BB233_165 Depth=2
	s_add_u32 s18, s14, 0xffffff7c
	s_addc_u32 s19, s15, -1
	global_store_dwordx2 v4, v[2:3], s[16:17] offset:1056
	s_add_u32 s16, s16, 0xfffffbe0
	s_addc_u32 s17, s17, -1
	s_cmpk_lt_i32 s14, 0x108
	s_mov_b64 s[20:21], 0
	s_cselect_b64 s[22:23], -1, 0
	s_mov_b64 s[14:15], s[18:19]
	s_andn2_b64 vcc, exec, s[22:23]
	s_cbranch_vccz .LBB233_167
.LBB233_165:                            ;   Parent Loop BB233_163 Depth=1
                                        ; =>  This Inner Loop Header: Depth=2
	global_load_dwordx2 v[2:3], v4, s[16:17]
	s_mov_b64 s[20:21], -1
	s_waitcnt vmcnt(0)
	v_cmp_nlt_f64_e32 vcc, v[2:3], v[0:1]
	s_cbranch_vccz .LBB233_164
; %bb.166:                              ;   in Loop: Header=BB233_163 Depth=1
                                        ; implicit-def: $sgpr16_sgpr17
                                        ; implicit-def: $sgpr18_sgpr19
.LBB233_167:                            ;   in Loop: Header=BB233_163 Depth=1
	s_andn2_b64 vcc, exec, s[20:21]
	s_cbranch_vccz .LBB233_162
; %bb.168:                              ;   in Loop: Header=BB233_163 Depth=1
	s_bfe_i64 s[14:15], s[18:19], 0x200000
	s_branch .LBB233_162
.LBB233_169:
	s_cmp_lt_i32 s52, 58
	s_cbranch_scc1 .LBB233_178
; %bb.170:
	s_mov_b64 s[8:9], 57
	s_mov_b32 s11, 0
	v_mov_b32_e32 v4, 0
	s_mov_b64 s[12:13], s[46:47]
	s_branch .LBB233_172
.LBB233_171:                            ;   in Loop: Header=BB233_172 Depth=1
	s_lshl_b64 s[14:15], s[14:15], 3
	s_add_u32 s14, s46, s14
	s_addc_u32 s15, s47, s15
	s_add_u32 s8, s8, 1
	s_addc_u32 s9, s9, 0
	;; [unrolled: 2-line block ×3, first 2 shown]
	s_cmp_lg_u32 s8, s52
	global_store_dwordx2 v4, v[0:1], s[14:15]
	s_cbranch_scc0 .LBB233_178
.LBB233_172:                            ; =>This Loop Header: Depth=1
                                        ;     Child Loop BB233_174 Depth 2
	s_mov_b32 s10, s8
	s_lshl_b64 s[14:15], s[10:11], 3
	s_add_u32 s14, s46, s14
	s_addc_u32 s15, s47, s15
	global_load_dwordx2 v[0:1], v4, s[14:15]
	s_mov_b64 s[16:17], s[12:13]
	s_mov_b64 s[14:15], s[8:9]
	s_branch .LBB233_174
.LBB233_173:                            ;   in Loop: Header=BB233_174 Depth=2
	s_add_u32 s18, s14, 0xffffffc7
	s_addc_u32 s19, s15, -1
	global_store_dwordx2 v4, v[2:3], s[16:17] offset:456
	s_add_u32 s16, s16, 0xfffffe38
	s_addc_u32 s17, s17, -1
	s_cmpk_lt_i32 s14, 0x72
	s_mov_b64 s[20:21], 0
	s_cselect_b64 s[22:23], -1, 0
	s_mov_b64 s[14:15], s[18:19]
	s_andn2_b64 vcc, exec, s[22:23]
	s_cbranch_vccz .LBB233_176
.LBB233_174:                            ;   Parent Loop BB233_172 Depth=1
                                        ; =>  This Inner Loop Header: Depth=2
	global_load_dwordx2 v[2:3], v4, s[16:17]
	s_mov_b64 s[20:21], -1
	s_waitcnt vmcnt(0)
	v_cmp_nlt_f64_e32 vcc, v[2:3], v[0:1]
	s_cbranch_vccz .LBB233_173
; %bb.175:                              ;   in Loop: Header=BB233_172 Depth=1
                                        ; implicit-def: $sgpr16_sgpr17
                                        ; implicit-def: $sgpr18_sgpr19
.LBB233_176:                            ;   in Loop: Header=BB233_172 Depth=1
	s_andn2_b64 vcc, exec, s[20:21]
	s_cbranch_vccz .LBB233_171
; %bb.177:                              ;   in Loop: Header=BB233_172 Depth=1
	s_bfe_i64 s[14:15], s[18:19], 0x200000
	s_branch .LBB233_171
.LBB233_178:
	s_cmp_lt_i32 s52, 24
	s_cbranch_scc1 .LBB233_187
; %bb.179:
	s_mov_b64 s[8:9], 23
	s_mov_b32 s11, 0
	v_mov_b32_e32 v4, 0
	s_mov_b64 s[12:13], s[46:47]
	s_branch .LBB233_181
.LBB233_180:                            ;   in Loop: Header=BB233_181 Depth=1
	s_lshl_b64 s[14:15], s[14:15], 3
	s_add_u32 s14, s46, s14
	s_addc_u32 s15, s47, s15
	s_add_u32 s8, s8, 1
	s_addc_u32 s9, s9, 0
	;; [unrolled: 2-line block ×3, first 2 shown]
	s_cmp_lg_u32 s8, s52
	global_store_dwordx2 v4, v[0:1], s[14:15]
	s_cbranch_scc0 .LBB233_187
.LBB233_181:                            ; =>This Loop Header: Depth=1
                                        ;     Child Loop BB233_183 Depth 2
	s_mov_b32 s10, s8
	s_lshl_b64 s[14:15], s[10:11], 3
	s_add_u32 s14, s46, s14
	s_addc_u32 s15, s47, s15
	global_load_dwordx2 v[0:1], v4, s[14:15]
	s_mov_b64 s[16:17], s[12:13]
	s_mov_b64 s[14:15], s[8:9]
	s_branch .LBB233_183
.LBB233_182:                            ;   in Loop: Header=BB233_183 Depth=2
	s_add_u32 s18, s14, 0xffffffe9
	s_addc_u32 s19, s15, -1
	global_store_dwordx2 v4, v[2:3], s[16:17] offset:184
	s_add_u32 s16, s16, 0xffffff48
	s_addc_u32 s17, s17, -1
	s_cmp_lt_i32 s14, 46
	s_mov_b64 s[20:21], 0
	s_cselect_b64 s[22:23], -1, 0
	s_mov_b64 s[14:15], s[18:19]
	s_andn2_b64 vcc, exec, s[22:23]
	s_cbranch_vccz .LBB233_185
.LBB233_183:                            ;   Parent Loop BB233_181 Depth=1
                                        ; =>  This Inner Loop Header: Depth=2
	global_load_dwordx2 v[2:3], v4, s[16:17]
	s_mov_b64 s[20:21], -1
	s_waitcnt vmcnt(0)
	v_cmp_nlt_f64_e32 vcc, v[2:3], v[0:1]
	s_cbranch_vccz .LBB233_182
; %bb.184:                              ;   in Loop: Header=BB233_181 Depth=1
                                        ; implicit-def: $sgpr16_sgpr17
                                        ; implicit-def: $sgpr18_sgpr19
.LBB233_185:                            ;   in Loop: Header=BB233_181 Depth=1
	s_andn2_b64 vcc, exec, s[20:21]
	s_cbranch_vccz .LBB233_180
; %bb.186:                              ;   in Loop: Header=BB233_181 Depth=1
	s_bfe_i64 s[14:15], s[18:19], 0x200000
	s_branch .LBB233_180
.LBB233_187:
	s_cmp_lt_i32 s52, 11
	s_cbranch_scc1 .LBB233_196
; %bb.188:
	s_mov_b64 s[8:9], 10
	s_mov_b32 s11, 0
	v_mov_b32_e32 v4, 0
	s_mov_b64 s[12:13], s[46:47]
	s_branch .LBB233_190
.LBB233_189:                            ;   in Loop: Header=BB233_190 Depth=1
	s_lshl_b64 s[14:15], s[14:15], 3
	s_add_u32 s14, s46, s14
	s_addc_u32 s15, s47, s15
	s_add_u32 s8, s8, 1
	s_addc_u32 s9, s9, 0
	;; [unrolled: 2-line block ×3, first 2 shown]
	s_cmp_lg_u32 s8, s52
	global_store_dwordx2 v4, v[0:1], s[14:15]
	s_cbranch_scc0 .LBB233_196
.LBB233_190:                            ; =>This Loop Header: Depth=1
                                        ;     Child Loop BB233_192 Depth 2
	s_mov_b32 s10, s8
	s_lshl_b64 s[14:15], s[10:11], 3
	s_add_u32 s14, s46, s14
	s_addc_u32 s15, s47, s15
	global_load_dwordx2 v[0:1], v4, s[14:15]
	s_mov_b64 s[16:17], s[12:13]
	s_mov_b64 s[14:15], s[8:9]
	s_branch .LBB233_192
.LBB233_191:                            ;   in Loop: Header=BB233_192 Depth=2
	s_add_u32 s18, s14, -10
	s_addc_u32 s19, s15, -1
	global_store_dwordx2 v4, v[2:3], s[16:17] offset:80
	s_add_u32 s16, s16, 0xffffffb0
	s_addc_u32 s17, s17, -1
	s_cmp_lt_i32 s14, 20
	s_mov_b64 s[20:21], 0
	s_cselect_b64 s[22:23], -1, 0
	s_mov_b64 s[14:15], s[18:19]
	s_andn2_b64 vcc, exec, s[22:23]
	s_cbranch_vccz .LBB233_194
.LBB233_192:                            ;   Parent Loop BB233_190 Depth=1
                                        ; =>  This Inner Loop Header: Depth=2
	global_load_dwordx2 v[2:3], v4, s[16:17]
	s_mov_b64 s[20:21], -1
	s_waitcnt vmcnt(0)
	v_cmp_nlt_f64_e32 vcc, v[2:3], v[0:1]
	s_cbranch_vccz .LBB233_191
; %bb.193:                              ;   in Loop: Header=BB233_190 Depth=1
                                        ; implicit-def: $sgpr16_sgpr17
                                        ; implicit-def: $sgpr18_sgpr19
.LBB233_194:                            ;   in Loop: Header=BB233_190 Depth=1
	s_andn2_b64 vcc, exec, s[20:21]
	s_cbranch_vccz .LBB233_189
; %bb.195:                              ;   in Loop: Header=BB233_190 Depth=1
	s_bfe_i64 s[14:15], s[18:19], 0x200000
	s_branch .LBB233_189
.LBB233_196:
	s_cmp_lt_i32 s52, 5
	s_cbranch_scc1 .LBB233_205
; %bb.197:
	s_add_u32 s8, s56, s44
	s_addc_u32 s9, s57, s45
	s_add_u32 s8, s8, 32
	s_addc_u32 s9, s9, 0
	s_mov_b64 s[10:11], 4
	s_mov_b32 s13, 0
	v_mov_b32_e32 v4, 0
	s_branch .LBB233_199
.LBB233_198:                            ;   in Loop: Header=BB233_199 Depth=1
	s_lshl_b64 s[14:15], s[14:15], 3
	s_add_u32 s14, s46, s14
	s_addc_u32 s15, s47, s15
	s_add_u32 s10, s10, 1
	s_addc_u32 s11, s11, 0
	;; [unrolled: 2-line block ×3, first 2 shown]
	s_cmp_lg_u32 s10, s52
	global_store_dwordx2 v4, v[0:1], s[14:15]
	s_cbranch_scc0 .LBB233_205
.LBB233_199:                            ; =>This Loop Header: Depth=1
                                        ;     Child Loop BB233_201 Depth 2
	s_mov_b32 s12, s10
	s_lshl_b64 s[14:15], s[12:13], 3
	s_add_u32 s14, s46, s14
	s_addc_u32 s15, s47, s15
	global_load_dwordx2 v[0:1], v4, s[14:15]
	s_mov_b64 s[16:17], s[8:9]
	s_mov_b64 s[14:15], s[10:11]
	s_branch .LBB233_201
.LBB233_200:                            ;   in Loop: Header=BB233_201 Depth=2
	s_add_u32 s20, s14, -4
	s_addc_u32 s21, s15, -1
	s_cmp_lt_i32 s14, 8
	global_store_dwordx2 v4, v[2:3], s[16:17]
	s_mov_b64 s[18:19], 0
	s_cselect_b64 s[24:25], -1, 0
	s_mov_b64 s[14:15], s[20:21]
	s_mov_b64 s[16:17], s[22:23]
	s_andn2_b64 vcc, exec, s[24:25]
	s_cbranch_vccz .LBB233_203
.LBB233_201:                            ;   Parent Loop BB233_199 Depth=1
                                        ; =>  This Inner Loop Header: Depth=2
	global_load_dwordx2 v[2:3], v4, s[16:17] offset:-32
	s_add_u32 s22, s16, 0xffffffe0
	s_addc_u32 s23, s17, -1
	s_mov_b64 s[18:19], -1
	s_waitcnt vmcnt(0)
	v_cmp_nlt_f64_e32 vcc, v[2:3], v[0:1]
	s_cbranch_vccz .LBB233_200
; %bb.202:                              ;   in Loop: Header=BB233_199 Depth=1
                                        ; implicit-def: $sgpr16_sgpr17
                                        ; implicit-def: $sgpr20_sgpr21
.LBB233_203:                            ;   in Loop: Header=BB233_199 Depth=1
	s_andn2_b64 vcc, exec, s[18:19]
	s_cbranch_vccz .LBB233_198
; %bb.204:                              ;   in Loop: Header=BB233_199 Depth=1
	s_bfe_i64 s[14:15], s[20:21], 0x200000
	s_branch .LBB233_198
.LBB233_205:
	s_cmp_lt_i32 s52, 2
	s_cbranch_scc1 .LBB233_212
; %bb.206:
	s_add_u32 s8, s56, s44
	s_addc_u32 s9, s57, s45
	s_add_u32 s8, s8, 8
	s_addc_u32 s9, s9, 0
	s_mov_b64 s[10:11], 1
	s_mov_b32 s13, 0
	v_mov_b32_e32 v4, 0
	s_branch .LBB233_208
.LBB233_207:                            ;   in Loop: Header=BB233_208 Depth=1
	s_lshl_b64 s[14:15], s[18:19], 3
	s_add_u32 s14, s46, s14
	s_addc_u32 s15, s47, s15
	s_add_u32 s10, s10, 1
	s_addc_u32 s11, s11, 0
	;; [unrolled: 2-line block ×3, first 2 shown]
	s_cmp_eq_u32 s10, s52
	global_store_dwordx2 v4, v[0:1], s[14:15]
	s_cbranch_scc1 .LBB233_212
.LBB233_208:                            ; =>This Loop Header: Depth=1
                                        ;     Child Loop BB233_210 Depth 2
	s_mov_b32 s12, s10
	s_lshl_b64 s[14:15], s[12:13], 3
	s_add_u32 s14, s46, s14
	s_addc_u32 s15, s47, s15
	global_load_dwordx2 v[0:1], v4, s[14:15]
	s_mov_b64 s[16:17], s[8:9]
	s_mov_b64 s[14:15], s[10:11]
	s_branch .LBB233_210
.LBB233_209:                            ;   in Loop: Header=BB233_210 Depth=2
	global_store_dwordx2 v4, v[2:3], s[16:17]
	s_add_u32 s16, s14, -1
	s_addc_u32 s17, s15, -1
	s_cmp_lt_i32 s14, 2
	s_mov_b64 s[18:19], 0
	s_cselect_b64 s[20:21], -1, 0
	s_mov_b64 s[14:15], s[16:17]
	s_mov_b64 s[16:17], s[22:23]
	s_andn2_b64 vcc, exec, s[20:21]
	s_cbranch_vccz .LBB233_207
.LBB233_210:                            ;   Parent Loop BB233_208 Depth=1
                                        ; =>  This Inner Loop Header: Depth=2
	global_load_dwordx2 v[2:3], v4, s[16:17] offset:-8
	s_add_u32 s22, s16, -8
	s_addc_u32 s23, s17, -1
	s_mov_b64 s[20:21], -1
	s_waitcnt vmcnt(0)
	v_cmp_nlt_f64_e32 vcc, v[2:3], v[0:1]
	s_cbranch_vccz .LBB233_209
; %bb.211:                              ;   in Loop: Header=BB233_210 Depth=2
                                        ; implicit-def: $sgpr16_sgpr17
	s_mov_b64 s[18:19], s[14:15]
	s_andn2_b64 vcc, exec, s[20:21]
	s_cbranch_vccnz .LBB233_210
	s_branch .LBB233_207
.LBB233_212:
	s_or_b64 exec, exec, s[4:5]
	s_cmp_lt_i32 s52, 2
	s_cselect_b64 s[10:11], -1, 0
	s_mov_b64 s[50:51], 0
	s_and_b64 vcc, exec, s[10:11]
	s_barrier
	s_cbranch_vccnz .LBB233_220
; %bb.213:
	s_add_i32 s20, s52, -1
	v_cmp_gt_u32_e32 vcc, s20, v41
	s_mov_b64 s[10:11], -1
	s_mov_b64 s[4:5], 0
	s_and_saveexec_b64 s[8:9], vcc
	s_cbranch_execz .LBB233_222
; %bb.214:
	s_add_u32 s21, s46, 8
	s_addc_u32 s22, s47, 0
	s_mov_b64 s[10:11], 0
	v_mov_b32_e32 v1, 0
	v_mov_b32_e32 v4, s47
	;; [unrolled: 1-line block ×3, first 2 shown]
                                        ; implicit-def: $sgpr12_sgpr13
	s_branch .LBB233_216
.LBB233_215:                            ;   in Loop: Header=BB233_216 Depth=1
	s_or_b64 exec, exec, s[18:19]
	s_xor_b64 s[14:15], s[14:15], -1
	s_and_b64 s[4:5], exec, s[4:5]
	s_or_b64 s[10:11], s[4:5], s[10:11]
	s_andn2_b64 s[4:5], s[12:13], exec
	s_and_b64 s[12:13], s[14:15], exec
	s_or_b64 s[12:13], s[4:5], s[12:13]
	s_andn2_b64 exec, exec, s[10:11]
	s_cbranch_execz .LBB233_221
.LBB233_216:                            ; =>This Inner Loop Header: Depth=1
	v_lshlrev_b64 v[2:3], 3, v[0:1]
	v_add_co_u32_e32 v2, vcc, s46, v2
	v_addc_co_u32_e32 v3, vcc, v4, v3, vcc
	global_load_dwordx2 v[2:3], v[2:3], off
                                        ; implicit-def: $sgpr14_sgpr15
	s_waitcnt vmcnt(0)
	v_cmp_u_f64_e64 s[16:17], v[2:3], v[2:3]
	v_cmp_o_f64_e32 vcc, v[2:3], v[2:3]
	s_and_saveexec_b64 s[18:19], vcc
	s_cbranch_execz .LBB233_218
; %bb.217:                              ;   in Loop: Header=BB233_216 Depth=1
	v_ashrrev_i32_e32 v7, 31, v0
	v_mov_b32_e32 v6, v0
	v_lshlrev_b64 v[6:7], 3, v[6:7]
	v_mov_b32_e32 v5, s22
	v_add_co_u32_e32 v6, vcc, s21, v6
	v_addc_co_u32_e32 v7, vcc, v5, v7, vcc
	global_load_dwordx2 v[6:7], v[6:7], off
	s_andn2_b64 s[16:17], s[16:17], exec
	s_mov_b64 s[14:15], -1
	s_waitcnt vmcnt(0)
	v_cmp_u_f64_e32 vcc, v[6:7], v[6:7]
	v_cmp_ge_f64_e64 s[4:5], v[2:3], v[6:7]
	s_or_b64 s[4:5], vcc, s[4:5]
	s_and_b64 s[4:5], s[4:5], exec
	s_or_b64 s[16:17], s[16:17], s[4:5]
.LBB233_218:                            ;   in Loop: Header=BB233_216 Depth=1
	s_or_b64 exec, exec, s[18:19]
	s_mov_b64 s[4:5], -1
	s_and_saveexec_b64 s[18:19], s[16:17]
	s_cbranch_execz .LBB233_215
; %bb.219:                              ;   in Loop: Header=BB233_216 Depth=1
	v_add_u32_e32 v0, s58, v0
	v_cmp_le_u32_e32 vcc, s20, v0
	s_andn2_b64 s[14:15], s[14:15], exec
	s_orn2_b64 s[4:5], vcc, exec
	s_branch .LBB233_215
.LBB233_220:
	s_mov_b64 s[4:5], 0
	s_branch .LBB233_223
.LBB233_221:
	s_or_b64 exec, exec, s[10:11]
	s_mov_b64 s[4:5], exec
	s_orn2_b64 s[10:11], s[12:13], exec
.LBB233_222:
	s_or_b64 exec, exec, s[8:9]
.LBB233_223:
	s_and_saveexec_b64 s[8:9], s[10:11]
	s_cbranch_execz .LBB233_225
; %bb.224:
	s_mov_b64 s[50:51], exec
	s_barrier
	s_andn2_b64 s[4:5], s[4:5], exec
.LBB233_225:
	s_or_b64 exec, exec, s[8:9]
	s_and_saveexec_b64 s[42:43], s[4:5]
	s_cbranch_execz .LBB233_227
; %bb.226:
	s_add_u32 s8, s6, 0x90
	s_addc_u32 s9, s7, 0
	s_getpc_b64 s[4:5]
	s_add_u32 s4, s4, __PRETTY_FUNCTION__._ZN9rocsolver6v33100L21shell_sort_descendingIdiEEvT0_PT_PS2_@rel32@lo+4
	s_addc_u32 s5, s5, __PRETTY_FUNCTION__._ZN9rocsolver6v33100L21shell_sort_descendingIdiEEvT0_PT_PS2_@rel32@hi+12
	v_mov_b32_e32 v0, s4
	v_mov_b32_e32 v1, s5
	s_getpc_b64 s[6:7]
	s_add_u32 s6, s6, __assert_fail@rel32@lo+4
	s_addc_u32 s7, s7, __assert_fail@rel32@hi+12
	s_swappc_b64 s[30:31], s[6:7]
	s_or_b64 s[62:63], s[62:63], exec
.LBB233_227:
	s_or_b64 exec, exec, s[42:43]
.LBB233_228:
	s_and_saveexec_b64 s[4:5], s[62:63]
; %bb.229:
	; divergent unreachable
; %bb.230:
	s_or_b64 exec, exec, s[4:5]
	s_and_saveexec_b64 s[4:5], s[50:51]
	s_cbranch_execz .LBB233_232
; %bb.231:
	s_barrier
.LBB233_232:
	s_or_b64 exec, exec, s[4:5]
	s_cbranch_execnz .LBB233_256
.LBB233_233:
	s_cmp_lt_i32 s52, 2
	s_cbranch_scc1 .LBB233_256
; %bb.234:
	s_cmp_lg_u32 s53, 0
	s_cselect_b64 s[12:13], -1, 0
	s_cmp_lg_u32 s54, 0
	s_cselect_b64 s[14:15], -1, 0
	;; [unrolled: 2-line block ×3, first 2 shown]
	s_add_i32 s33, s52, -2
	s_add_u32 s18, s56, s44
	v_cndmask_b32_e64 v0, 0, 1, s[12:13]
	s_addc_u32 s21, s57, s45
	v_cmp_ne_u32_e64 s[12:13], 1, v0
	v_cndmask_b32_e64 v0, 0, 1, s[14:15]
	s_add_u32 s20, s18, 8
	v_cmp_ne_u32_e64 s[14:15], 1, v0
	v_cndmask_b32_e64 v0, 0, 1, s[16:17]
	s_mov_b32 s19, 0
	v_cmp_eq_u32_e64 s[4:5], 0, v41
	v_cmp_gt_i32_e64 s[6:7], s53, v41
	v_cmp_gt_i32_e64 s[8:9], s54, v41
	;; [unrolled: 1-line block ×3, first 2 shown]
	s_addc_u32 s21, s21, 0
	v_mul_lo_u32 v2, s39, v41
	s_mul_i32 s39, s39, s36
	v_mul_lo_u32 v3, s59, v41
	s_mul_i32 s42, s59, s36
	v_mov_b32_e32 v4, 0
	v_cmp_ne_u32_e64 s[16:17], 1, v0
	s_mov_b32 s43, 0
	s_mov_b32 s44, 0
	s_branch .LBB233_237
.LBB233_235:                            ;   in Loop: Header=BB233_237 Depth=1
	s_or_b64 exec, exec, s[24:25]
	s_waitcnt lgkmcnt(0)
	s_barrier
.LBB233_236:                            ;   in Loop: Header=BB233_237 Depth=1
	s_add_u32 s20, s20, 8
	s_addc_u32 s21, s21, 0
	s_add_i32 s43, s43, s37
	s_cmp_eq_u32 s18, s33
	s_cbranch_scc1 .LBB233_256
.LBB233_237:                            ; =>This Loop Header: Depth=1
                                        ;     Child Loop BB233_238 Depth 2
                                        ;     Child Loop BB233_245 Depth 2
	;; [unrolled: 1-line block ×4, first 2 shown]
	s_mov_b32 s18, s44
	s_lshl_b64 s[22:23], s[18:19], 3
	s_add_u32 s24, s46, s22
	s_addc_u32 s25, s47, s23
	global_load_dwordx2 v[0:1], v4, s[24:25]
	s_add_i32 s44, s44, 1
	s_mov_b64 s[30:31], s[20:21]
	s_mov_b32 s23, s44
	s_mov_b32 s22, s18
.LBB233_238:                            ;   Parent Loop BB233_237 Depth=1
                                        ; =>  This Inner Loop Header: Depth=2
	global_load_dwordx2 v[6:7], v4, s[30:31]
	s_waitcnt vmcnt(0)
	v_cmp_gt_f64_e32 vcc, v[6:7], v[0:1]
	s_and_b64 s[48:49], vcc, exec
	s_cselect_b32 s22, s23, s22
	s_add_i32 s23, s23, 1
	s_add_u32 s30, s30, 8
	s_addc_u32 s31, s31, 0
	v_cndmask_b32_e32 v1, v1, v7, vcc
	s_cmp_lt_i32 s23, s52
	v_cndmask_b32_e32 v0, v0, v6, vcc
	s_cbranch_scc1 .LBB233_238
; %bb.239:                              ;   in Loop: Header=BB233_237 Depth=1
	s_cmp_eq_u32 s22, s18
	s_barrier
	s_cbranch_scc1 .LBB233_236
; %bb.240:                              ;   in Loop: Header=BB233_237 Depth=1
	s_and_saveexec_b64 s[30:31], s[4:5]
	s_cbranch_execz .LBB233_242
; %bb.241:                              ;   in Loop: Header=BB233_237 Depth=1
	global_load_dwordx2 v[6:7], v4, s[24:25]
	s_ashr_i32 s23, s22, 31
	s_lshl_b64 s[48:49], s[22:23], 3
	s_add_u32 s48, s46, s48
	s_addc_u32 s49, s47, s49
	s_waitcnt vmcnt(0)
	global_store_dwordx2 v4, v[6:7], s[48:49]
	global_store_dwordx2 v4, v[0:1], s[24:25]
.LBB233_242:                            ;   in Loop: Header=BB233_237 Depth=1
	s_or_b64 exec, exec, s[30:31]
	s_and_b64 vcc, exec, s[12:13]
	s_cbranch_vccnz .LBB233_247
; %bb.243:                              ;   in Loop: Header=BB233_237 Depth=1
	s_and_saveexec_b64 s[24:25], s[6:7]
	s_cbranch_execz .LBB233_246
; %bb.244:                              ;   in Loop: Header=BB233_237 Depth=1
	s_mov_b64 s[30:31], 0
	v_mov_b32_e32 v0, v2
	v_mov_b32_e32 v1, v41
.LBB233_245:                            ;   Parent Loop BB233_237 Depth=1
                                        ; =>  This Inner Loop Header: Depth=2
	v_add_u32_e32 v6, s22, v0
	v_ashrrev_i32_e32 v7, 31, v6
	v_add_u32_e32 v8, s18, v0
	v_lshlrev_b64 v[6:7], 4, v[6:7]
	v_mov_b32_e32 v5, s35
	v_ashrrev_i32_e32 v9, 31, v8
	v_add_co_u32_e32 v14, vcc, s34, v6
	v_lshlrev_b64 v[8:9], 4, v[8:9]
	v_addc_co_u32_e32 v15, vcc, v5, v7, vcc
	v_add_co_u32_e32 v16, vcc, s34, v8
	v_addc_co_u32_e32 v17, vcc, v5, v9, vcc
	flat_load_dwordx4 v[6:9], v[16:17]
	flat_load_dwordx4 v[10:13], v[14:15]
	v_add_u32_e32 v1, s36, v1
	v_cmp_le_i32_e32 vcc, s53, v1
	v_add_u32_e32 v0, s39, v0
	s_or_b64 s[30:31], vcc, s[30:31]
	s_waitcnt vmcnt(0) lgkmcnt(0)
	flat_store_dwordx4 v[14:15], v[6:9]
	flat_store_dwordx4 v[16:17], v[10:13]
	s_andn2_b64 exec, exec, s[30:31]
	s_cbranch_execnz .LBB233_245
.LBB233_246:                            ;   in Loop: Header=BB233_237 Depth=1
	s_or_b64 exec, exec, s[24:25]
	s_waitcnt lgkmcnt(0)
	s_barrier
.LBB233_247:                            ;   in Loop: Header=BB233_237 Depth=1
	s_and_b64 vcc, exec, s[14:15]
	s_cbranch_vccnz .LBB233_252
; %bb.248:                              ;   in Loop: Header=BB233_237 Depth=1
	s_and_saveexec_b64 s[24:25], s[8:9]
	s_cbranch_execz .LBB233_251
; %bb.249:                              ;   in Loop: Header=BB233_237 Depth=1
	s_mul_i32 s23, s22, s37
	s_mov_b64 s[30:31], 0
	v_mov_b32_e32 v0, v41
.LBB233_250:                            ;   Parent Loop BB233_237 Depth=1
                                        ; =>  This Inner Loop Header: Depth=2
	v_add_u32_e32 v6, s23, v0
	v_ashrrev_i32_e32 v7, 31, v6
	v_add_u32_e32 v8, s43, v0
	v_lshlrev_b64 v[6:7], 4, v[6:7]
	v_mov_b32_e32 v1, s29
	v_ashrrev_i32_e32 v9, 31, v8
	v_add_co_u32_e32 v14, vcc, s28, v6
	v_lshlrev_b64 v[8:9], 4, v[8:9]
	v_addc_co_u32_e32 v15, vcc, v1, v7, vcc
	v_add_co_u32_e32 v16, vcc, s28, v8
	v_addc_co_u32_e32 v17, vcc, v1, v9, vcc
	flat_load_dwordx4 v[6:9], v[16:17]
	flat_load_dwordx4 v[10:13], v[14:15]
	v_add_u32_e32 v0, s36, v0
	v_cmp_le_i32_e32 vcc, s54, v0
	s_or_b64 s[30:31], vcc, s[30:31]
	s_waitcnt vmcnt(0) lgkmcnt(0)
	flat_store_dwordx4 v[14:15], v[6:9]
	flat_store_dwordx4 v[16:17], v[10:13]
	s_andn2_b64 exec, exec, s[30:31]
	s_cbranch_execnz .LBB233_250
.LBB233_251:                            ;   in Loop: Header=BB233_237 Depth=1
	s_or_b64 exec, exec, s[24:25]
	s_waitcnt lgkmcnt(0)
	s_barrier
.LBB233_252:                            ;   in Loop: Header=BB233_237 Depth=1
	s_and_b64 vcc, exec, s[16:17]
	s_cbranch_vccnz .LBB233_236
; %bb.253:                              ;   in Loop: Header=BB233_237 Depth=1
	s_and_saveexec_b64 s[24:25], s[10:11]
	s_cbranch_execz .LBB233_235
; %bb.254:                              ;   in Loop: Header=BB233_237 Depth=1
	s_mov_b64 s[30:31], 0
	v_mov_b32_e32 v0, v3
	v_mov_b32_e32 v1, v41
.LBB233_255:                            ;   Parent Loop BB233_237 Depth=1
                                        ; =>  This Inner Loop Header: Depth=2
	v_add_u32_e32 v6, s22, v0
	v_ashrrev_i32_e32 v7, 31, v6
	v_add_u32_e32 v8, s18, v0
	v_lshlrev_b64 v[6:7], 4, v[6:7]
	v_mov_b32_e32 v5, s61
	v_ashrrev_i32_e32 v9, 31, v8
	v_add_co_u32_e32 v14, vcc, s60, v6
	v_lshlrev_b64 v[8:9], 4, v[8:9]
	v_addc_co_u32_e32 v15, vcc, v5, v7, vcc
	v_add_co_u32_e32 v16, vcc, s60, v8
	v_addc_co_u32_e32 v17, vcc, v5, v9, vcc
	flat_load_dwordx4 v[6:9], v[16:17]
	flat_load_dwordx4 v[10:13], v[14:15]
	v_add_u32_e32 v1, s36, v1
	v_cmp_le_i32_e32 vcc, s55, v1
	v_add_u32_e32 v0, s42, v0
	s_or_b64 s[30:31], vcc, s[30:31]
	s_waitcnt vmcnt(0) lgkmcnt(0)
	flat_store_dwordx4 v[14:15], v[6:9]
	flat_store_dwordx4 v[16:17], v[10:13]
	s_andn2_b64 exec, exec, s[30:31]
	s_cbranch_execnz .LBB233_255
	s_branch .LBB233_235
.LBB233_256:
	s_mov_b64 s[8:9], 0
.LBB233_257:
	s_andn2_b64 vcc, exec, s[8:9]
	s_cbranch_vccnz .LBB233_260
; %bb.258:
	v_cmp_eq_u32_e32 vcc, 0, v41
	s_and_saveexec_b64 s[4:5], vcc
	s_cbranch_execz .LBB233_260
; %bb.259:
	s_add_u32 s4, s40, s26
	s_addc_u32 s5, s41, s27
	v_mov_b32_e32 v0, 0
	v_mov_b32_e32 v1, s38
	global_store_dword v0, v1, s[4:5]
.LBB233_260:
	s_endpgm
	.section	.rodata,"a",@progbits
	.p2align	6, 0x0
	.amdhsa_kernel _ZN9rocsolver6v33100L14bdsqr_finalizeI19rocblas_complex_numIdEdPS3_PKS4_S6_EEviiiiPT0_lS8_lT1_iilT2_iilT3_iilPiSC_SC_
		.amdhsa_group_segment_fixed_size 32768
		.amdhsa_private_segment_fixed_size 144
		.amdhsa_kernarg_size 400
		.amdhsa_user_sgpr_count 10
		.amdhsa_user_sgpr_private_segment_buffer 1
		.amdhsa_user_sgpr_dispatch_ptr 1
		.amdhsa_user_sgpr_queue_ptr 0
		.amdhsa_user_sgpr_kernarg_segment_ptr 1
		.amdhsa_user_sgpr_dispatch_id 0
		.amdhsa_user_sgpr_flat_scratch_init 1
		.amdhsa_user_sgpr_kernarg_preload_length 0
		.amdhsa_user_sgpr_kernarg_preload_offset 0
		.amdhsa_user_sgpr_private_segment_size 0
		.amdhsa_uses_dynamic_stack 0
		.amdhsa_system_sgpr_private_segment_wavefront_offset 1
		.amdhsa_system_sgpr_workgroup_id_x 1
		.amdhsa_system_sgpr_workgroup_id_y 1
		.amdhsa_system_sgpr_workgroup_id_z 0
		.amdhsa_system_sgpr_workgroup_info 0
		.amdhsa_system_vgpr_workitem_id 2
		.amdhsa_next_free_vgpr 45
		.amdhsa_next_free_sgpr 78
		.amdhsa_accum_offset 48
		.amdhsa_reserve_vcc 1
		.amdhsa_reserve_flat_scratch 1
		.amdhsa_float_round_mode_32 0
		.amdhsa_float_round_mode_16_64 0
		.amdhsa_float_denorm_mode_32 3
		.amdhsa_float_denorm_mode_16_64 3
		.amdhsa_dx10_clamp 1
		.amdhsa_ieee_mode 1
		.amdhsa_fp16_overflow 0
		.amdhsa_tg_split 0
		.amdhsa_exception_fp_ieee_invalid_op 0
		.amdhsa_exception_fp_denorm_src 0
		.amdhsa_exception_fp_ieee_div_zero 0
		.amdhsa_exception_fp_ieee_overflow 0
		.amdhsa_exception_fp_ieee_underflow 0
		.amdhsa_exception_fp_ieee_inexact 0
		.amdhsa_exception_int_div_zero 0
	.end_amdhsa_kernel
	.section	.text._ZN9rocsolver6v33100L14bdsqr_finalizeI19rocblas_complex_numIdEdPS3_PKS4_S6_EEviiiiPT0_lS8_lT1_iilT2_iilT3_iilPiSC_SC_,"axG",@progbits,_ZN9rocsolver6v33100L14bdsqr_finalizeI19rocblas_complex_numIdEdPS3_PKS4_S6_EEviiiiPT0_lS8_lT1_iilT2_iilT3_iilPiSC_SC_,comdat
.Lfunc_end233:
	.size	_ZN9rocsolver6v33100L14bdsqr_finalizeI19rocblas_complex_numIdEdPS3_PKS4_S6_EEviiiiPT0_lS8_lT1_iilT2_iilT3_iilPiSC_SC_, .Lfunc_end233-_ZN9rocsolver6v33100L14bdsqr_finalizeI19rocblas_complex_numIdEdPS3_PKS4_S6_EEviiiiPT0_lS8_lT1_iilT2_iilT3_iilPiSC_SC_
                                        ; -- End function
	.section	.AMDGPU.csdata,"",@progbits
; Kernel info:
; codeLenInByte = 7896
; NumSgprs: 84
; NumVgprs: 45
; NumAgprs: 0
; TotalNumVgprs: 45
; ScratchSize: 144
; MemoryBound: 0
; FloatMode: 240
; IeeeMode: 1
; LDSByteSize: 32768 bytes/workgroup (compile time only)
; SGPRBlocks: 10
; VGPRBlocks: 5
; NumSGPRsForWavesPerEU: 84
; NumVGPRsForWavesPerEU: 45
; AccumOffset: 48
; Occupancy: 8
; WaveLimiterHint : 1
; COMPUTE_PGM_RSRC2:SCRATCH_EN: 1
; COMPUTE_PGM_RSRC2:USER_SGPR: 10
; COMPUTE_PGM_RSRC2:TRAP_HANDLER: 0
; COMPUTE_PGM_RSRC2:TGID_X_EN: 1
; COMPUTE_PGM_RSRC2:TGID_Y_EN: 1
; COMPUTE_PGM_RSRC2:TGID_Z_EN: 0
; COMPUTE_PGM_RSRC2:TIDIG_COMP_CNT: 2
; COMPUTE_PGM_RSRC3_GFX90A:ACCUM_OFFSET: 11
; COMPUTE_PGM_RSRC3_GFX90A:TG_SPLIT: 0
	.section	.text._ZN9rocsolver6v33100L8copy_matI19rocblas_complex_numIdEPKPS3_S4_NS0_7no_maskEEEviiT0_iilT1_iilT2_13rocblas_fill_17rocblas_diagonal_,"axG",@progbits,_ZN9rocsolver6v33100L8copy_matI19rocblas_complex_numIdEPKPS3_S4_NS0_7no_maskEEEviiT0_iilT1_iilT2_13rocblas_fill_17rocblas_diagonal_,comdat
	.globl	_ZN9rocsolver6v33100L8copy_matI19rocblas_complex_numIdEPKPS3_S4_NS0_7no_maskEEEviiT0_iilT1_iilT2_13rocblas_fill_17rocblas_diagonal_ ; -- Begin function _ZN9rocsolver6v33100L8copy_matI19rocblas_complex_numIdEPKPS3_S4_NS0_7no_maskEEEviiT0_iilT1_iilT2_13rocblas_fill_17rocblas_diagonal_
	.p2align	8
	.type	_ZN9rocsolver6v33100L8copy_matI19rocblas_complex_numIdEPKPS3_S4_NS0_7no_maskEEEviiT0_iilT1_iilT2_13rocblas_fill_17rocblas_diagonal_,@function
_ZN9rocsolver6v33100L8copy_matI19rocblas_complex_numIdEPKPS3_S4_NS0_7no_maskEEEviiT0_iilT1_iilT2_13rocblas_fill_17rocblas_diagonal_: ; @_ZN9rocsolver6v33100L8copy_matI19rocblas_complex_numIdEPKPS3_S4_NS0_7no_maskEEEviiT0_iilT1_iilT2_13rocblas_fill_17rocblas_diagonal_
; %bb.0:
	s_load_dword s2, s[4:5], 0x54
	s_load_dwordx2 s[0:1], s[4:5], 0x0
	v_bfe_u32 v1, v0, 10, 10
	v_and_b32_e32 v0, 0x3ff, v0
	s_waitcnt lgkmcnt(0)
	s_lshr_b32 s3, s2, 16
	s_and_b32 s2, s2, 0xffff
	s_mul_i32 s7, s7, s3
	s_mul_i32 s6, s6, s2
	v_add_u32_e32 v1, s7, v1
	v_add_u32_e32 v0, s6, v0
	v_cmp_gt_u32_e32 vcc, s0, v0
	v_cmp_gt_u32_e64 s[0:1], s1, v1
	s_and_b64 s[0:1], s[0:1], vcc
	s_and_saveexec_b64 s[2:3], s[0:1]
	s_cbranch_execz .LBB234_14
; %bb.1:
	s_load_dwordx2 s[2:3], s[4:5], 0x3c
	s_waitcnt lgkmcnt(0)
	s_cmpk_lt_i32 s2, 0x7a
	s_cbranch_scc1 .LBB234_4
; %bb.2:
	s_cmpk_gt_i32 s2, 0x7a
	s_cbranch_scc0 .LBB234_5
; %bb.3:
	s_cmpk_lg_i32 s2, 0x7b
	s_mov_b64 s[6:7], -1
	s_cselect_b64 s[10:11], -1, 0
	s_cbranch_execz .LBB234_6
	s_branch .LBB234_7
.LBB234_4:
	s_mov_b64 s[10:11], 0
	s_mov_b64 s[6:7], 0
	s_cbranch_execnz .LBB234_8
	s_branch .LBB234_10
.LBB234_5:
	s_mov_b64 s[6:7], 0
	s_mov_b64 s[10:11], 0
.LBB234_6:
	v_cmp_gt_u32_e32 vcc, v0, v1
	v_cmp_le_u32_e64 s[0:1], v0, v1
	s_andn2_b64 s[6:7], s[6:7], exec
	s_and_b64 s[12:13], vcc, exec
	s_andn2_b64 s[10:11], s[10:11], exec
	s_and_b64 s[0:1], s[0:1], exec
	s_or_b64 s[6:7], s[6:7], s[12:13]
	s_or_b64 s[10:11], s[10:11], s[0:1]
.LBB234_7:
	s_branch .LBB234_10
.LBB234_8:
	s_cmpk_eq_i32 s2, 0x79
	s_mov_b64 s[10:11], -1
	s_cbranch_scc0 .LBB234_10
; %bb.9:
	v_cmp_gt_u32_e32 vcc, v1, v0
	v_cmp_le_u32_e64 s[0:1], v1, v0
	s_andn2_b64 s[6:7], s[6:7], exec
	s_and_b64 s[10:11], vcc, exec
	s_or_b64 s[6:7], s[6:7], s[10:11]
	s_orn2_b64 s[10:11], s[0:1], exec
.LBB234_10:
	s_and_saveexec_b64 s[0:1], s[10:11]
; %bb.11:
	s_cmpk_eq_i32 s3, 0x83
	s_cselect_b64 s[2:3], -1, 0
	v_cmp_eq_u32_e32 vcc, v0, v1
	s_and_b64 s[2:3], s[2:3], vcc
	s_andn2_b64 s[6:7], s[6:7], exec
	s_and_b64 s[2:3], s[2:3], exec
	s_or_b64 s[6:7], s[6:7], s[2:3]
; %bb.12:
	s_or_b64 exec, exec, s[0:1]
	s_and_b64 exec, exec, s[6:7]
	s_cbranch_execz .LBB234_14
; %bb.13:
	s_load_dwordx4 s[12:15], s[4:5], 0x8
	s_load_dwordx4 s[0:3], s[4:5], 0x20
	s_mov_b32 s9, 0
	s_lshl_b64 s[6:7], s[8:9], 3
	s_load_dwordx2 s[4:5], s[4:5], 0x30
	s_waitcnt lgkmcnt(0)
	s_ashr_i32 s11, s14, 31
	s_add_u32 s6, s12, s6
	s_addc_u32 s7, s13, s7
	s_load_dwordx2 s[6:7], s[6:7], 0x0
	s_mov_b32 s10, s14
	v_mad_u64_u32 v[6:7], s[12:13], v1, s15, v[0:1]
	s_lshl_b64 s[10:11], s[10:11], 4
	v_mov_b32_e32 v7, 0
	s_waitcnt lgkmcnt(0)
	s_add_u32 s6, s6, s10
	s_addc_u32 s7, s7, s11
	v_lshlrev_b64 v[2:3], 4, v[6:7]
	v_mov_b32_e32 v4, s7
	v_add_co_u32_e32 v2, vcc, s6, v2
	v_addc_co_u32_e32 v3, vcc, v4, v3, vcc
	global_load_dwordx4 v[2:5], v[2:3], off
	s_ashr_i32 s7, s2, 31
	s_mov_b32 s6, s2
	s_mul_i32 s2, s8, s5
	s_mul_hi_u32 s5, s8, s4
	s_add_i32 s5, s5, s2
	s_mul_i32 s4, s8, s4
	s_lshl_b64 s[4:5], s[4:5], 4
	s_add_u32 s2, s0, s4
	s_addc_u32 s4, s1, s5
	s_lshl_b64 s[0:1], s[6:7], 4
	s_add_u32 s2, s2, s0
	s_addc_u32 s4, s4, s1
	v_mad_u64_u32 v[0:1], s[0:1], v1, s3, v[0:1]
	v_mov_b32_e32 v1, v7
	v_lshlrev_b64 v[0:1], 4, v[0:1]
	v_mov_b32_e32 v6, s4
	v_add_co_u32_e32 v0, vcc, s2, v0
	v_addc_co_u32_e32 v1, vcc, v6, v1, vcc
	s_waitcnt vmcnt(0)
	global_store_dwordx4 v[0:1], v[2:5], off
.LBB234_14:
	s_endpgm
	.section	.rodata,"a",@progbits
	.p2align	6, 0x0
	.amdhsa_kernel _ZN9rocsolver6v33100L8copy_matI19rocblas_complex_numIdEPKPS3_S4_NS0_7no_maskEEEviiT0_iilT1_iilT2_13rocblas_fill_17rocblas_diagonal_
		.amdhsa_group_segment_fixed_size 0
		.amdhsa_private_segment_fixed_size 0
		.amdhsa_kernarg_size 328
		.amdhsa_user_sgpr_count 6
		.amdhsa_user_sgpr_private_segment_buffer 1
		.amdhsa_user_sgpr_dispatch_ptr 0
		.amdhsa_user_sgpr_queue_ptr 0
		.amdhsa_user_sgpr_kernarg_segment_ptr 1
		.amdhsa_user_sgpr_dispatch_id 0
		.amdhsa_user_sgpr_flat_scratch_init 0
		.amdhsa_user_sgpr_kernarg_preload_length 0
		.amdhsa_user_sgpr_kernarg_preload_offset 0
		.amdhsa_user_sgpr_private_segment_size 0
		.amdhsa_uses_dynamic_stack 0
		.amdhsa_system_sgpr_private_segment_wavefront_offset 0
		.amdhsa_system_sgpr_workgroup_id_x 1
		.amdhsa_system_sgpr_workgroup_id_y 1
		.amdhsa_system_sgpr_workgroup_id_z 1
		.amdhsa_system_sgpr_workgroup_info 0
		.amdhsa_system_vgpr_workitem_id 1
		.amdhsa_next_free_vgpr 8
		.amdhsa_next_free_sgpr 16
		.amdhsa_accum_offset 8
		.amdhsa_reserve_vcc 1
		.amdhsa_reserve_flat_scratch 0
		.amdhsa_float_round_mode_32 0
		.amdhsa_float_round_mode_16_64 0
		.amdhsa_float_denorm_mode_32 3
		.amdhsa_float_denorm_mode_16_64 3
		.amdhsa_dx10_clamp 1
		.amdhsa_ieee_mode 1
		.amdhsa_fp16_overflow 0
		.amdhsa_tg_split 0
		.amdhsa_exception_fp_ieee_invalid_op 0
		.amdhsa_exception_fp_denorm_src 0
		.amdhsa_exception_fp_ieee_div_zero 0
		.amdhsa_exception_fp_ieee_overflow 0
		.amdhsa_exception_fp_ieee_underflow 0
		.amdhsa_exception_fp_ieee_inexact 0
		.amdhsa_exception_int_div_zero 0
	.end_amdhsa_kernel
	.section	.text._ZN9rocsolver6v33100L8copy_matI19rocblas_complex_numIdEPKPS3_S4_NS0_7no_maskEEEviiT0_iilT1_iilT2_13rocblas_fill_17rocblas_diagonal_,"axG",@progbits,_ZN9rocsolver6v33100L8copy_matI19rocblas_complex_numIdEPKPS3_S4_NS0_7no_maskEEEviiT0_iilT1_iilT2_13rocblas_fill_17rocblas_diagonal_,comdat
.Lfunc_end234:
	.size	_ZN9rocsolver6v33100L8copy_matI19rocblas_complex_numIdEPKPS3_S4_NS0_7no_maskEEEviiT0_iilT1_iilT2_13rocblas_fill_17rocblas_diagonal_, .Lfunc_end234-_ZN9rocsolver6v33100L8copy_matI19rocblas_complex_numIdEPKPS3_S4_NS0_7no_maskEEEviiT0_iilT1_iilT2_13rocblas_fill_17rocblas_diagonal_
                                        ; -- End function
	.section	.AMDGPU.csdata,"",@progbits
; Kernel info:
; codeLenInByte = 496
; NumSgprs: 20
; NumVgprs: 8
; NumAgprs: 0
; TotalNumVgprs: 8
; ScratchSize: 0
; MemoryBound: 0
; FloatMode: 240
; IeeeMode: 1
; LDSByteSize: 0 bytes/workgroup (compile time only)
; SGPRBlocks: 2
; VGPRBlocks: 0
; NumSGPRsForWavesPerEU: 20
; NumVGPRsForWavesPerEU: 8
; AccumOffset: 8
; Occupancy: 8
; WaveLimiterHint : 0
; COMPUTE_PGM_RSRC2:SCRATCH_EN: 0
; COMPUTE_PGM_RSRC2:USER_SGPR: 6
; COMPUTE_PGM_RSRC2:TRAP_HANDLER: 0
; COMPUTE_PGM_RSRC2:TGID_X_EN: 1
; COMPUTE_PGM_RSRC2:TGID_Y_EN: 1
; COMPUTE_PGM_RSRC2:TGID_Z_EN: 1
; COMPUTE_PGM_RSRC2:TIDIG_COMP_CNT: 1
; COMPUTE_PGM_RSRC3_GFX90A:ACCUM_OFFSET: 1
; COMPUTE_PGM_RSRC3_GFX90A:TG_SPLIT: 0
	.section	.text._ZN9rocsolver6v33100L16org2r_init_identI19rocblas_complex_numIdEPS3_EEviiiT0_iil,"axG",@progbits,_ZN9rocsolver6v33100L16org2r_init_identI19rocblas_complex_numIdEPS3_EEviiiT0_iil,comdat
	.globl	_ZN9rocsolver6v33100L16org2r_init_identI19rocblas_complex_numIdEPS3_EEviiiT0_iil ; -- Begin function _ZN9rocsolver6v33100L16org2r_init_identI19rocblas_complex_numIdEPS3_EEviiiT0_iil
	.p2align	8
	.type	_ZN9rocsolver6v33100L16org2r_init_identI19rocblas_complex_numIdEPS3_EEviiiT0_iil,@function
_ZN9rocsolver6v33100L16org2r_init_identI19rocblas_complex_numIdEPS3_EEviiiT0_iil: ; @_ZN9rocsolver6v33100L16org2r_init_identI19rocblas_complex_numIdEPS3_EEviiiT0_iil
; %bb.0:
	s_load_dword s0, s[4:5], 0x34
	s_load_dwordx4 s[12:15], s[4:5], 0x0
	v_bfe_u32 v1, v0, 10, 10
	v_and_b32_e32 v0, 0x3ff, v0
	s_waitcnt lgkmcnt(0)
	s_lshr_b32 s1, s0, 16
	s_and_b32 s0, s0, 0xffff
	s_mul_i32 s7, s7, s1
	s_mul_i32 s6, s6, s0
	v_add_u32_e32 v2, s7, v1
	v_add_u32_e32 v4, s6, v0
	v_cmp_gt_u32_e32 vcc, s12, v4
	v_cmp_gt_u32_e64 s[0:1], s13, v2
	s_and_b64 s[0:1], vcc, s[0:1]
	s_and_saveexec_b64 s[2:3], s[0:1]
	s_cbranch_execz .LBB235_5
; %bb.1:
	s_load_dwordx4 s[0:3], s[4:5], 0x10
	s_load_dwordx2 s[6:7], s[4:5], 0x20
	v_cmp_ne_u32_e32 vcc, v4, v2
                                        ; implicit-def: $vgpr0_vgpr1
	s_waitcnt lgkmcnt(0)
	s_ashr_i32 s5, s2, 31
	s_mov_b32 s4, s2
	s_mul_i32 s2, s8, s7
	s_mul_hi_u32 s7, s8, s6
	s_add_i32 s7, s7, s2
	s_mul_i32 s6, s8, s6
	s_lshl_b64 s[6:7], s[6:7], 4
	s_add_u32 s2, s0, s6
	s_addc_u32 s6, s1, s7
	s_lshl_b64 s[0:1], s[4:5], 4
	s_add_u32 s2, s2, s0
	s_addc_u32 s10, s6, s1
	s_mov_b64 s[4:5], 0
	s_and_saveexec_b64 s[0:1], vcc
	s_xor_b64 s[0:1], exec, s[0:1]
	s_cbranch_execnz .LBB235_6
; %bb.2:
	s_andn2_saveexec_b64 s[0:1], s[0:1]
	s_cbranch_execnz .LBB235_13
.LBB235_3:
	s_or_b64 exec, exec, s[0:1]
	s_and_b64 exec, exec, s[4:5]
	s_cbranch_execz .LBB235_5
.LBB235_4:
	v_mov_b32_e32 v2, 0
	v_mov_b32_e32 v3, v2
	global_store_dwordx2 v[0:1], v[2:3], off
.LBB235_5:
	s_endpgm
.LBB235_6:
	v_cmp_le_u32_e32 vcc, v2, v4
                                        ; implicit-def: $vgpr0_vgpr1
	s_and_saveexec_b64 s[6:7], vcc
	s_xor_b64 s[6:7], exec, s[6:7]
	s_cbranch_execz .LBB235_10
; %bb.7:
	v_cmp_le_u32_e32 vcc, s14, v2
                                        ; implicit-def: $vgpr0_vgpr1
	s_and_saveexec_b64 s[8:9], vcc
	s_xor_b64 s[8:9], exec, s[8:9]
	s_cbranch_execz .LBB235_9
; %bb.8:
	v_mad_u64_u32 v[2:3], s[12:13], v2, s3, v[4:5]
	v_mov_b32_e32 v3, 0
	v_lshlrev_b64 v[0:1], 4, v[2:3]
	v_mov_b32_e32 v2, s10
	v_add_co_u32_e32 v4, vcc, s2, v0
	v_addc_co_u32_e32 v5, vcc, v2, v1, vcc
	v_add_co_u32_e32 v0, vcc, 8, v4
	s_mov_b64 s[4:5], exec
	v_addc_co_u32_e32 v1, vcc, 0, v5, vcc
	v_mov_b32_e32 v2, v3
	global_store_dwordx2 v[4:5], v[2:3], off
.LBB235_9:
	s_or_b64 exec, exec, s[8:9]
	s_and_b64 s[4:5], s[4:5], exec
                                        ; implicit-def: $vgpr4
                                        ; implicit-def: $vgpr2
.LBB235_10:
	s_andn2_saveexec_b64 s[6:7], s[6:7]
	s_cbranch_execz .LBB235_12
; %bb.11:
	v_mad_u64_u32 v[0:1], s[8:9], v2, s3, v[4:5]
	v_mov_b32_e32 v1, 0
	v_lshlrev_b64 v[2:3], 4, v[0:1]
	v_mov_b32_e32 v0, s10
	v_add_co_u32_e32 v2, vcc, s2, v2
	v_addc_co_u32_e32 v3, vcc, v0, v3, vcc
	v_mov_b32_e32 v0, v1
	global_store_dwordx2 v[2:3], v[0:1], off
	v_add_co_u32_e32 v0, vcc, 8, v2
	v_addc_co_u32_e32 v1, vcc, 0, v3, vcc
	s_or_b64 s[4:5], s[4:5], exec
.LBB235_12:
	s_or_b64 exec, exec, s[6:7]
	s_and_b64 s[4:5], s[4:5], exec
                                        ; implicit-def: $vgpr2
	s_andn2_saveexec_b64 s[0:1], s[0:1]
	s_cbranch_execz .LBB235_3
.LBB235_13:
	v_mad_u64_u32 v[0:1], s[6:7], v2, s3, v[2:3]
	v_mov_b32_e32 v1, 0
	v_lshlrev_b64 v[2:3], 4, v[0:1]
	v_mov_b32_e32 v0, s10
	v_add_co_u32_e32 v2, vcc, s2, v2
	v_addc_co_u32_e32 v3, vcc, v0, v3, vcc
	v_add_co_u32_e32 v0, vcc, 8, v2
	v_mov_b32_e32 v5, 0x3ff00000
	v_mov_b32_e32 v4, v1
	v_addc_co_u32_e32 v1, vcc, 0, v3, vcc
	s_or_b64 s[4:5], s[4:5], exec
	global_store_dwordx2 v[2:3], v[4:5], off
	s_or_b64 exec, exec, s[0:1]
	s_and_b64 exec, exec, s[4:5]
	s_cbranch_execnz .LBB235_4
	s_branch .LBB235_5
	.section	.rodata,"a",@progbits
	.p2align	6, 0x0
	.amdhsa_kernel _ZN9rocsolver6v33100L16org2r_init_identI19rocblas_complex_numIdEPS3_EEviiiT0_iil
		.amdhsa_group_segment_fixed_size 0
		.amdhsa_private_segment_fixed_size 0
		.amdhsa_kernarg_size 296
		.amdhsa_user_sgpr_count 6
		.amdhsa_user_sgpr_private_segment_buffer 1
		.amdhsa_user_sgpr_dispatch_ptr 0
		.amdhsa_user_sgpr_queue_ptr 0
		.amdhsa_user_sgpr_kernarg_segment_ptr 1
		.amdhsa_user_sgpr_dispatch_id 0
		.amdhsa_user_sgpr_flat_scratch_init 0
		.amdhsa_user_sgpr_kernarg_preload_length 0
		.amdhsa_user_sgpr_kernarg_preload_offset 0
		.amdhsa_user_sgpr_private_segment_size 0
		.amdhsa_uses_dynamic_stack 0
		.amdhsa_system_sgpr_private_segment_wavefront_offset 0
		.amdhsa_system_sgpr_workgroup_id_x 1
		.amdhsa_system_sgpr_workgroup_id_y 1
		.amdhsa_system_sgpr_workgroup_id_z 1
		.amdhsa_system_sgpr_workgroup_info 0
		.amdhsa_system_vgpr_workitem_id 1
		.amdhsa_next_free_vgpr 6
		.amdhsa_next_free_sgpr 16
		.amdhsa_accum_offset 8
		.amdhsa_reserve_vcc 1
		.amdhsa_reserve_flat_scratch 0
		.amdhsa_float_round_mode_32 0
		.amdhsa_float_round_mode_16_64 0
		.amdhsa_float_denorm_mode_32 3
		.amdhsa_float_denorm_mode_16_64 3
		.amdhsa_dx10_clamp 1
		.amdhsa_ieee_mode 1
		.amdhsa_fp16_overflow 0
		.amdhsa_tg_split 0
		.amdhsa_exception_fp_ieee_invalid_op 0
		.amdhsa_exception_fp_denorm_src 0
		.amdhsa_exception_fp_ieee_div_zero 0
		.amdhsa_exception_fp_ieee_overflow 0
		.amdhsa_exception_fp_ieee_underflow 0
		.amdhsa_exception_fp_ieee_inexact 0
		.amdhsa_exception_int_div_zero 0
	.end_amdhsa_kernel
	.section	.text._ZN9rocsolver6v33100L16org2r_init_identI19rocblas_complex_numIdEPS3_EEviiiT0_iil,"axG",@progbits,_ZN9rocsolver6v33100L16org2r_init_identI19rocblas_complex_numIdEPS3_EEviiiT0_iil,comdat
.Lfunc_end235:
	.size	_ZN9rocsolver6v33100L16org2r_init_identI19rocblas_complex_numIdEPS3_EEviiiT0_iil, .Lfunc_end235-_ZN9rocsolver6v33100L16org2r_init_identI19rocblas_complex_numIdEPS3_EEviiiT0_iil
                                        ; -- End function
	.section	.AMDGPU.csdata,"",@progbits
; Kernel info:
; codeLenInByte = 472
; NumSgprs: 20
; NumVgprs: 6
; NumAgprs: 0
; TotalNumVgprs: 6
; ScratchSize: 0
; MemoryBound: 0
; FloatMode: 240
; IeeeMode: 1
; LDSByteSize: 0 bytes/workgroup (compile time only)
; SGPRBlocks: 2
; VGPRBlocks: 0
; NumSGPRsForWavesPerEU: 20
; NumVGPRsForWavesPerEU: 6
; AccumOffset: 8
; Occupancy: 8
; WaveLimiterHint : 0
; COMPUTE_PGM_RSRC2:SCRATCH_EN: 0
; COMPUTE_PGM_RSRC2:USER_SGPR: 6
; COMPUTE_PGM_RSRC2:TRAP_HANDLER: 0
; COMPUTE_PGM_RSRC2:TGID_X_EN: 1
; COMPUTE_PGM_RSRC2:TGID_Y_EN: 1
; COMPUTE_PGM_RSRC2:TGID_Z_EN: 1
; COMPUTE_PGM_RSRC2:TIDIG_COMP_CNT: 1
; COMPUTE_PGM_RSRC3_GFX90A:ACCUM_OFFSET: 1
; COMPUTE_PGM_RSRC3_GFX90A:TG_SPLIT: 0
	.section	.text._ZN9rocsolver6v33100L16larf_left_kernelILi1024E19rocblas_complex_numIdEiPS3_EEvT1_S5_T2_lS5_lPKT0_lS6_lS5_l,"axG",@progbits,_ZN9rocsolver6v33100L16larf_left_kernelILi1024E19rocblas_complex_numIdEiPS3_EEvT1_S5_T2_lS5_lPKT0_lS6_lS5_l,comdat
	.globl	_ZN9rocsolver6v33100L16larf_left_kernelILi1024E19rocblas_complex_numIdEiPS3_EEvT1_S5_T2_lS5_lPKT0_lS6_lS5_l ; -- Begin function _ZN9rocsolver6v33100L16larf_left_kernelILi1024E19rocblas_complex_numIdEiPS3_EEvT1_S5_T2_lS5_lPKT0_lS6_lS5_l
	.p2align	8
	.type	_ZN9rocsolver6v33100L16larf_left_kernelILi1024E19rocblas_complex_numIdEiPS3_EEvT1_S5_T2_lS5_lPKT0_lS6_lS5_l,@function
_ZN9rocsolver6v33100L16larf_left_kernelILi1024E19rocblas_complex_numIdEiPS3_EEvT1_S5_T2_lS5_lPKT0_lS6_lS5_l: ; @_ZN9rocsolver6v33100L16larf_left_kernelILi1024E19rocblas_complex_numIdEiPS3_EEvT1_S5_T2_lS5_lPKT0_lS6_lS5_l
; %bb.0:
	s_load_dword s9, s[4:5], 0x0
	s_load_dwordx8 s[12:19], s[4:5], 0x20
	s_load_dwordx2 s[2:3], s[4:5], 0x40
	s_load_dword s20, s[4:5], 0x48
	s_load_dwordx2 s[10:11], s[4:5], 0x50
	s_ashr_i32 s27, s8, 31
	v_pk_mov_b32 v[2:3], 0, 0
	s_waitcnt lgkmcnt(0)
	v_cmp_gt_i32_e64 s[0:1], s9, v0
	s_mov_b64 s[22:23], 0
	s_mul_i32 s24, s10, s27
	s_mul_hi_u32 s25, s10, s8
	s_mul_i32 s26, s11, s8
	s_mul_i32 s6, s10, s8
	s_mul_hi_i32 s11, s7, s20
	s_mul_i32 s10, s7, s20
	v_pk_mov_b32 v[4:5], v[2:3], v[2:3] op_sel:[0,1]
	s_and_saveexec_b64 s[20:21], s[0:1]
	s_cbranch_execz .LBB236_6
; %bb.1:
	s_load_dword s34, s[4:5], 0x18
	s_load_dwordx4 s[28:31], s[4:5], 0x8
	s_sub_i32 s4, 1, s9
	s_mul_hi_u32 s33, s12, s8
	s_mul_i32 s13, s13, s8
	s_waitcnt lgkmcnt(0)
	s_ashr_i32 s35, s34, 31
	s_mul_i32 s7, s4, s34
	v_cmp_lt_i64_e64 s[4:5], s[34:35], 1
	s_and_b64 s[4:5], s[4:5], exec
	s_cselect_b32 s4, s7, 0
	s_mul_i32 s7, s12, s27
	s_add_i32 s7, s33, s7
	s_ashr_i32 s5, s4, 31
	s_add_i32 s13, s7, s13
	s_mul_i32 s12, s12, s8
	s_lshl_b64 s[12:13], s[12:13], 4
	s_lshl_b64 s[30:31], s[30:31], 4
	;; [unrolled: 1-line block ×3, first 2 shown]
	s_add_u32 s4, s28, s4
	s_addc_u32 s5, s29, s5
	s_add_u32 s4, s4, s30
	s_addc_u32 s5, s5, s31
	v_mad_i64_i32 v[2:3], s[36:37], s34, v0, 0
	s_add_u32 s4, s4, s12
	v_lshl_add_u32 v1, v0, 4, 0
	v_lshlrev_b64 v[2:3], 4, v[2:3]
	s_addc_u32 s5, s5, s13
	v_add_u32_e32 v1, 0x100, v1
	v_mov_b32_e32 v4, s5
	v_add_co_u32_e32 v2, vcc, s4, v2
	s_lshl_b64 s[4:5], s[34:35], 14
	v_addc_co_u32_e32 v3, vcc, v4, v3, vcc
	v_mov_b32_e32 v4, s5
	v_mov_b32_e32 v5, v1
	;; [unrolled: 1-line block ×3, first 2 shown]
.LBB236_2:                              ; =>This Inner Loop Header: Depth=1
	global_load_dwordx4 v[8:11], v[2:3], off
	v_add_co_u32_e32 v2, vcc, s4, v2
	v_add_u32_e32 v6, 0x400, v6
	v_addc_co_u32_e32 v3, vcc, v3, v4, vcc
	v_cmp_le_i32_e32 vcc, s9, v6
	s_or_b64 s[22:23], vcc, s[22:23]
	s_waitcnt vmcnt(0)
	ds_write2_b64 v5, v[8:9], v[10:11] offset1:1
	v_add_u32_e32 v5, 0x4000, v5
	s_andn2_b64 exec, exec, s[22:23]
	s_cbranch_execnz .LBB236_2
; %bb.3:
	s_or_b64 exec, exec, s[22:23]
	s_add_i32 s4, s25, s24
	s_add_i32 s7, s4, s26
	s_lshl_b64 s[4:5], s[6:7], 4
	s_lshl_b64 s[12:13], s[10:11], 4
	s_add_u32 s7, s4, s12
	s_addc_u32 s12, s5, s13
	s_lshl_b64 s[4:5], s[2:3], 4
	s_add_u32 s4, s7, s4
	s_addc_u32 s5, s12, s5
	s_add_u32 s4, s18, s4
	v_lshlrev_b32_e32 v2, 4, v0
	s_addc_u32 s5, s19, s5
	v_mov_b32_e32 v3, s5
	v_add_co_u32_e32 v2, vcc, s4, v2
	v_addc_co_u32_e32 v3, vcc, 0, v3, vcc
	v_add_co_u32_e32 v6, vcc, 8, v2
	v_addc_co_u32_e32 v7, vcc, 0, v3, vcc
	v_pk_mov_b32 v[2:3], 0, 0
	s_mov_b64 s[4:5], 0
	v_mov_b32_e32 v8, v0
	v_pk_mov_b32 v[4:5], v[2:3], v[2:3] op_sel:[0,1]
.LBB236_4:                              ; =>This Inner Loop Header: Depth=1
	global_load_dwordx4 v[10:13], v[6:7], off offset:-8
	ds_read2_b64 v[14:17], v1 offset1:1
	v_add_co_u32_e32 v6, vcc, 0x4000, v6
	v_add_u32_e32 v8, 0x400, v8
	v_addc_co_u32_e32 v7, vcc, 0, v7, vcc
	v_cmp_le_i32_e32 vcc, s9, v8
	v_add_u32_e32 v1, 0x4000, v1
	s_or_b64 s[4:5], vcc, s[4:5]
	s_waitcnt vmcnt(0) lgkmcnt(0)
	v_mul_f64 v[18:19], v[12:13], v[16:17]
	v_mul_f64 v[12:13], v[12:13], v[14:15]
	v_fmac_f64_e32 v[18:19], v[10:11], v[14:15]
	v_fma_f64 v[10:11], v[10:11], v[16:17], -v[12:13]
	v_add_f64 v[4:5], v[4:5], v[18:19]
	v_add_f64 v[2:3], v[2:3], v[10:11]
	s_andn2_b64 exec, exec, s[4:5]
	s_cbranch_execnz .LBB236_4
; %bb.5:
	s_or_b64 exec, exec, s[4:5]
.LBB236_6:
	s_or_b64 exec, exec, s[20:21]
	v_mbcnt_lo_u32_b32 v1, -1, 0
	v_mbcnt_hi_u32_b32 v1, -1, v1
	v_and_b32_e32 v10, 63, v1
	v_cmp_ne_u32_e32 vcc, 63, v10
	v_addc_co_u32_e32 v6, vcc, 0, v1, vcc
	v_lshlrev_b32_e32 v9, 2, v6
	ds_bpermute_b32 v6, v9, v4
	ds_bpermute_b32 v7, v9, v5
	ds_bpermute_b32 v8, v9, v2
	ds_bpermute_b32 v9, v9, v3
	v_cmp_gt_u32_e32 vcc, 62, v10
	s_waitcnt lgkmcnt(2)
	v_add_f64 v[4:5], v[4:5], v[6:7]
	v_cndmask_b32_e64 v6, 0, 1, vcc
	v_lshlrev_b32_e32 v6, 1, v6
	s_waitcnt lgkmcnt(0)
	v_add_f64 v[2:3], v[2:3], v[8:9]
	v_add_lshl_u32 v9, v6, v1, 2
	ds_bpermute_b32 v6, v9, v4
	ds_bpermute_b32 v7, v9, v5
	ds_bpermute_b32 v8, v9, v2
	ds_bpermute_b32 v9, v9, v3
	v_cmp_gt_u32_e32 vcc, 60, v10
	s_waitcnt lgkmcnt(2)
	v_add_f64 v[4:5], v[4:5], v[6:7]
	v_cndmask_b32_e64 v6, 0, 1, vcc
	v_lshlrev_b32_e32 v6, 2, v6
	s_waitcnt lgkmcnt(0)
	v_add_f64 v[2:3], v[2:3], v[8:9]
	v_add_lshl_u32 v9, v6, v1, 2
	;; [unrolled: 12-line block ×4, first 2 shown]
	ds_bpermute_b32 v6, v9, v4
	ds_bpermute_b32 v7, v9, v5
	;; [unrolled: 1-line block ×4, first 2 shown]
	v_cmp_gt_u32_e32 vcc, 32, v10
	s_waitcnt lgkmcnt(2)
	v_add_f64 v[4:5], v[4:5], v[6:7]
	s_waitcnt lgkmcnt(0)
	v_add_f64 v[6:7], v[2:3], v[8:9]
	v_cndmask_b32_e64 v2, 0, 1, vcc
	v_lshlrev_b32_e32 v2, 5, v2
	v_add_lshl_u32 v1, v2, v1, 2
	ds_bpermute_b32 v2, v1, v4
	ds_bpermute_b32 v3, v1, v5
	ds_bpermute_b32 v8, v1, v6
	ds_bpermute_b32 v9, v1, v7
	v_and_b32_e32 v1, 63, v0
	v_cmp_eq_u32_e32 vcc, 0, v1
	s_waitcnt lgkmcnt(2)
	v_add_f64 v[2:3], v[4:5], v[2:3]
	s_waitcnt lgkmcnt(0)
	v_add_f64 v[4:5], v[6:7], v[8:9]
	s_and_saveexec_b64 s[4:5], vcc
	s_cbranch_execz .LBB236_8
; %bb.7:
	v_lshrrev_b32_e32 v1, 2, v0
	v_add_u32_e32 v1, 0, v1
	ds_write2_b64 v1, v[2:3], v[4:5] offset1:1
.LBB236_8:
	s_or_b64 exec, exec, s[4:5]
	v_cmp_eq_u32_e32 vcc, 0, v0
	s_waitcnt lgkmcnt(0)
	s_barrier
	s_and_saveexec_b64 s[4:5], vcc
	s_cbranch_execz .LBB236_10
; %bb.9:
	v_mov_b32_e32 v1, 0
	ds_read2_b64 v[6:9], v1 offset0:2 offset1:3
	ds_read2_b64 v[10:13], v1 offset0:4 offset1:5
	;; [unrolled: 1-line block ×4, first 2 shown]
	s_waitcnt lgkmcnt(3)
	v_add_f64 v[2:3], v[2:3], v[6:7]
	v_add_f64 v[4:5], v[4:5], v[8:9]
	s_waitcnt lgkmcnt(2)
	v_add_f64 v[2:3], v[2:3], v[10:11]
	v_add_f64 v[6:7], v[4:5], v[12:13]
	s_waitcnt lgkmcnt(1)
	v_add_f64 v[8:9], v[2:3], v[14:15]
	ds_read2_b64 v[2:5], v1 offset0:10 offset1:11
	v_add_f64 v[10:11], v[6:7], v[16:17]
	s_waitcnt lgkmcnt(1)
	v_add_f64 v[12:13], v[8:9], v[18:19]
	ds_read2_b64 v[6:9], v1 offset0:12 offset1:13
	;; [unrolled: 4-line block ×8, first 2 shown]
	v_add_f64 v[12:13], v[14:15], v[12:13]
	s_waitcnt lgkmcnt(1)
	v_add_f64 v[10:11], v[10:11], v[2:3]
	v_add_f64 v[14:15], v[12:13], v[4:5]
	ds_read2_b64 v[2:5], v1 offset0:26 offset1:27
	s_waitcnt lgkmcnt(1)
	v_add_f64 v[16:17], v[10:11], v[6:7]
	ds_read2_b64 v[10:13], v1 offset0:28 offset1:29
	v_add_f64 v[14:15], v[14:15], v[8:9]
	ds_read2_b64 v[6:9], v1 offset0:30 offset1:31
	s_waitcnt lgkmcnt(2)
	v_add_f64 v[2:3], v[16:17], v[2:3]
	v_add_f64 v[4:5], v[14:15], v[4:5]
	s_waitcnt lgkmcnt(1)
	v_add_f64 v[2:3], v[2:3], v[10:11]
	v_add_f64 v[4:5], v[4:5], v[12:13]
	;; [unrolled: 3-line block ×3, first 2 shown]
	ds_write2_b64 v1, v[2:3], v[4:5] offset1:1
.LBB236_10:
	s_or_b64 exec, exec, s[4:5]
	s_waitcnt lgkmcnt(0)
	s_barrier
	s_and_saveexec_b64 s[4:5], s[0:1]
	s_cbranch_execz .LBB236_13
; %bb.11:
	s_mul_i32 s0, s8, s17
	s_mul_hi_u32 s1, s8, s16
	s_add_i32 s0, s1, s0
	s_mul_i32 s1, s27, s16
	s_add_i32 s1, s0, s1
	s_mul_i32 s0, s8, s16
	s_lshl_b64 s[0:1], s[0:1], 4
	s_add_u32 s0, s14, s0
	s_addc_u32 s1, s15, s1
	s_load_dwordx4 s[12:15], s[0:1], 0x0
	v_mov_b32_e32 v1, 0
	s_add_i32 s0, s25, s24
	ds_read2_b64 v[4:7], v1 offset1:1
	s_add_i32 s7, s0, s26
	s_lshl_b64 s[0:1], s[6:7], 4
	s_lshl_b64 s[4:5], s[10:11], 4
	s_add_u32 s4, s0, s4
	s_addc_u32 s5, s1, s5
	s_lshl_b64 s[0:1], s[2:3], 4
	s_add_u32 s0, s4, s0
	s_waitcnt lgkmcnt(0)
	v_mul_f64 v[2:3], s[14:15], v[6:7]
	s_addc_u32 s1, s5, s1
	v_fma_f64 v[2:3], v[4:5], -s[12:13], -v[2:3]
	v_mul_f64 v[4:5], s[14:15], v[4:5]
	s_add_u32 s0, s18, s0
	v_fma_f64 v[4:5], s[12:13], v[6:7], -v[4:5]
	v_lshlrev_b32_e32 v6, 4, v0
	s_addc_u32 s1, s19, s1
	v_add_u32_e32 v1, 0, v6
	v_mov_b32_e32 v7, s1
	v_add_co_u32_e32 v6, vcc, s0, v6
	v_addc_co_u32_e32 v7, vcc, 0, v7, vcc
	v_add_co_u32_e32 v6, vcc, 8, v6
	v_add_u32_e32 v1, 0x100, v1
	v_addc_co_u32_e32 v7, vcc, 0, v7, vcc
	s_mov_b64 s[0:1], 0
.LBB236_12:                             ; =>This Inner Loop Header: Depth=1
	global_load_dwordx4 v[8:11], v[6:7], off offset:-8
	ds_read2_b64 v[12:15], v1 offset1:1
	v_add_u32_e32 v0, 0x400, v0
	v_cmp_le_i32_e32 vcc, s9, v0
	s_or_b64 s[0:1], vcc, s[0:1]
	v_add_u32_e32 v1, 0x4000, v1
	s_waitcnt lgkmcnt(0)
	v_mul_f64 v[16:17], v[4:5], v[14:15]
	v_mul_f64 v[14:15], v[2:3], v[14:15]
	v_fma_f64 v[16:17], v[2:3], v[12:13], -v[16:17]
	v_fmac_f64_e32 v[14:15], v[4:5], v[12:13]
	s_waitcnt vmcnt(0)
	v_add_f64 v[8:9], v[8:9], v[16:17]
	v_add_f64 v[10:11], v[10:11], v[14:15]
	global_store_dwordx4 v[6:7], v[8:11], off offset:-8
	v_add_co_u32_e32 v6, vcc, 0x4000, v6
	v_addc_co_u32_e32 v7, vcc, 0, v7, vcc
	s_andn2_b64 exec, exec, s[0:1]
	s_cbranch_execnz .LBB236_12
.LBB236_13:
	s_endpgm
	.section	.rodata,"a",@progbits
	.p2align	6, 0x0
	.amdhsa_kernel _ZN9rocsolver6v33100L16larf_left_kernelILi1024E19rocblas_complex_numIdEiPS3_EEvT1_S5_T2_lS5_lPKT0_lS6_lS5_l
		.amdhsa_group_segment_fixed_size 0
		.amdhsa_private_segment_fixed_size 0
		.amdhsa_kernarg_size 88
		.amdhsa_user_sgpr_count 6
		.amdhsa_user_sgpr_private_segment_buffer 1
		.amdhsa_user_sgpr_dispatch_ptr 0
		.amdhsa_user_sgpr_queue_ptr 0
		.amdhsa_user_sgpr_kernarg_segment_ptr 1
		.amdhsa_user_sgpr_dispatch_id 0
		.amdhsa_user_sgpr_flat_scratch_init 0
		.amdhsa_user_sgpr_kernarg_preload_length 0
		.amdhsa_user_sgpr_kernarg_preload_offset 0
		.amdhsa_user_sgpr_private_segment_size 0
		.amdhsa_uses_dynamic_stack 0
		.amdhsa_system_sgpr_private_segment_wavefront_offset 0
		.amdhsa_system_sgpr_workgroup_id_x 1
		.amdhsa_system_sgpr_workgroup_id_y 1
		.amdhsa_system_sgpr_workgroup_id_z 1
		.amdhsa_system_sgpr_workgroup_info 0
		.amdhsa_system_vgpr_workitem_id 0
		.amdhsa_next_free_vgpr 22
		.amdhsa_next_free_sgpr 38
		.amdhsa_accum_offset 24
		.amdhsa_reserve_vcc 1
		.amdhsa_reserve_flat_scratch 0
		.amdhsa_float_round_mode_32 0
		.amdhsa_float_round_mode_16_64 0
		.amdhsa_float_denorm_mode_32 3
		.amdhsa_float_denorm_mode_16_64 3
		.amdhsa_dx10_clamp 1
		.amdhsa_ieee_mode 1
		.amdhsa_fp16_overflow 0
		.amdhsa_tg_split 0
		.amdhsa_exception_fp_ieee_invalid_op 0
		.amdhsa_exception_fp_denorm_src 0
		.amdhsa_exception_fp_ieee_div_zero 0
		.amdhsa_exception_fp_ieee_overflow 0
		.amdhsa_exception_fp_ieee_underflow 0
		.amdhsa_exception_fp_ieee_inexact 0
		.amdhsa_exception_int_div_zero 0
	.end_amdhsa_kernel
	.section	.text._ZN9rocsolver6v33100L16larf_left_kernelILi1024E19rocblas_complex_numIdEiPS3_EEvT1_S5_T2_lS5_lPKT0_lS6_lS5_l,"axG",@progbits,_ZN9rocsolver6v33100L16larf_left_kernelILi1024E19rocblas_complex_numIdEiPS3_EEvT1_S5_T2_lS5_lPKT0_lS6_lS5_l,comdat
.Lfunc_end236:
	.size	_ZN9rocsolver6v33100L16larf_left_kernelILi1024E19rocblas_complex_numIdEiPS3_EEvT1_S5_T2_lS5_lPKT0_lS6_lS5_l, .Lfunc_end236-_ZN9rocsolver6v33100L16larf_left_kernelILi1024E19rocblas_complex_numIdEiPS3_EEvT1_S5_T2_lS5_lPKT0_lS6_lS5_l
                                        ; -- End function
	.section	.AMDGPU.csdata,"",@progbits
; Kernel info:
; codeLenInByte = 1848
; NumSgprs: 42
; NumVgprs: 22
; NumAgprs: 0
; TotalNumVgprs: 22
; ScratchSize: 0
; MemoryBound: 0
; FloatMode: 240
; IeeeMode: 1
; LDSByteSize: 0 bytes/workgroup (compile time only)
; SGPRBlocks: 5
; VGPRBlocks: 2
; NumSGPRsForWavesPerEU: 42
; NumVGPRsForWavesPerEU: 22
; AccumOffset: 24
; Occupancy: 8
; WaveLimiterHint : 0
; COMPUTE_PGM_RSRC2:SCRATCH_EN: 0
; COMPUTE_PGM_RSRC2:USER_SGPR: 6
; COMPUTE_PGM_RSRC2:TRAP_HANDLER: 0
; COMPUTE_PGM_RSRC2:TGID_X_EN: 1
; COMPUTE_PGM_RSRC2:TGID_Y_EN: 1
; COMPUTE_PGM_RSRC2:TGID_Z_EN: 1
; COMPUTE_PGM_RSRC2:TIDIG_COMP_CNT: 0
; COMPUTE_PGM_RSRC3_GFX90A:ACCUM_OFFSET: 5
; COMPUTE_PGM_RSRC3_GFX90A:TG_SPLIT: 0
	.section	.text._ZN9rocsolver6v33100L17larf_right_kernelILi1024E19rocblas_complex_numIdEiPS3_EEvT1_S5_T2_lS5_lPKT0_lS6_lS5_l,"axG",@progbits,_ZN9rocsolver6v33100L17larf_right_kernelILi1024E19rocblas_complex_numIdEiPS3_EEvT1_S5_T2_lS5_lPKT0_lS6_lS5_l,comdat
	.globl	_ZN9rocsolver6v33100L17larf_right_kernelILi1024E19rocblas_complex_numIdEiPS3_EEvT1_S5_T2_lS5_lPKT0_lS6_lS5_l ; -- Begin function _ZN9rocsolver6v33100L17larf_right_kernelILi1024E19rocblas_complex_numIdEiPS3_EEvT1_S5_T2_lS5_lPKT0_lS6_lS5_l
	.p2align	8
	.type	_ZN9rocsolver6v33100L17larf_right_kernelILi1024E19rocblas_complex_numIdEiPS3_EEvT1_S5_T2_lS5_lPKT0_lS6_lS5_l,@function
_ZN9rocsolver6v33100L17larf_right_kernelILi1024E19rocblas_complex_numIdEiPS3_EEvT1_S5_T2_lS5_lPKT0_lS6_lS5_l: ; @_ZN9rocsolver6v33100L17larf_right_kernelILi1024E19rocblas_complex_numIdEiPS3_EEvT1_S5_T2_lS5_lPKT0_lS6_lS5_l
; %bb.0:
	s_load_dword s9, s[4:5], 0x4
	s_load_dwordx8 s[12:19], s[4:5], 0x20
	s_load_dwordx2 s[10:11], s[4:5], 0x40
	s_load_dword s2, s[4:5], 0x48
	s_load_dwordx2 s[0:1], s[4:5], 0x50
	s_ashr_i32 s29, s8, 31
	v_pk_mov_b32 v[2:3], 0, 0
	s_mov_b32 s6, s7
	s_ashr_i32 s7, s7, 31
	s_waitcnt lgkmcnt(0)
	v_cmp_gt_i32_e32 vcc, s9, v0
	s_mov_b64 s[24:25], 0
	v_lshl_add_u32 v1, v0, 4, 0
	s_mul_i32 s26, s0, s29
	s_mul_hi_u32 s27, s0, s8
	s_mul_i32 s28, s1, s8
	s_mul_i32 s20, s0, s8
	v_pk_mov_b32 v[4:5], v[2:3], v[2:3] op_sel:[0,1]
	s_and_saveexec_b64 s[22:23], vcc
	s_cbranch_execz .LBB237_6
; %bb.1:
	s_load_dword s30, s[4:5], 0x18
	s_load_dwordx4 s[36:39], s[4:5], 0x8
	s_sub_i32 s0, 1, s9
	s_mul_hi_u32 s4, s12, s8
	v_add_u32_e32 v8, 0x100, v1
	s_waitcnt lgkmcnt(0)
	s_ashr_i32 s31, s30, 31
	s_mul_i32 s3, s0, s30
	v_cmp_lt_i64_e64 s[0:1], s[30:31], 1
	s_and_b64 s[0:1], s[0:1], exec
	s_cselect_b32 s0, s3, 0
	s_mul_i32 s3, s12, s29
	s_add_i32 s3, s4, s3
	s_mul_i32 s4, s13, s8
	s_ashr_i32 s1, s0, 31
	s_add_i32 s5, s3, s4
	s_mul_i32 s4, s12, s8
	v_mad_i64_i32 v[2:3], s[12:13], s30, v0, 0
	s_lshl_b64 s[4:5], s[4:5], 4
	s_lshl_b64 s[12:13], s[38:39], 4
	;; [unrolled: 1-line block ×3, first 2 shown]
	s_add_u32 s0, s36, s0
	s_addc_u32 s1, s37, s1
	s_add_u32 s0, s0, s12
	s_addc_u32 s1, s1, s13
	s_add_u32 s0, s0, s4
	v_lshlrev_b64 v[2:3], 4, v[2:3]
	s_addc_u32 s1, s1, s5
	v_mov_b32_e32 v4, s1
	v_add_co_u32_e64 v2, s[0:1], s0, v2
	s_lshl_b64 s[4:5], s[30:31], 14
	v_addc_co_u32_e64 v3, s[0:1], v4, v3, s[0:1]
	v_mov_b32_e32 v4, s5
	v_mov_b32_e32 v5, v8
	;; [unrolled: 1-line block ×3, first 2 shown]
.LBB237_2:                              ; =>This Inner Loop Header: Depth=1
	global_load_dwordx4 v[10:13], v[2:3], off
	v_add_co_u32_e64 v2, s[0:1], s4, v2
	v_add_u32_e32 v6, 0x400, v6
	v_addc_co_u32_e64 v3, s[0:1], v3, v4, s[0:1]
	v_cmp_le_i32_e64 s[0:1], s9, v6
	s_or_b64 s[24:25], s[0:1], s[24:25]
	s_waitcnt vmcnt(0)
	ds_write2_b64 v5, v[10:11], v[12:13] offset1:1
	v_add_u32_e32 v5, 0x4000, v5
	s_andn2_b64 exec, exec, s[24:25]
	s_cbranch_execnz .LBB237_2
; %bb.3:
	s_or_b64 exec, exec, s[24:25]
	s_add_i32 s0, s27, s26
	s_add_i32 s21, s0, s28
	v_mad_i64_i32 v[2:3], s[4:5], s2, v0, 0
	s_ashr_i32 s3, s2, 31
	s_lshl_b64 s[0:1], s[20:21], 4
	s_lshl_b64 s[4:5], s[10:11], 4
	;; [unrolled: 1-line block ×3, first 2 shown]
	s_add_u32 s12, s18, s12
	s_addc_u32 s13, s19, s13
	s_add_u32 s4, s12, s4
	s_addc_u32 s5, s13, s5
	s_add_u32 s0, s4, s0
	v_lshlrev_b64 v[2:3], 4, v[2:3]
	s_addc_u32 s1, s5, s1
	v_mov_b32_e32 v4, s1
	v_add_co_u32_e64 v2, s[0:1], s0, v2
	v_addc_co_u32_e64 v3, s[0:1], v4, v3, s[0:1]
	v_add_co_u32_e64 v6, s[0:1], 8, v2
	v_addc_co_u32_e64 v7, s[0:1], 0, v3, s[0:1]
	s_lshl_b64 s[12:13], s[2:3], 14
	v_pk_mov_b32 v[2:3], 0, 0
	s_mov_b64 s[4:5], 0
	v_mov_b32_e32 v9, s13
	v_mov_b32_e32 v10, v0
	v_pk_mov_b32 v[4:5], v[2:3], v[2:3] op_sel:[0,1]
.LBB237_4:                              ; =>This Inner Loop Header: Depth=1
	global_load_dwordx4 v[12:15], v[6:7], off offset:-8
	ds_read2_b64 v[16:19], v8 offset1:1
	v_add_co_u32_e64 v6, s[0:1], s12, v6
	v_add_u32_e32 v10, 0x400, v10
	v_addc_co_u32_e64 v7, s[0:1], v7, v9, s[0:1]
	v_cmp_le_i32_e64 s[0:1], s9, v10
	v_add_u32_e32 v8, 0x4000, v8
	s_or_b64 s[4:5], s[0:1], s[4:5]
	s_waitcnt vmcnt(0) lgkmcnt(0)
	v_mul_f64 v[20:21], v[18:19], v[14:15]
	v_mul_f64 v[14:15], v[16:17], v[14:15]
	v_fma_f64 v[16:17], v[16:17], v[12:13], -v[20:21]
	v_fmac_f64_e32 v[14:15], v[18:19], v[12:13]
	v_add_f64 v[4:5], v[4:5], v[16:17]
	v_add_f64 v[2:3], v[2:3], v[14:15]
	s_andn2_b64 exec, exec, s[4:5]
	s_cbranch_execnz .LBB237_4
; %bb.5:
	s_or_b64 exec, exec, s[4:5]
.LBB237_6:
	s_or_b64 exec, exec, s[22:23]
	v_mbcnt_lo_u32_b32 v6, -1, 0
	v_mbcnt_hi_u32_b32 v10, -1, v6
	v_and_b32_e32 v11, 63, v10
	v_cmp_ne_u32_e64 s[0:1], 63, v11
	v_addc_co_u32_e64 v6, s[0:1], 0, v10, s[0:1]
	v_lshlrev_b32_e32 v9, 2, v6
	ds_bpermute_b32 v6, v9, v4
	ds_bpermute_b32 v7, v9, v5
	ds_bpermute_b32 v8, v9, v2
	ds_bpermute_b32 v9, v9, v3
	v_cmp_gt_u32_e64 s[0:1], 62, v11
	s_waitcnt lgkmcnt(2)
	v_add_f64 v[4:5], v[4:5], v[6:7]
	v_cndmask_b32_e64 v6, 0, 1, s[0:1]
	v_lshlrev_b32_e32 v6, 1, v6
	s_waitcnt lgkmcnt(0)
	v_add_f64 v[2:3], v[2:3], v[8:9]
	v_add_lshl_u32 v9, v6, v10, 2
	ds_bpermute_b32 v6, v9, v4
	ds_bpermute_b32 v7, v9, v5
	ds_bpermute_b32 v8, v9, v2
	ds_bpermute_b32 v9, v9, v3
	v_cmp_gt_u32_e64 s[0:1], 60, v11
	s_waitcnt lgkmcnt(2)
	v_add_f64 v[4:5], v[4:5], v[6:7]
	v_cndmask_b32_e64 v6, 0, 1, s[0:1]
	v_lshlrev_b32_e32 v6, 2, v6
	s_waitcnt lgkmcnt(0)
	v_add_f64 v[2:3], v[2:3], v[8:9]
	v_add_lshl_u32 v9, v6, v10, 2
	;; [unrolled: 12-line block ×4, first 2 shown]
	ds_bpermute_b32 v6, v9, v4
	ds_bpermute_b32 v7, v9, v5
	;; [unrolled: 1-line block ×4, first 2 shown]
	v_cmp_gt_u32_e64 s[0:1], 32, v11
	s_waitcnt lgkmcnt(2)
	v_add_f64 v[4:5], v[4:5], v[6:7]
	s_waitcnt lgkmcnt(0)
	v_add_f64 v[6:7], v[2:3], v[8:9]
	v_cndmask_b32_e64 v2, 0, 1, s[0:1]
	v_lshlrev_b32_e32 v2, 5, v2
	v_add_lshl_u32 v9, v2, v10, 2
	ds_bpermute_b32 v2, v9, v4
	ds_bpermute_b32 v3, v9, v5
	;; [unrolled: 1-line block ×4, first 2 shown]
	s_waitcnt lgkmcnt(2)
	v_add_f64 v[2:3], v[4:5], v[2:3]
	s_waitcnt lgkmcnt(0)
	v_add_f64 v[4:5], v[6:7], v[8:9]
	v_and_b32_e32 v6, 63, v0
	v_cmp_eq_u32_e64 s[0:1], 0, v6
	s_and_saveexec_b64 s[4:5], s[0:1]
	s_cbranch_execz .LBB237_8
; %bb.7:
	v_lshrrev_b32_e32 v6, 2, v0
	v_add_u32_e32 v6, 0, v6
	ds_write2_b64 v6, v[2:3], v[4:5] offset1:1
.LBB237_8:
	s_or_b64 exec, exec, s[4:5]
	v_cmp_eq_u32_e64 s[0:1], 0, v0
	s_waitcnt lgkmcnt(0)
	s_barrier
	s_and_saveexec_b64 s[4:5], s[0:1]
	s_cbranch_execz .LBB237_10
; %bb.9:
	v_mov_b32_e32 v22, 0
	ds_read2_b64 v[6:9], v22 offset0:2 offset1:3
	ds_read2_b64 v[10:13], v22 offset0:4 offset1:5
	ds_read2_b64 v[14:17], v22 offset0:6 offset1:7
	ds_read2_b64 v[18:21], v22 offset0:8 offset1:9
	s_waitcnt lgkmcnt(3)
	v_add_f64 v[2:3], v[2:3], v[6:7]
	v_add_f64 v[4:5], v[4:5], v[8:9]
	s_waitcnt lgkmcnt(2)
	v_add_f64 v[2:3], v[2:3], v[10:11]
	v_add_f64 v[6:7], v[4:5], v[12:13]
	s_waitcnt lgkmcnt(1)
	v_add_f64 v[8:9], v[2:3], v[14:15]
	ds_read2_b64 v[2:5], v22 offset0:10 offset1:11
	v_add_f64 v[10:11], v[6:7], v[16:17]
	s_waitcnt lgkmcnt(1)
	v_add_f64 v[12:13], v[8:9], v[18:19]
	ds_read2_b64 v[6:9], v22 offset0:12 offset1:13
	;; [unrolled: 4-line block ×8, first 2 shown]
	v_add_f64 v[12:13], v[14:15], v[12:13]
	s_waitcnt lgkmcnt(1)
	v_add_f64 v[10:11], v[10:11], v[2:3]
	v_add_f64 v[14:15], v[12:13], v[4:5]
	ds_read2_b64 v[2:5], v22 offset0:26 offset1:27
	s_waitcnt lgkmcnt(1)
	v_add_f64 v[16:17], v[10:11], v[6:7]
	ds_read2_b64 v[10:13], v22 offset0:28 offset1:29
	v_add_f64 v[14:15], v[14:15], v[8:9]
	ds_read2_b64 v[6:9], v22 offset0:30 offset1:31
	s_waitcnt lgkmcnt(2)
	v_add_f64 v[2:3], v[16:17], v[2:3]
	v_add_f64 v[4:5], v[14:15], v[4:5]
	s_waitcnt lgkmcnt(1)
	v_add_f64 v[2:3], v[2:3], v[10:11]
	v_add_f64 v[4:5], v[4:5], v[12:13]
	;; [unrolled: 3-line block ×3, first 2 shown]
	ds_write2_b64 v22, v[2:3], v[4:5] offset1:1
.LBB237_10:
	s_or_b64 exec, exec, s[4:5]
	s_waitcnt lgkmcnt(0)
	s_barrier
	s_and_saveexec_b64 s[0:1], vcc
	s_cbranch_execz .LBB237_13
; %bb.11:
	s_mul_i32 s0, s8, s17
	s_mul_hi_u32 s1, s8, s16
	s_add_i32 s0, s1, s0
	s_mul_i32 s1, s29, s16
	s_add_i32 s1, s0, s1
	s_mul_i32 s0, s8, s16
	s_lshl_b64 s[0:1], s[0:1], 4
	s_add_u32 s0, s14, s0
	s_addc_u32 s1, s15, s1
	v_mov_b32_e32 v2, 0
	s_load_dwordx4 s[12:15], s[0:1], 0x0
	ds_read2_b64 v[4:7], v2 offset1:1
	s_add_i32 s0, s27, s26
	s_add_i32 s21, s0, s28
	s_ashr_i32 s3, s2, 31
	s_lshl_b64 s[0:1], s[20:21], 4
	s_waitcnt lgkmcnt(0)
	v_mul_f64 v[2:3], s[12:13], v[4:5]
	v_fma_f64 v[2:3], s[14:15], v[6:7], -v[2:3]
	v_mul_f64 v[6:7], s[12:13], v[6:7]
	v_fma_f64 v[4:5], v[4:5], -s[14:15], -v[6:7]
	v_mad_i64_i32 v[6:7], s[4:5], s2, v0, 0
	s_lshl_b64 s[4:5], s[10:11], 4
	s_lshl_b64 s[6:7], s[6:7], 4
	s_add_u32 s6, s18, s6
	s_addc_u32 s7, s19, s7
	s_add_u32 s4, s6, s4
	s_addc_u32 s5, s7, s5
	s_add_u32 s0, s4, s0
	v_lshlrev_b64 v[6:7], 4, v[6:7]
	s_addc_u32 s1, s5, s1
	v_mov_b32_e32 v8, s1
	v_add_co_u32_e32 v6, vcc, s0, v6
	v_addc_co_u32_e32 v7, vcc, v8, v7, vcc
	v_add_co_u32_e32 v6, vcc, 8, v6
	s_lshl_b64 s[0:1], s[2:3], 14
	v_add_u32_e32 v1, 0x100, v1
	v_addc_co_u32_e32 v7, vcc, 0, v7, vcc
	s_mov_b64 s[2:3], 0
	v_mov_b32_e32 v8, s1
.LBB237_12:                             ; =>This Inner Loop Header: Depth=1
	global_load_dwordx4 v[10:13], v[6:7], off offset:-8
	ds_read2_b64 v[14:17], v1 offset1:1
	v_add_u32_e32 v0, 0x400, v0
	v_cmp_le_i32_e32 vcc, s9, v0
	s_or_b64 s[2:3], vcc, s[2:3]
	v_add_u32_e32 v1, 0x4000, v1
	s_waitcnt lgkmcnt(0)
	v_mul_f64 v[18:19], v[4:5], v[16:17]
	v_mul_f64 v[16:17], v[2:3], v[16:17]
	v_fmac_f64_e32 v[18:19], v[2:3], v[14:15]
	v_fma_f64 v[14:15], v[4:5], v[14:15], -v[16:17]
	s_waitcnt vmcnt(0)
	v_add_f64 v[10:11], v[10:11], v[18:19]
	v_add_f64 v[12:13], v[12:13], v[14:15]
	global_store_dwordx4 v[6:7], v[10:13], off offset:-8
	v_add_co_u32_e32 v6, vcc, s0, v6
	v_addc_co_u32_e32 v7, vcc, v7, v8, vcc
	s_andn2_b64 exec, exec, s[2:3]
	s_cbranch_execnz .LBB237_12
.LBB237_13:
	s_endpgm
	.section	.rodata,"a",@progbits
	.p2align	6, 0x0
	.amdhsa_kernel _ZN9rocsolver6v33100L17larf_right_kernelILi1024E19rocblas_complex_numIdEiPS3_EEvT1_S5_T2_lS5_lPKT0_lS6_lS5_l
		.amdhsa_group_segment_fixed_size 0
		.amdhsa_private_segment_fixed_size 0
		.amdhsa_kernarg_size 88
		.amdhsa_user_sgpr_count 6
		.amdhsa_user_sgpr_private_segment_buffer 1
		.amdhsa_user_sgpr_dispatch_ptr 0
		.amdhsa_user_sgpr_queue_ptr 0
		.amdhsa_user_sgpr_kernarg_segment_ptr 1
		.amdhsa_user_sgpr_dispatch_id 0
		.amdhsa_user_sgpr_flat_scratch_init 0
		.amdhsa_user_sgpr_kernarg_preload_length 0
		.amdhsa_user_sgpr_kernarg_preload_offset 0
		.amdhsa_user_sgpr_private_segment_size 0
		.amdhsa_uses_dynamic_stack 0
		.amdhsa_system_sgpr_private_segment_wavefront_offset 0
		.amdhsa_system_sgpr_workgroup_id_x 1
		.amdhsa_system_sgpr_workgroup_id_y 1
		.amdhsa_system_sgpr_workgroup_id_z 1
		.amdhsa_system_sgpr_workgroup_info 0
		.amdhsa_system_vgpr_workitem_id 0
		.amdhsa_next_free_vgpr 23
		.amdhsa_next_free_sgpr 40
		.amdhsa_accum_offset 24
		.amdhsa_reserve_vcc 1
		.amdhsa_reserve_flat_scratch 0
		.amdhsa_float_round_mode_32 0
		.amdhsa_float_round_mode_16_64 0
		.amdhsa_float_denorm_mode_32 3
		.amdhsa_float_denorm_mode_16_64 3
		.amdhsa_dx10_clamp 1
		.amdhsa_ieee_mode 1
		.amdhsa_fp16_overflow 0
		.amdhsa_tg_split 0
		.amdhsa_exception_fp_ieee_invalid_op 0
		.amdhsa_exception_fp_denorm_src 0
		.amdhsa_exception_fp_ieee_div_zero 0
		.amdhsa_exception_fp_ieee_overflow 0
		.amdhsa_exception_fp_ieee_underflow 0
		.amdhsa_exception_fp_ieee_inexact 0
		.amdhsa_exception_int_div_zero 0
	.end_amdhsa_kernel
	.section	.text._ZN9rocsolver6v33100L17larf_right_kernelILi1024E19rocblas_complex_numIdEiPS3_EEvT1_S5_T2_lS5_lPKT0_lS6_lS5_l,"axG",@progbits,_ZN9rocsolver6v33100L17larf_right_kernelILi1024E19rocblas_complex_numIdEiPS3_EEvT1_S5_T2_lS5_lPKT0_lS6_lS5_l,comdat
.Lfunc_end237:
	.size	_ZN9rocsolver6v33100L17larf_right_kernelILi1024E19rocblas_complex_numIdEiPS3_EEvT1_S5_T2_lS5_lPKT0_lS6_lS5_l, .Lfunc_end237-_ZN9rocsolver6v33100L17larf_right_kernelILi1024E19rocblas_complex_numIdEiPS3_EEvT1_S5_T2_lS5_lPKT0_lS6_lS5_l
                                        ; -- End function
	.section	.AMDGPU.csdata,"",@progbits
; Kernel info:
; codeLenInByte = 1964
; NumSgprs: 44
; NumVgprs: 23
; NumAgprs: 0
; TotalNumVgprs: 23
; ScratchSize: 0
; MemoryBound: 0
; FloatMode: 240
; IeeeMode: 1
; LDSByteSize: 0 bytes/workgroup (compile time only)
; SGPRBlocks: 5
; VGPRBlocks: 2
; NumSGPRsForWavesPerEU: 44
; NumVGPRsForWavesPerEU: 23
; AccumOffset: 24
; Occupancy: 8
; WaveLimiterHint : 0
; COMPUTE_PGM_RSRC2:SCRATCH_EN: 0
; COMPUTE_PGM_RSRC2:USER_SGPR: 6
; COMPUTE_PGM_RSRC2:TRAP_HANDLER: 0
; COMPUTE_PGM_RSRC2:TGID_X_EN: 1
; COMPUTE_PGM_RSRC2:TGID_Y_EN: 1
; COMPUTE_PGM_RSRC2:TGID_Z_EN: 1
; COMPUTE_PGM_RSRC2:TIDIG_COMP_CNT: 0
; COMPUTE_PGM_RSRC3_GFX90A:ACCUM_OFFSET: 5
; COMPUTE_PGM_RSRC3_GFX90A:TG_SPLIT: 0
	.section	.text._ZN9rocsolver6v33100L12subtract_tauI19rocblas_complex_numIdEPS3_EEviiT0_iilPT_l,"axG",@progbits,_ZN9rocsolver6v33100L12subtract_tauI19rocblas_complex_numIdEPS3_EEviiT0_iilPT_l,comdat
	.globl	_ZN9rocsolver6v33100L12subtract_tauI19rocblas_complex_numIdEPS3_EEviiT0_iilPT_l ; -- Begin function _ZN9rocsolver6v33100L12subtract_tauI19rocblas_complex_numIdEPS3_EEviiT0_iilPT_l
	.p2align	8
	.type	_ZN9rocsolver6v33100L12subtract_tauI19rocblas_complex_numIdEPS3_EEviiT0_iilPT_l,@function
_ZN9rocsolver6v33100L12subtract_tauI19rocblas_complex_numIdEPS3_EEviiT0_iilPT_l: ; @_ZN9rocsolver6v33100L12subtract_tauI19rocblas_complex_numIdEPS3_EEviiT0_iilPT_l
; %bb.0:
	s_load_dwordx2 s[12:13], s[4:5], 0x10
	s_load_dwordx4 s[8:11], s[4:5], 0x18
	s_load_dwordx4 s[0:3], s[4:5], 0x0
	s_load_dwordx2 s[14:15], s[4:5], 0x28
	v_mov_b32_e32 v4, 0
	s_waitcnt lgkmcnt(0)
	s_ashr_i32 s5, s12, 31
	s_mul_i32 s7, s6, s9
	s_mul_hi_u32 s9, s6, s8
	s_add_i32 s9, s9, s7
	s_mul_i32 s8, s6, s8
	s_lshl_b64 s[8:9], s[8:9], 4
	s_mov_b32 s4, s12
	s_add_u32 s7, s2, s8
	s_addc_u32 s8, s3, s9
	s_lshl_b64 s[2:3], s[4:5], 4
	s_add_u32 s9, s7, s2
	s_addc_u32 s8, s8, s3
	s_mul_i32 s2, s6, s15
	s_mul_hi_u32 s3, s6, s14
	s_add_i32 s3, s3, s2
	s_mul_i32 s2, s6, s14
	s_lshl_b64 s[2:3], s[2:3], 4
	s_add_u32 s2, s10, s2
	s_addc_u32 s3, s11, s3
	s_load_dwordx4 s[4:7], s[2:3], 0x0
	s_mul_i32 s1, s13, s1
	s_add_i32 s0, s1, s0
	s_ashr_i32 s1, s0, 31
	s_lshl_b64 s[0:1], s[0:1], 4
	s_waitcnt lgkmcnt(0)
	s_xor_b32 s10, s5, 0x80000000
	s_xor_b32 s7, s7, 0x80000000
	v_mov_b32_e32 v0, s4
	v_mov_b32_e32 v1, s10
	v_mov_b32_e32 v2, s6
	v_mov_b32_e32 v3, s7
	s_add_u32 s0, s9, s0
	global_store_dwordx4 v4, v[0:3], s[2:3]
	s_addc_u32 s1, s8, s1
	v_add_f64 v[0:1], -s[4:5], 1.0
	global_store_dwordx4 v4, v[0:3], s[0:1]
	s_endpgm
	.section	.rodata,"a",@progbits
	.p2align	6, 0x0
	.amdhsa_kernel _ZN9rocsolver6v33100L12subtract_tauI19rocblas_complex_numIdEPS3_EEviiT0_iilPT_l
		.amdhsa_group_segment_fixed_size 0
		.amdhsa_private_segment_fixed_size 0
		.amdhsa_kernarg_size 48
		.amdhsa_user_sgpr_count 6
		.amdhsa_user_sgpr_private_segment_buffer 1
		.amdhsa_user_sgpr_dispatch_ptr 0
		.amdhsa_user_sgpr_queue_ptr 0
		.amdhsa_user_sgpr_kernarg_segment_ptr 1
		.amdhsa_user_sgpr_dispatch_id 0
		.amdhsa_user_sgpr_flat_scratch_init 0
		.amdhsa_user_sgpr_kernarg_preload_length 0
		.amdhsa_user_sgpr_kernarg_preload_offset 0
		.amdhsa_user_sgpr_private_segment_size 0
		.amdhsa_uses_dynamic_stack 0
		.amdhsa_system_sgpr_private_segment_wavefront_offset 0
		.amdhsa_system_sgpr_workgroup_id_x 1
		.amdhsa_system_sgpr_workgroup_id_y 0
		.amdhsa_system_sgpr_workgroup_id_z 0
		.amdhsa_system_sgpr_workgroup_info 0
		.amdhsa_system_vgpr_workitem_id 0
		.amdhsa_next_free_vgpr 5
		.amdhsa_next_free_sgpr 16
		.amdhsa_accum_offset 8
		.amdhsa_reserve_vcc 0
		.amdhsa_reserve_flat_scratch 0
		.amdhsa_float_round_mode_32 0
		.amdhsa_float_round_mode_16_64 0
		.amdhsa_float_denorm_mode_32 3
		.amdhsa_float_denorm_mode_16_64 3
		.amdhsa_dx10_clamp 1
		.amdhsa_ieee_mode 1
		.amdhsa_fp16_overflow 0
		.amdhsa_tg_split 0
		.amdhsa_exception_fp_ieee_invalid_op 0
		.amdhsa_exception_fp_denorm_src 0
		.amdhsa_exception_fp_ieee_div_zero 0
		.amdhsa_exception_fp_ieee_overflow 0
		.amdhsa_exception_fp_ieee_underflow 0
		.amdhsa_exception_fp_ieee_inexact 0
		.amdhsa_exception_int_div_zero 0
	.end_amdhsa_kernel
	.section	.text._ZN9rocsolver6v33100L12subtract_tauI19rocblas_complex_numIdEPS3_EEviiT0_iilPT_l,"axG",@progbits,_ZN9rocsolver6v33100L12subtract_tauI19rocblas_complex_numIdEPS3_EEviiT0_iilPT_l,comdat
.Lfunc_end238:
	.size	_ZN9rocsolver6v33100L12subtract_tauI19rocblas_complex_numIdEPS3_EEviiT0_iilPT_l, .Lfunc_end238-_ZN9rocsolver6v33100L12subtract_tauI19rocblas_complex_numIdEPS3_EEviiT0_iilPT_l
                                        ; -- End function
	.section	.AMDGPU.csdata,"",@progbits
; Kernel info:
; codeLenInByte = 212
; NumSgprs: 20
; NumVgprs: 5
; NumAgprs: 0
; TotalNumVgprs: 5
; ScratchSize: 0
; MemoryBound: 0
; FloatMode: 240
; IeeeMode: 1
; LDSByteSize: 0 bytes/workgroup (compile time only)
; SGPRBlocks: 2
; VGPRBlocks: 0
; NumSGPRsForWavesPerEU: 20
; NumVGPRsForWavesPerEU: 5
; AccumOffset: 8
; Occupancy: 8
; WaveLimiterHint : 0
; COMPUTE_PGM_RSRC2:SCRATCH_EN: 0
; COMPUTE_PGM_RSRC2:USER_SGPR: 6
; COMPUTE_PGM_RSRC2:TRAP_HANDLER: 0
; COMPUTE_PGM_RSRC2:TGID_X_EN: 1
; COMPUTE_PGM_RSRC2:TGID_Y_EN: 0
; COMPUTE_PGM_RSRC2:TGID_Z_EN: 0
; COMPUTE_PGM_RSRC2:TIDIG_COMP_CNT: 0
; COMPUTE_PGM_RSRC3_GFX90A:ACCUM_OFFSET: 1
; COMPUTE_PGM_RSRC3_GFX90A:TG_SPLIT: 0
	.section	.text._ZN9rocsolver6v33100L14set_triangularI19rocblas_complex_numIdEPS3_TnNSt9enable_ifIX18rocblas_is_complexIT_EEiE4typeELi0EEEviiT0_iilPS6_lSA_il15rocblas_direct_15rocblas_storev_b,"axG",@progbits,_ZN9rocsolver6v33100L14set_triangularI19rocblas_complex_numIdEPS3_TnNSt9enable_ifIX18rocblas_is_complexIT_EEiE4typeELi0EEEviiT0_iilPS6_lSA_il15rocblas_direct_15rocblas_storev_b,comdat
	.globl	_ZN9rocsolver6v33100L14set_triangularI19rocblas_complex_numIdEPS3_TnNSt9enable_ifIX18rocblas_is_complexIT_EEiE4typeELi0EEEviiT0_iilPS6_lSA_il15rocblas_direct_15rocblas_storev_b ; -- Begin function _ZN9rocsolver6v33100L14set_triangularI19rocblas_complex_numIdEPS3_TnNSt9enable_ifIX18rocblas_is_complexIT_EEiE4typeELi0EEEviiT0_iilPS6_lSA_il15rocblas_direct_15rocblas_storev_b
	.p2align	8
	.type	_ZN9rocsolver6v33100L14set_triangularI19rocblas_complex_numIdEPS3_TnNSt9enable_ifIX18rocblas_is_complexIT_EEiE4typeELi0EEEviiT0_iilPS6_lSA_il15rocblas_direct_15rocblas_storev_b,@function
_ZN9rocsolver6v33100L14set_triangularI19rocblas_complex_numIdEPS3_TnNSt9enable_ifIX18rocblas_is_complexIT_EEiE4typeELi0EEEviiT0_iilPS6_lSA_il15rocblas_direct_15rocblas_storev_b: ; @_ZN9rocsolver6v33100L14set_triangularI19rocblas_complex_numIdEPS3_TnNSt9enable_ifIX18rocblas_is_complexIT_EEiE4typeELi0EEEviiT0_iilPS6_lSA_il15rocblas_direct_15rocblas_storev_b
; %bb.0:
	s_load_dword s0, s[4:5], 0x64
	s_load_dwordx2 s[20:21], s[4:5], 0x0
	v_and_b32_e32 v1, 0x3ff, v0
	v_bfe_u32 v0, v0, 10, 10
	s_waitcnt lgkmcnt(0)
	s_lshr_b32 s1, s0, 16
	s_and_b32 s0, s0, 0xffff
	s_mul_i32 s6, s6, s0
	s_mul_i32 s7, s7, s1
	v_add_u32_e32 v6, s6, v1
	v_add_u32_e32 v0, s7, v0
	v_max_u32_e32 v1, v6, v0
	v_cmp_gt_u32_e32 vcc, s21, v1
	s_and_saveexec_b64 s[0:1], vcc
	s_cbranch_execz .LBB239_36
; %bb.1:
	s_load_dwordx8 s[12:19], s[4:5], 0x18
	s_load_dword s22, s[4:5], 0x38
	s_load_dwordx2 s[0:1], s[4:5], 0x40
	v_cmp_ne_u32_e32 vcc, v0, v6
	s_waitcnt lgkmcnt(0)
	s_mul_i32 s3, s8, s17
	s_mul_hi_u32 s6, s8, s16
	s_mul_i32 s2, s8, s16
	s_add_i32 s3, s6, s3
	s_lshl_b64 s[2:3], s[2:3], 4
	s_add_u32 s16, s14, s2
	s_mul_i32 s1, s8, s1
	s_mul_hi_u32 s2, s8, s0
	s_addc_u32 s17, s15, s3
	s_add_i32 s1, s2, s1
	s_mul_i32 s0, s8, s0
	s_lshl_b64 s[0:1], s[0:1], 4
	s_add_u32 s14, s18, s0
	s_addc_u32 s15, s19, s1
	s_and_saveexec_b64 s[0:1], vcc
	s_xor_b64 s[10:11], exec, s[0:1]
	s_cbranch_execz .LBB239_34
; %bb.2:
	s_load_dwordx4 s[0:3], s[4:5], 0x8
	s_mul_i32 s9, s8, s13
	s_mul_hi_u32 s13, s8, s12
	s_add_i32 s9, s13, s9
	s_mul_i32 s8, s8, s12
	s_load_dwordx4 s[4:7], s[4:5], 0x48
	s_waitcnt lgkmcnt(0)
	s_ashr_i32 s19, s2, 31
	s_lshl_b64 s[8:9], s[8:9], 4
	s_mov_b32 s18, s2
	s_add_u32 s2, s0, s8
	s_addc_u32 s7, s1, s9
	s_lshl_b64 s[0:1], s[18:19], 4
	s_add_u32 s2, s2, s0
	s_addc_u32 s12, s7, s1
	s_bitcmp1_b32 s6, 0
	s_cselect_b64 s[0:1], -1, 0
	s_xor_b64 s[0:1], s[0:1], -1
	s_mov_b64 s[6:7], -1
	s_cmpk_lg_i32 s4, 0xab
	v_mov_b32_e32 v7, 0
	s_cbranch_scc0 .LBB239_18
; %bb.3:
	v_cmp_le_u32_e32 vcc, v0, v6
	s_and_saveexec_b64 s[6:7], vcc
	s_xor_b64 s[6:7], exec, s[6:7]
	s_cbranch_execz .LBB239_5
; %bb.4:
	v_mad_u64_u32 v[2:3], s[8:9], v6, s22, 0
	s_ashr_i32 s4, s22, 31
	v_mov_b32_e32 v4, v3
	v_mad_u64_u32 v[4:5], s[8:9], v6, s4, v[4:5]
	v_mov_b32_e32 v3, v4
	v_lshlrev_b64 v[2:3], 4, v[2:3]
	v_mov_b32_e32 v1, 0
	v_mov_b32_e32 v4, s15
	v_add_co_u32_e32 v5, vcc, s14, v2
	v_addc_co_u32_e32 v4, vcc, v4, v3, vcc
	v_lshlrev_b64 v[2:3], 4, v[0:1]
	v_add_co_u32_e32 v8, vcc, v5, v2
	v_addc_co_u32_e32 v9, vcc, v4, v3, vcc
	v_mov_b32_e32 v2, v1
	v_mov_b32_e32 v3, v1
	;; [unrolled: 1-line block ×4, first 2 shown]
	global_store_dwordx4 v[8:9], v[2:5], off
.LBB239_5:
	s_andn2_saveexec_b64 s[6:7], s[6:7]
	s_cbranch_execz .LBB239_17
; %bb.6:
	v_lshlrev_b64 v[2:3], 4, v[6:7]
	v_mov_b32_e32 v1, s17
	v_add_co_u32_e32 v2, vcc, s16, v2
	v_addc_co_u32_e32 v3, vcc, v1, v3, vcc
	global_load_dwordx4 v[2:5], v[2:3], off
	s_cmpk_lg_i32 s5, 0xb5
	s_mov_b64 s[8:9], -1
	s_cbranch_scc0 .LBB239_12
; %bb.7:
	v_mov_b32_e32 v1, 0
	s_andn2_b64 vcc, exec, s[0:1]
	v_lshlrev_b64 v[8:9], 4, v[0:1]
	s_cbranch_vccnz .LBB239_9
; %bb.8:
	s_sub_i32 s4, s20, s21
	v_add_u32_e32 v1, s4, v6
	v_mad_u64_u32 v[10:11], s[8:9], v1, s3, 0
	s_ashr_i32 s4, s3, 31
	v_mov_b32_e32 v12, v11
	v_mad_u64_u32 v[12:13], s[8:9], v1, s4, v[12:13]
	v_mov_b32_e32 v11, v12
	v_lshlrev_b64 v[10:11], 4, v[10:11]
	v_mov_b32_e32 v1, s12
	v_add_co_u32_e32 v10, vcc, s2, v10
	v_addc_co_u32_e32 v1, vcc, v1, v11, vcc
	v_add_co_u32_e32 v10, vcc, v10, v8
	v_addc_co_u32_e32 v11, vcc, v1, v9, vcc
	global_load_dwordx4 v[10:13], v[10:11], off
	v_mad_u64_u32 v[14:15], s[8:9], v6, s22, 0
	s_ashr_i32 s4, s22, 31
	v_mov_b32_e32 v16, v15
	v_mad_u64_u32 v[16:17], s[8:9], v6, s4, v[16:17]
	v_mov_b32_e32 v15, v16
	v_lshlrev_b64 v[14:15], 4, v[14:15]
	v_mov_b32_e32 v1, s15
	v_add_co_u32_e32 v14, vcc, s14, v14
	v_addc_co_u32_e32 v1, vcc, v1, v15, vcc
	v_add_co_u32_e32 v16, vcc, v14, v8
	v_addc_co_u32_e32 v17, vcc, v1, v9, vcc
	s_mov_b64 s[8:9], 0
	s_waitcnt vmcnt(0)
	v_mul_f64 v[14:15], v[2:3], v[10:11]
	v_mul_f64 v[18:19], v[2:3], v[12:13]
	v_fma_f64 v[12:13], v[4:5], v[12:13], -v[14:15]
	v_fma_f64 v[14:15], v[10:11], -v[4:5], -v[18:19]
	global_store_dwordx4 v[16:17], v[12:15], off
.LBB239_9:
	s_andn2_b64 vcc, exec, s[8:9]
	s_cbranch_vccnz .LBB239_11
; %bb.10:
	v_mad_u64_u32 v[10:11], s[8:9], v6, s22, 0
	s_ashr_i32 s4, s22, 31
	v_mov_b32_e32 v12, v11
	v_mad_u64_u32 v[12:13], s[8:9], v6, s4, v[12:13]
	v_mov_b32_e32 v11, v12
	v_lshlrev_b64 v[10:11], 4, v[10:11]
	v_mov_b32_e32 v1, s15
	v_add_co_u32_e32 v10, vcc, s14, v10
	v_addc_co_u32_e32 v1, vcc, v1, v11, vcc
	v_add_co_u32_e32 v16, vcc, v10, v8
	s_sub_i32 s4, s20, s21
	v_addc_co_u32_e32 v17, vcc, v1, v9, vcc
	v_add_u32_e32 v1, s4, v6
	v_mad_u64_u32 v[10:11], s[8:9], v1, s3, 0
	s_ashr_i32 s4, s3, 31
	v_mov_b32_e32 v12, v11
	v_mad_u64_u32 v[12:13], s[8:9], v1, s4, v[12:13]
	v_mov_b32_e32 v11, v12
	v_lshlrev_b64 v[10:11], 4, v[10:11]
	v_mov_b32_e32 v1, s12
	v_add_co_u32_e32 v10, vcc, s2, v10
	v_addc_co_u32_e32 v1, vcc, v1, v11, vcc
	v_add_co_u32_e32 v18, vcc, v10, v8
	v_addc_co_u32_e32 v19, vcc, v1, v9, vcc
	global_load_dwordx4 v[8:11], v[16:17], off
	global_load_dwordx4 v[12:15], v[18:19], off
	s_waitcnt vmcnt(0)
	v_add_f64 v[12:13], v[12:13], v[8:9]
	v_add_f64 v[8:9], v[14:15], v[10:11]
	v_mul_f64 v[10:11], v[2:3], v[12:13]
	v_mul_f64 v[14:15], v[2:3], v[8:9]
	v_fma_f64 v[8:9], v[4:5], v[8:9], -v[10:11]
	v_fma_f64 v[10:11], v[12:13], -v[4:5], -v[14:15]
	global_store_dwordx4 v[16:17], v[8:11], off
.LBB239_11:
	s_mov_b64 s[8:9], 0
.LBB239_12:
	s_andn2_b64 vcc, exec, s[8:9]
	s_cbranch_vccnz .LBB239_17
; %bb.13:
	s_andn2_b64 vcc, exec, s[0:1]
	s_mov_b64 s[8:9], -1
	s_cbranch_vccnz .LBB239_15
; %bb.14:
	s_sub_i32 s4, s20, s21
	v_mad_u64_u32 v[8:9], s[8:9], v0, s3, 0
	v_add_u32_e32 v12, s4, v6
	s_ashr_i32 s4, s3, 31
	v_mov_b32_e32 v10, v9
	v_mad_u64_u32 v[10:11], s[8:9], v0, s4, v[10:11]
	v_mov_b32_e32 v9, v10
	v_lshlrev_b64 v[8:9], 4, v[8:9]
	v_mov_b32_e32 v13, 0
	v_mov_b32_e32 v1, s12
	v_add_co_u32_e32 v10, vcc, s2, v8
	v_addc_co_u32_e32 v1, vcc, v1, v9, vcc
	v_lshlrev_b64 v[8:9], 4, v[12:13]
	v_add_co_u32_e32 v8, vcc, v10, v8
	v_addc_co_u32_e32 v9, vcc, v1, v9, vcc
	global_load_dwordx4 v[8:11], v[8:9], off
	v_mad_u64_u32 v[14:15], s[8:9], v6, s22, 0
	s_ashr_i32 s4, s22, 31
	v_mov_b32_e32 v12, v15
	v_mov_b32_e32 v1, v13
	v_mad_u64_u32 v[12:13], s[8:9], v6, s4, v[12:13]
	v_mov_b32_e32 v15, v12
	v_lshlrev_b64 v[12:13], 4, v[14:15]
	v_mov_b32_e32 v18, s15
	v_lshlrev_b64 v[16:17], 4, v[0:1]
	v_add_co_u32_e32 v1, vcc, s14, v12
	v_addc_co_u32_e32 v13, vcc, v18, v13, vcc
	v_add_co_u32_e32 v12, vcc, v1, v16
	v_addc_co_u32_e32 v13, vcc, v13, v17, vcc
	s_mov_b64 s[8:9], 0
	s_waitcnt vmcnt(0)
	v_mul_f64 v[14:15], v[4:5], v[10:11]
	v_mul_f64 v[16:17], v[4:5], v[8:9]
	v_fma_f64 v[8:9], v[8:9], -v[2:3], -v[14:15]
	v_fma_f64 v[10:11], v[2:3], v[10:11], -v[16:17]
	global_store_dwordx4 v[12:13], v[8:11], off
.LBB239_15:
	s_andn2_b64 vcc, exec, s[8:9]
	s_cbranch_vccnz .LBB239_17
; %bb.16:
	v_mad_u64_u32 v[8:9], s[8:9], v6, s22, 0
	s_ashr_i32 s4, s22, 31
	v_mov_b32_e32 v10, v9
	v_mad_u64_u32 v[10:11], s[8:9], v6, s4, v[10:11]
	v_mov_b32_e32 v9, v10
	v_lshlrev_b64 v[8:9], 4, v[8:9]
	v_mov_b32_e32 v1, 0
	v_mov_b32_e32 v10, s15
	v_add_co_u32_e32 v11, vcc, s14, v8
	v_addc_co_u32_e32 v10, vcc, v10, v9, vcc
	v_lshlrev_b64 v[8:9], 4, v[0:1]
	v_add_co_u32_e32 v16, vcc, v11, v8
	v_addc_co_u32_e32 v17, vcc, v10, v9, vcc
	s_sub_i32 s4, s20, s21
	v_mad_u64_u32 v[10:11], s[8:9], v0, s3, 0
	v_add_u32_e32 v8, s4, v6
	s_ashr_i32 s4, s3, 31
	v_mov_b32_e32 v12, v11
	v_mad_u64_u32 v[12:13], s[8:9], v0, s4, v[12:13]
	v_mov_b32_e32 v11, v12
	v_lshlrev_b64 v[10:11], 4, v[10:11]
	v_mov_b32_e32 v9, v1
	v_mov_b32_e32 v1, s12
	v_add_co_u32_e32 v10, vcc, s2, v10
	v_addc_co_u32_e32 v1, vcc, v1, v11, vcc
	v_lshlrev_b64 v[8:9], 4, v[8:9]
	v_add_co_u32_e32 v18, vcc, v10, v8
	v_addc_co_u32_e32 v19, vcc, v1, v9, vcc
	global_load_dwordx4 v[8:11], v[18:19], off
	global_load_dwordx4 v[12:15], v[16:17], off
	s_waitcnt vmcnt(0)
	v_add_f64 v[8:9], v[8:9], v[12:13]
	v_add_f64 v[10:11], v[14:15], -v[10:11]
	v_mul_f64 v[12:13], v[2:3], v[8:9]
	v_mul_f64 v[14:15], v[2:3], v[10:11]
	v_fma_f64 v[2:3], v[4:5], v[10:11], -v[12:13]
	v_fma_f64 v[4:5], v[8:9], -v[4:5], -v[14:15]
	global_store_dwordx4 v[16:17], v[2:5], off
.LBB239_17:
	s_or_b64 exec, exec, s[6:7]
	s_mov_b64 s[6:7], 0
.LBB239_18:
	s_andn2_b64 vcc, exec, s[6:7]
	s_cbranch_vccnz .LBB239_34
; %bb.19:
	v_cmp_ge_u32_e32 vcc, v0, v6
	s_and_saveexec_b64 s[6:7], vcc
	s_xor_b64 s[6:7], exec, s[6:7]
	s_cbranch_execz .LBB239_21
; %bb.20:
	s_waitcnt vmcnt(0)
	v_mad_u64_u32 v[2:3], s[8:9], v6, s22, 0
	s_ashr_i32 s4, s22, 31
	v_mov_b32_e32 v4, v3
	v_mad_u64_u32 v[4:5], s[8:9], v6, s4, v[4:5]
	v_mov_b32_e32 v3, v4
	v_lshlrev_b64 v[2:3], 4, v[2:3]
	v_mov_b32_e32 v1, 0
	v_mov_b32_e32 v4, s15
	v_add_co_u32_e32 v5, vcc, s14, v2
	v_addc_co_u32_e32 v6, vcc, v4, v3, vcc
	v_lshlrev_b64 v[2:3], 4, v[0:1]
	v_add_co_u32_e32 v4, vcc, v5, v2
	v_addc_co_u32_e32 v5, vcc, v6, v3, vcc
	v_mov_b32_e32 v0, v1
	v_mov_b32_e32 v2, v1
	;; [unrolled: 1-line block ×3, first 2 shown]
	global_store_dwordx4 v[4:5], v[0:3], off
                                        ; implicit-def: $vgpr6_vgpr7
                                        ; implicit-def: $vgpr0
.LBB239_21:
	s_andn2_saveexec_b64 s[6:7], s[6:7]
	s_cbranch_execz .LBB239_33
; %bb.22:
	v_lshlrev_b64 v[8:9], 4, v[6:7]
	v_mov_b32_e32 v1, s17
	s_waitcnt vmcnt(0)
	v_add_co_u32_e32 v2, vcc, s16, v8
	v_addc_co_u32_e32 v3, vcc, v1, v9, vcc
	global_load_dwordx4 v[2:5], v[2:3], off
	v_cndmask_b32_e64 v1, 0, 1, s[0:1]
	s_cmpk_lg_i32 s5, 0xb5
	s_mov_b64 s[4:5], -1
	v_cmp_ne_u32_e64 s[0:1], 1, v1
	s_cbranch_scc0 .LBB239_28
; %bb.23:
	v_mov_b32_e32 v1, 0
	s_and_b64 vcc, exec, s[0:1]
	v_lshlrev_b64 v[10:11], 4, v[0:1]
	s_cbranch_vccnz .LBB239_25
; %bb.24:
	v_mad_u64_u32 v[12:13], s[4:5], v6, s3, 0
	s_ashr_i32 s8, s3, 31
	v_mov_b32_e32 v14, v13
	v_mad_u64_u32 v[14:15], s[4:5], v6, s8, v[14:15]
	v_mov_b32_e32 v13, v14
	v_lshlrev_b64 v[12:13], 4, v[12:13]
	v_mov_b32_e32 v1, s12
	v_add_co_u32_e32 v7, vcc, s2, v12
	v_addc_co_u32_e32 v1, vcc, v1, v13, vcc
	v_add_co_u32_e32 v12, vcc, v7, v10
	v_addc_co_u32_e32 v13, vcc, v1, v11, vcc
	global_load_dwordx4 v[12:15], v[12:13], off
	v_mad_u64_u32 v[16:17], s[4:5], v6, s22, 0
	s_ashr_i32 s8, s22, 31
	v_mov_b32_e32 v18, v17
	v_mad_u64_u32 v[18:19], s[4:5], v6, s8, v[18:19]
	v_mov_b32_e32 v17, v18
	v_lshlrev_b64 v[16:17], 4, v[16:17]
	v_mov_b32_e32 v1, s15
	v_add_co_u32_e32 v7, vcc, s14, v16
	v_addc_co_u32_e32 v1, vcc, v1, v17, vcc
	v_add_co_u32_e32 v18, vcc, v7, v10
	v_addc_co_u32_e32 v19, vcc, v1, v11, vcc
	s_mov_b64 s[4:5], 0
	s_waitcnt vmcnt(0)
	v_mul_f64 v[16:17], v[2:3], v[12:13]
	v_mul_f64 v[20:21], v[2:3], v[14:15]
	v_fma_f64 v[14:15], v[4:5], v[14:15], -v[16:17]
	v_fma_f64 v[16:17], v[12:13], -v[4:5], -v[20:21]
	global_store_dwordx4 v[18:19], v[14:17], off
.LBB239_25:
	s_andn2_b64 vcc, exec, s[4:5]
	s_cbranch_vccnz .LBB239_27
; %bb.26:
	v_mad_u64_u32 v[12:13], s[4:5], v6, s22, 0
	s_ashr_i32 s8, s22, 31
	v_mov_b32_e32 v14, v13
	v_mad_u64_u32 v[14:15], s[4:5], v6, s8, v[14:15]
	v_mov_b32_e32 v13, v14
	v_lshlrev_b64 v[12:13], 4, v[12:13]
	v_mov_b32_e32 v1, s15
	v_add_co_u32_e32 v7, vcc, s14, v12
	v_addc_co_u32_e32 v1, vcc, v1, v13, vcc
	v_mad_u64_u32 v[12:13], s[4:5], v6, s3, 0
	s_ashr_i32 s8, s3, 31
	v_mov_b32_e32 v14, v13
	v_mad_u64_u32 v[14:15], s[4:5], v6, s8, v[14:15]
	v_add_co_u32_e32 v18, vcc, v7, v10
	v_mov_b32_e32 v13, v14
	v_addc_co_u32_e32 v19, vcc, v1, v11, vcc
	v_lshlrev_b64 v[12:13], 4, v[12:13]
	v_mov_b32_e32 v1, s12
	v_add_co_u32_e32 v7, vcc, s2, v12
	v_addc_co_u32_e32 v1, vcc, v1, v13, vcc
	v_add_co_u32_e32 v20, vcc, v7, v10
	v_addc_co_u32_e32 v21, vcc, v1, v11, vcc
	global_load_dwordx4 v[10:13], v[20:21], off
	global_load_dwordx4 v[14:17], v[18:19], off
	s_waitcnt vmcnt(0)
	v_add_f64 v[14:15], v[10:11], v[14:15]
	v_add_f64 v[10:11], v[12:13], v[16:17]
	v_mul_f64 v[12:13], v[2:3], v[14:15]
	v_mul_f64 v[16:17], v[2:3], v[10:11]
	v_fma_f64 v[10:11], v[4:5], v[10:11], -v[12:13]
	v_fma_f64 v[12:13], v[14:15], -v[4:5], -v[16:17]
	global_store_dwordx4 v[18:19], v[10:13], off
.LBB239_27:
	s_mov_b64 s[4:5], 0
.LBB239_28:
	s_andn2_b64 vcc, exec, s[4:5]
	s_cbranch_vccnz .LBB239_33
; %bb.29:
	v_mov_b32_e32 v1, 0
	s_mov_b64 s[4:5], -1
	s_and_b64 vcc, exec, s[0:1]
	v_lshlrev_b64 v[10:11], 4, v[0:1]
	s_cbranch_vccnz .LBB239_31
; %bb.30:
	v_mad_u64_u32 v[12:13], s[0:1], v0, s3, 0
	s_ashr_i32 s4, s3, 31
	v_mov_b32_e32 v14, v13
	v_mad_u64_u32 v[14:15], s[0:1], v0, s4, v[14:15]
	v_mov_b32_e32 v13, v14
	v_lshlrev_b64 v[12:13], 4, v[12:13]
	v_mov_b32_e32 v1, s12
	v_add_co_u32_e32 v7, vcc, s2, v12
	v_addc_co_u32_e32 v1, vcc, v1, v13, vcc
	v_add_co_u32_e32 v12, vcc, v7, v8
	v_addc_co_u32_e32 v13, vcc, v1, v9, vcc
	global_load_dwordx4 v[12:15], v[12:13], off
	v_mad_u64_u32 v[16:17], s[0:1], v6, s22, 0
	s_ashr_i32 s4, s22, 31
	v_mov_b32_e32 v18, v17
	v_mad_u64_u32 v[18:19], s[0:1], v6, s4, v[18:19]
	v_mov_b32_e32 v17, v18
	v_lshlrev_b64 v[16:17], 4, v[16:17]
	v_mov_b32_e32 v1, s15
	v_add_co_u32_e32 v7, vcc, s14, v16
	v_addc_co_u32_e32 v1, vcc, v1, v17, vcc
	v_add_co_u32_e32 v16, vcc, v7, v10
	v_addc_co_u32_e32 v17, vcc, v1, v11, vcc
	s_mov_b64 s[4:5], 0
	s_waitcnt vmcnt(0)
	v_mul_f64 v[18:19], v[4:5], v[14:15]
	v_mul_f64 v[20:21], v[4:5], v[12:13]
	v_fma_f64 v[12:13], v[12:13], -v[2:3], -v[18:19]
	v_fma_f64 v[14:15], v[2:3], v[14:15], -v[20:21]
	global_store_dwordx4 v[16:17], v[12:15], off
.LBB239_31:
	s_andn2_b64 vcc, exec, s[4:5]
	s_cbranch_vccnz .LBB239_33
; %bb.32:
	v_mad_u64_u32 v[12:13], s[0:1], v6, s22, 0
	s_ashr_i32 s4, s22, 31
	v_mov_b32_e32 v14, v13
	v_mad_u64_u32 v[6:7], s[0:1], v6, s4, v[14:15]
	v_mov_b32_e32 v13, v6
	v_lshlrev_b64 v[6:7], 4, v[12:13]
	v_mov_b32_e32 v1, s15
	v_add_co_u32_e32 v6, vcc, s14, v6
	v_addc_co_u32_e32 v1, vcc, v1, v7, vcc
	v_add_co_u32_e32 v14, vcc, v6, v10
	v_mad_u64_u32 v[6:7], s[0:1], v0, s3, 0
	s_ashr_i32 s4, s3, 31
	v_mov_b32_e32 v10, v7
	v_addc_co_u32_e32 v15, vcc, v1, v11, vcc
	v_mad_u64_u32 v[0:1], s[0:1], v0, s4, v[10:11]
	v_mov_b32_e32 v7, v0
	v_lshlrev_b64 v[0:1], 4, v[6:7]
	v_mov_b32_e32 v6, s12
	v_add_co_u32_e32 v0, vcc, s2, v0
	v_addc_co_u32_e32 v1, vcc, v6, v1, vcc
	v_add_co_u32_e32 v0, vcc, v0, v8
	v_addc_co_u32_e32 v1, vcc, v1, v9, vcc
	global_load_dwordx4 v[6:9], v[0:1], off
	global_load_dwordx4 v[10:13], v[14:15], off
	s_waitcnt vmcnt(0)
	v_add_f64 v[6:7], v[6:7], v[10:11]
	v_add_f64 v[0:1], v[12:13], -v[8:9]
	v_mul_f64 v[8:9], v[2:3], v[6:7]
	v_mul_f64 v[2:3], v[2:3], v[0:1]
	v_fma_f64 v[0:1], v[4:5], v[0:1], -v[8:9]
	v_fma_f64 v[2:3], v[6:7], -v[4:5], -v[2:3]
	global_store_dwordx4 v[14:15], v[0:3], off
.LBB239_33:
	s_or_b64 exec, exec, s[6:7]
                                        ; implicit-def: $vgpr6
.LBB239_34:
	s_andn2_saveexec_b64 s[0:1], s[10:11]
	s_cbranch_execz .LBB239_36
; %bb.35:
	v_mov_b32_e32 v7, 0
	s_waitcnt vmcnt(0)
	v_lshlrev_b64 v[4:5], 4, v[6:7]
	v_mov_b32_e32 v1, s17
	v_add_co_u32_e32 v0, vcc, s16, v4
	v_addc_co_u32_e32 v1, vcc, v1, v5, vcc
	global_load_dwordx4 v[0:3], v[0:1], off
	v_mad_u64_u32 v[8:9], s[0:1], v6, s22, 0
	s_ashr_i32 s2, s22, 31
	v_mov_b32_e32 v10, v9
	v_mad_u64_u32 v[6:7], s[0:1], v6, s2, v[10:11]
	v_mov_b32_e32 v9, v6
	v_lshlrev_b64 v[6:7], 4, v[8:9]
	v_mov_b32_e32 v8, s15
	v_add_co_u32_e32 v6, vcc, s14, v6
	v_addc_co_u32_e32 v7, vcc, v8, v7, vcc
	v_add_co_u32_e32 v4, vcc, v6, v4
	v_addc_co_u32_e32 v5, vcc, v7, v5, vcc
	s_waitcnt vmcnt(0)
	global_store_dwordx4 v[4:5], v[0:3], off
.LBB239_36:
	s_endpgm
	.section	.rodata,"a",@progbits
	.p2align	6, 0x0
	.amdhsa_kernel _ZN9rocsolver6v33100L14set_triangularI19rocblas_complex_numIdEPS3_TnNSt9enable_ifIX18rocblas_is_complexIT_EEiE4typeELi0EEEviiT0_iilPS6_lSA_il15rocblas_direct_15rocblas_storev_b
		.amdhsa_group_segment_fixed_size 0
		.amdhsa_private_segment_fixed_size 0
		.amdhsa_kernarg_size 344
		.amdhsa_user_sgpr_count 6
		.amdhsa_user_sgpr_private_segment_buffer 1
		.amdhsa_user_sgpr_dispatch_ptr 0
		.amdhsa_user_sgpr_queue_ptr 0
		.amdhsa_user_sgpr_kernarg_segment_ptr 1
		.amdhsa_user_sgpr_dispatch_id 0
		.amdhsa_user_sgpr_flat_scratch_init 0
		.amdhsa_user_sgpr_kernarg_preload_length 0
		.amdhsa_user_sgpr_kernarg_preload_offset 0
		.amdhsa_user_sgpr_private_segment_size 0
		.amdhsa_uses_dynamic_stack 0
		.amdhsa_system_sgpr_private_segment_wavefront_offset 0
		.amdhsa_system_sgpr_workgroup_id_x 1
		.amdhsa_system_sgpr_workgroup_id_y 1
		.amdhsa_system_sgpr_workgroup_id_z 1
		.amdhsa_system_sgpr_workgroup_info 0
		.amdhsa_system_vgpr_workitem_id 1
		.amdhsa_next_free_vgpr 22
		.amdhsa_next_free_sgpr 23
		.amdhsa_accum_offset 24
		.amdhsa_reserve_vcc 1
		.amdhsa_reserve_flat_scratch 0
		.amdhsa_float_round_mode_32 0
		.amdhsa_float_round_mode_16_64 0
		.amdhsa_float_denorm_mode_32 3
		.amdhsa_float_denorm_mode_16_64 3
		.amdhsa_dx10_clamp 1
		.amdhsa_ieee_mode 1
		.amdhsa_fp16_overflow 0
		.amdhsa_tg_split 0
		.amdhsa_exception_fp_ieee_invalid_op 0
		.amdhsa_exception_fp_denorm_src 0
		.amdhsa_exception_fp_ieee_div_zero 0
		.amdhsa_exception_fp_ieee_overflow 0
		.amdhsa_exception_fp_ieee_underflow 0
		.amdhsa_exception_fp_ieee_inexact 0
		.amdhsa_exception_int_div_zero 0
	.end_amdhsa_kernel
	.section	.text._ZN9rocsolver6v33100L14set_triangularI19rocblas_complex_numIdEPS3_TnNSt9enable_ifIX18rocblas_is_complexIT_EEiE4typeELi0EEEviiT0_iilPS6_lSA_il15rocblas_direct_15rocblas_storev_b,"axG",@progbits,_ZN9rocsolver6v33100L14set_triangularI19rocblas_complex_numIdEPS3_TnNSt9enable_ifIX18rocblas_is_complexIT_EEiE4typeELi0EEEviiT0_iilPS6_lSA_il15rocblas_direct_15rocblas_storev_b,comdat
.Lfunc_end239:
	.size	_ZN9rocsolver6v33100L14set_triangularI19rocblas_complex_numIdEPS3_TnNSt9enable_ifIX18rocblas_is_complexIT_EEiE4typeELi0EEEviiT0_iilPS6_lSA_il15rocblas_direct_15rocblas_storev_b, .Lfunc_end239-_ZN9rocsolver6v33100L14set_triangularI19rocblas_complex_numIdEPS3_TnNSt9enable_ifIX18rocblas_is_complexIT_EEiE4typeELi0EEEviiT0_iilPS6_lSA_il15rocblas_direct_15rocblas_storev_b
                                        ; -- End function
	.section	.AMDGPU.csdata,"",@progbits
; Kernel info:
; codeLenInByte = 2380
; NumSgprs: 27
; NumVgprs: 22
; NumAgprs: 0
; TotalNumVgprs: 22
; ScratchSize: 0
; MemoryBound: 1
; FloatMode: 240
; IeeeMode: 1
; LDSByteSize: 0 bytes/workgroup (compile time only)
; SGPRBlocks: 3
; VGPRBlocks: 2
; NumSGPRsForWavesPerEU: 27
; NumVGPRsForWavesPerEU: 22
; AccumOffset: 24
; Occupancy: 8
; WaveLimiterHint : 0
; COMPUTE_PGM_RSRC2:SCRATCH_EN: 0
; COMPUTE_PGM_RSRC2:USER_SGPR: 6
; COMPUTE_PGM_RSRC2:TRAP_HANDLER: 0
; COMPUTE_PGM_RSRC2:TGID_X_EN: 1
; COMPUTE_PGM_RSRC2:TGID_Y_EN: 1
; COMPUTE_PGM_RSRC2:TGID_Z_EN: 1
; COMPUTE_PGM_RSRC2:TIDIG_COMP_CNT: 1
; COMPUTE_PGM_RSRC3_GFX90A:ACCUM_OFFSET: 5
; COMPUTE_PGM_RSRC3_GFX90A:TG_SPLIT: 0
	.section	.text._ZN9rocsolver6v33100L20larft_kernel_forwardI19rocblas_complex_numIdEPS3_EEv15rocblas_storev_iiT0_iilPT_lS8_il,"axG",@progbits,_ZN9rocsolver6v33100L20larft_kernel_forwardI19rocblas_complex_numIdEPS3_EEv15rocblas_storev_iiT0_iilPT_lS8_il,comdat
	.globl	_ZN9rocsolver6v33100L20larft_kernel_forwardI19rocblas_complex_numIdEPS3_EEv15rocblas_storev_iiT0_iilPT_lS8_il ; -- Begin function _ZN9rocsolver6v33100L20larft_kernel_forwardI19rocblas_complex_numIdEPS3_EEv15rocblas_storev_iiT0_iilPT_lS8_il
	.p2align	8
	.type	_ZN9rocsolver6v33100L20larft_kernel_forwardI19rocblas_complex_numIdEPS3_EEv15rocblas_storev_iiT0_iilPT_lS8_il,@function
_ZN9rocsolver6v33100L20larft_kernel_forwardI19rocblas_complex_numIdEPS3_EEv15rocblas_storev_iiT0_iilPT_lS8_il: ; @_ZN9rocsolver6v33100L20larft_kernel_forwardI19rocblas_complex_numIdEPS3_EEv15rocblas_storev_iiT0_iilPT_lS8_il
; %bb.0:
	s_load_dword s2, s[4:5], 0x5c
	s_load_dword s33, s[4:5], 0x40
	s_load_dwordx2 s[0:1], s[4:5], 0x48
	s_load_dwordx4 s[16:19], s[4:5], 0x0
	s_load_dwordx8 s[8:15], s[4:5], 0x20
	s_waitcnt lgkmcnt(0)
	s_and_b32 s19, s2, 0xffff
	s_ashr_i32 s6, s7, 31
	s_mul_i32 s1, s7, s1
	s_mul_hi_u32 s2, s7, s0
	s_add_i32 s1, s2, s1
	s_mul_i32 s2, s6, s0
	s_add_i32 s1, s1, s2
	s_mul_i32 s0, s7, s0
	s_lshl_b64 s[0:1], s[0:1], 4
	s_add_u32 s38, s14, s0
	s_addc_u32 s39, s15, s1
	v_cmp_gt_i32_e64 s[0:1], s18, v0
	v_lshlrev_b32_e32 v1, 4, v0
	s_and_saveexec_b64 s[2:3], s[0:1]
	s_cbranch_execz .LBB240_5
; %bb.1:
	v_add_u32_e32 v2, 16, v1
	v_mul_lo_u32 v2, s18, v2
	s_lshl_b32 s22, s18, 4
	v_add3_u32 v6, v2, v1, 0
	s_add_i32 s23, s22, 16
	s_add_i32 s24, s33, 1
	v_mad_u64_u32 v[2:3], s[14:15], v0, s33, v[0:1]
	s_mul_i32 s23, s23, s19
	s_mul_i32 s24, s24, s19
	s_mov_b64 s[14:15], 0
	v_mov_b32_e32 v3, s39
	v_mov_b32_e32 v7, v0
.LBB240_2:                              ; =>This Loop Header: Depth=1
                                        ;     Child Loop BB240_3 Depth 2
	s_mov_b64 s[20:21], 0
	v_mov_b32_e32 v4, v2
	v_mov_b32_e32 v8, v6
	;; [unrolled: 1-line block ×3, first 2 shown]
.LBB240_3:                              ;   Parent Loop BB240_2 Depth=1
                                        ; =>  This Inner Loop Header: Depth=2
	v_ashrrev_i32_e32 v5, 31, v4
	v_lshlrev_b64 v[10:11], 4, v[4:5]
	v_add_co_u32_e32 v10, vcc, s38, v10
	v_addc_co_u32_e32 v11, vcc, v3, v11, vcc
	global_load_dwordx4 v[10:13], v[10:11], off
	v_add_u32_e32 v9, 1, v9
	v_cmp_le_i32_e32 vcc, s18, v9
	v_add_u32_e32 v4, s33, v4
	s_or_b64 s[20:21], vcc, s[20:21]
	s_waitcnt vmcnt(0)
	ds_write2_b64 v8, v[10:11], v[12:13] offset1:1
	v_add_u32_e32 v8, s22, v8
	s_andn2_b64 exec, exec, s[20:21]
	s_cbranch_execnz .LBB240_3
; %bb.4:                                ;   in Loop: Header=BB240_2 Depth=1
	s_or_b64 exec, exec, s[20:21]
	v_add_u32_e32 v7, s19, v7
	v_cmp_le_i32_e32 vcc, s18, v7
	v_add_u32_e32 v6, s23, v6
	s_or_b64 s[14:15], vcc, s[14:15]
	v_add_u32_e32 v2, s24, v2
	s_andn2_b64 exec, exec, s[14:15]
	s_cbranch_execnz .LBB240_2
.LBB240_5:
	s_or_b64 exec, exec, s[2:3]
	s_cmp_lt_i32 s18, 2
	s_waitcnt lgkmcnt(0)
	s_barrier
	s_cbranch_scc1 .LBB240_29
; %bb.6:
	s_load_dwordx4 s[20:23], s[4:5], 0x10
	s_mul_i32 s2, s7, s13
	s_mul_hi_u32 s3, s7, s12
	s_add_i32 s4, s3, s2
	s_mul_i32 s5, s6, s12
	s_add_i32 s5, s4, s5
	s_mul_i32 s4, s7, s12
	s_waitcnt lgkmcnt(0)
	s_ashr_i32 s3, s22, 31
	s_lshl_b64 s[4:5], s[4:5], 4
	s_mov_b32 s2, s22
	s_add_u32 s22, s10, s4
	s_addc_u32 s40, s11, s5
	s_lshl_b32 s41, s18, 4
	s_add_i32 s42, s41, 0
	s_cmpk_lg_i32 s16, 0xb5
	s_mul_i32 s4, s8, s6
	s_mul_hi_u32 s5, s8, s7
	s_cselect_b64 s[12:13], -1, 0
	s_add_i32 s4, s5, s4
	s_mul_i32 s5, s9, s7
	s_add_i32 s5, s4, s5
	s_mul_i32 s4, s8, s7
	s_lshl_b64 s[4:5], s[4:5], 4
	s_lshl_b64 s[2:3], s[2:3], 4
	s_add_u32 s2, s4, s2
	s_addc_u32 s3, s5, s3
	s_add_u32 s16, s20, s2
	s_addc_u32 s43, s21, s3
	s_ashr_i32 s3, s23, 31
	s_mov_b32 s2, s23
	s_lshl_b32 s8, s23, 1
	s_lshl_b64 s[14:15], s[2:3], 4
	s_lshl_b32 s44, s19, 4
	s_add_u32 s20, s16, 32
	v_add_u32_e32 v4, 16, v1
	s_mov_b32 s11, 0
	s_addc_u32 s21, s43, 0
	v_mul_lo_u32 v4, s18, v4
	s_add_i32 s47, s41, 16
	s_mov_b32 s10, 1
	v_or_b32_e32 v2, 8, v1
	v_mov_b32_e32 v3, 0
	s_mov_b32 s45, s11
	v_mul_lo_u32 v12, v0, s23
	s_mul_i32 s46, s23, s19
	v_add3_u32 v13, v4, v1, 0
	s_mul_i32 s47, s47, s19
	v_add_u32_e32 v14, 0, v1
	s_mov_b64 s[24:25], 0
	s_mov_b32 s26, s23
	s_branch .LBB240_8
.LBB240_7:                              ;   in Loop: Header=BB240_8 Depth=1
	s_or_b64 exec, exec, s[2:3]
	s_add_i32 s10, s10, 1
	s_add_u32 s24, s24, 16
	s_addc_u32 s25, s25, 0
	s_add_i32 s8, s8, s23
	s_add_u32 s20, s20, 16
	s_addc_u32 s21, s21, 0
	s_add_i32 s26, s26, s23
	s_cmp_eq_u32 s10, s18
	s_waitcnt lgkmcnt(0)
	s_barrier
	s_cbranch_scc1 .LBB240_29
.LBB240_8:                              ; =>This Loop Header: Depth=1
                                        ;     Child Loop BB240_12 Depth 2
                                        ;       Child Loop BB240_14 Depth 3
                                        ;     Child Loop BB240_20 Depth 2
                                        ;       Child Loop BB240_22 Depth 3
	;; [unrolled: 2-line block ×3, first 2 shown]
	s_mul_i32 s2, s10, s18
	s_not_b32 s49, s10
	s_lshl_b32 s2, s2, 4
	s_add_i32 s49, s49, s17
	s_add_i32 s48, s42, s2
	s_mov_b64 s[4:5], -1
	s_and_b64 vcc, exec, s[12:13]
	v_cmp_gt_u32_e64 s[2:3], s10, v0
	s_cbranch_vccz .LBB240_16
; %bb.9:                                ;   in Loop: Header=BB240_8 Depth=1
	s_and_saveexec_b64 s[28:29], s[2:3]
	s_cbranch_execz .LBB240_15
; %bb.10:                               ;   in Loop: Header=BB240_8 Depth=1
	s_ashr_i32 s9, s8, 31
	s_lshl_b64 s[2:3], s[8:9], 4
	s_add_u32 s2, s16, s2
	s_addc_u32 s3, s43, s3
	s_cmp_gt_i32 s49, 0
	s_cselect_b64 s[30:31], -1, 0
	s_lshl_b64 s[4:5], s[10:11], 4
	s_add_u32 s4, s22, s4
	s_addc_u32 s5, s40, s5
	s_load_dwordx4 s[4:7], s[4:5], 0x0
	s_mov_b64 s[34:35], 0
	v_pk_mov_b32 v[4:5], v[2:3], v[2:3] op_sel:[0,1]
	v_mov_b32_e32 v10, v0
	s_branch .LBB240_12
.LBB240_11:                             ;   in Loop: Header=BB240_12 Depth=2
	v_lshlrev_b32_e32 v11, 4, v10
	v_add_u32_e32 v15, s48, v11
	ds_read2_b64 v[16:19], v15 offset1:1
	s_waitcnt lgkmcnt(0)
	v_mul_f64 v[20:21], v[6:7], s[6:7]
	v_mul_f64 v[22:23], v[8:9], s[6:7]
	v_fma_f64 v[8:9], v[8:9], s[4:5], -v[20:21]
	v_fmac_f64_e32 v[22:23], s[4:5], v[6:7]
	v_add_u32_e32 v10, s19, v10
	v_add_f64 v[6:7], v[16:17], v[8:9]
	v_add_f64 v[8:9], v[22:23], v[18:19]
	v_add_u32_e32 v11, 0, v11
	v_cmp_le_u32_e32 vcc, s10, v10
	ds_write2_b64 v11, v[6:7], v[8:9] offset1:1
	v_mov_b32_e32 v6, s45
	s_or_b64 s[34:35], vcc, s[34:35]
	v_add_co_u32_e32 v4, vcc, s44, v4
	v_addc_co_u32_e32 v5, vcc, v5, v6, vcc
	s_andn2_b64 exec, exec, s[34:35]
	s_cbranch_execz .LBB240_15
.LBB240_12:                             ;   Parent Loop BB240_8 Depth=1
                                        ; =>  This Loop Header: Depth=2
                                        ;       Child Loop BB240_14 Depth 3
	v_pk_mov_b32 v[6:7], 0, 0
	s_andn2_b64 vcc, exec, s[30:31]
	v_pk_mov_b32 v[8:9], v[6:7], v[6:7] op_sel:[0,1]
	s_cbranch_vccnz .LBB240_11
; %bb.13:                               ;   in Loop: Header=BB240_12 Depth=2
	v_pk_mov_b32 v[6:7], 0, 0
	s_mov_b32 s9, 0
	s_mov_b64 s[36:37], s[2:3]
	v_pk_mov_b32 v[8:9], v[6:7], v[6:7] op_sel:[0,1]
.LBB240_14:                             ;   Parent Loop BB240_8 Depth=1
                                        ;     Parent Loop BB240_12 Depth=2
                                        ; =>    This Inner Loop Header: Depth=3
	v_mov_b32_e32 v11, s37
	v_add_co_u32_e32 v16, vcc, s36, v4
	v_addc_co_u32_e32 v17, vcc, v11, v5, vcc
	global_load_dwordx4 v[16:19], v[16:17], off offset:-8
	s_add_u32 s50, s36, s24
	s_addc_u32 s51, s37, s25
	s_load_dwordx4 s[52:55], s[50:51], 0x10
	s_add_i32 s9, s9, 1
	s_add_u32 s36, s36, s14
	s_addc_u32 s37, s37, s15
	s_cmp_ge_i32 s9, s49
	s_waitcnt vmcnt(0) lgkmcnt(0)
	v_mul_f64 v[20:21], s[54:55], v[18:19]
	v_mul_f64 v[22:23], s[54:55], v[16:17]
	v_fmac_f64_e32 v[20:21], s[52:53], v[16:17]
	v_fma_f64 v[16:17], s[52:53], v[18:19], -v[22:23]
	v_add_f64 v[8:9], v[8:9], v[20:21]
	v_add_f64 v[6:7], v[6:7], v[16:17]
	s_cbranch_scc0 .LBB240_14
	s_branch .LBB240_11
.LBB240_15:                             ;   in Loop: Header=BB240_8 Depth=1
	s_or_b64 exec, exec, s[28:29]
	s_mov_b64 s[4:5], 0
.LBB240_16:                             ;   in Loop: Header=BB240_8 Depth=1
	s_andn2_b64 vcc, exec, s[4:5]
	s_cbranch_vccnz .LBB240_24
; %bb.17:                               ;   in Loop: Header=BB240_8 Depth=1
	v_cmp_gt_u32_e32 vcc, s10, v0
	s_and_saveexec_b64 s[2:3], vcc
	s_cbranch_execz .LBB240_23
; %bb.18:                               ;   in Loop: Header=BB240_8 Depth=1
	s_ashr_i32 s27, s26, 31
	s_lshl_b64 s[28:29], s[26:27], 4
	s_cmp_gt_i32 s49, 0
	s_cselect_b64 s[30:31], -1, 0
	s_lshl_b64 s[4:5], s[10:11], 4
	s_add_u32 s4, s22, s4
	s_addc_u32 s5, s40, s5
	s_load_dwordx4 s[4:7], s[4:5], 0x0
	s_mov_b64 s[34:35], 0
	v_mov_b32_e32 v4, v12
	v_mov_b32_e32 v15, v0
	s_branch .LBB240_20
.LBB240_19:                             ;   in Loop: Header=BB240_20 Depth=2
	v_lshlrev_b32_e32 v5, 4, v15
	v_add_u32_e32 v10, s48, v5
	ds_read2_b64 v[16:19], v10 offset1:1
	s_waitcnt lgkmcnt(0)
	v_mul_f64 v[10:11], v[6:7], s[6:7]
	v_mul_f64 v[20:21], v[8:9], s[6:7]
	v_add_u32_e32 v15, s19, v15
	v_fma_f64 v[8:9], v[8:9], s[4:5], -v[10:11]
	v_fmac_f64_e32 v[20:21], s[4:5], v[6:7]
	v_cmp_le_u32_e32 vcc, s10, v15
	v_add_f64 v[6:7], v[16:17], v[8:9]
	v_add_f64 v[8:9], v[20:21], v[18:19]
	v_add_u32_e32 v5, 0, v5
	s_or_b64 s[34:35], vcc, s[34:35]
	v_add_u32_e32 v4, s46, v4
	ds_write2_b64 v5, v[6:7], v[8:9] offset1:1
	s_andn2_b64 exec, exec, s[34:35]
	s_cbranch_execz .LBB240_23
.LBB240_20:                             ;   Parent Loop BB240_8 Depth=1
                                        ; =>  This Loop Header: Depth=2
                                        ;       Child Loop BB240_22 Depth 3
	v_pk_mov_b32 v[6:7], 0, 0
	s_andn2_b64 vcc, exec, s[30:31]
	v_pk_mov_b32 v[8:9], v[6:7], v[6:7] op_sel:[0,1]
	s_cbranch_vccnz .LBB240_19
; %bb.21:                               ;   in Loop: Header=BB240_20 Depth=2
	v_ashrrev_i32_e32 v5, 31, v4
	v_pk_mov_b32 v[6:7], 0, 0
	v_lshlrev_b64 v[10:11], 4, v[4:5]
	s_mov_b32 s9, 0
	s_mov_b64 s[36:37], s[20:21]
	v_pk_mov_b32 v[8:9], v[6:7], v[6:7] op_sel:[0,1]
.LBB240_22:                             ;   Parent Loop BB240_8 Depth=1
                                        ;     Parent Loop BB240_20 Depth=2
                                        ; =>    This Inner Loop Header: Depth=3
	v_mov_b32_e32 v5, s37
	v_add_co_u32_e32 v16, vcc, s36, v10
	v_addc_co_u32_e32 v17, vcc, v5, v11, vcc
	global_load_dwordx4 v[16:19], v[16:17], off
	s_add_u32 s50, s36, s28
	s_addc_u32 s51, s37, s29
	s_load_dwordx4 s[52:55], s[50:51], 0x0
	s_add_i32 s9, s9, 1
	s_add_u32 s36, s36, 16
	s_addc_u32 s37, s37, 0
	s_cmp_ge_i32 s9, s49
	s_waitcnt vmcnt(0) lgkmcnt(0)
	v_mul_f64 v[20:21], v[18:19], s[54:55]
	v_mul_f64 v[18:19], v[18:19], s[52:53]
	v_fmac_f64_e32 v[20:21], s[52:53], v[16:17]
	v_fma_f64 v[16:17], v[16:17], s[54:55], -v[18:19]
	v_add_f64 v[8:9], v[8:9], v[20:21]
	v_add_f64 v[6:7], v[6:7], v[16:17]
	s_cbranch_scc0 .LBB240_22
	s_branch .LBB240_19
.LBB240_23:                             ;   in Loop: Header=BB240_8 Depth=1
	s_or_b64 exec, exec, s[2:3]
.LBB240_24:                             ;   in Loop: Header=BB240_8 Depth=1
	v_cmp_gt_u32_e32 vcc, s10, v0
	s_waitcnt lgkmcnt(0)
	s_barrier
	s_and_saveexec_b64 s[2:3], vcc
	s_cbranch_execz .LBB240_7
; %bb.25:                               ;   in Loop: Header=BB240_8 Depth=1
	s_mov_b64 s[4:5], 0
	v_mov_b32_e32 v8, v14
	v_mov_b32_e32 v9, v13
	;; [unrolled: 1-line block ×3, first 2 shown]
.LBB240_26:                             ;   Parent Loop BB240_8 Depth=1
                                        ; =>  This Loop Header: Depth=2
                                        ;       Child Loop BB240_27 Depth 3
	v_pk_mov_b32 v[4:5], 0, 0
	s_mov_b64 s[6:7], 0
	v_mov_b32_e32 v11, v8
	v_mov_b32_e32 v15, v9
	;; [unrolled: 1-line block ×3, first 2 shown]
	v_pk_mov_b32 v[6:7], v[4:5], v[4:5] op_sel:[0,1]
.LBB240_27:                             ;   Parent Loop BB240_8 Depth=1
                                        ;     Parent Loop BB240_26 Depth=2
                                        ; =>    This Inner Loop Header: Depth=3
	ds_read2_b64 v[18:21], v11 offset1:1
	ds_read2_b64 v[22:25], v15 offset1:1
	v_add_u32_e32 v16, 1, v16
	v_cmp_le_u32_e32 vcc, s10, v16
	v_add_u32_e32 v15, s41, v15
	v_add_u32_e32 v11, 16, v11
	s_waitcnt lgkmcnt(0)
	v_mul_f64 v[26:27], v[20:21], v[24:25]
	v_mul_f64 v[24:25], v[18:19], v[24:25]
	v_fma_f64 v[18:19], v[18:19], v[22:23], -v[26:27]
	v_fmac_f64_e32 v[24:25], v[20:21], v[22:23]
	s_or_b64 s[6:7], vcc, s[6:7]
	v_add_f64 v[4:5], v[4:5], v[18:19]
	v_add_f64 v[6:7], v[6:7], v[24:25]
	s_andn2_b64 exec, exec, s[6:7]
	s_cbranch_execnz .LBB240_27
; %bb.28:                               ;   in Loop: Header=BB240_26 Depth=2
	s_or_b64 exec, exec, s[6:7]
	v_lshl_add_u32 v11, v10, 4, s48
	v_add_u32_e32 v10, s19, v10
	v_cmp_le_u32_e32 vcc, s10, v10
	v_add_u32_e32 v9, s47, v9
	s_or_b64 s[4:5], vcc, s[4:5]
	v_add_u32_e32 v8, s44, v8
	ds_write2_b64 v11, v[4:5], v[6:7] offset1:1
	s_andn2_b64 exec, exec, s[4:5]
	s_cbranch_execnz .LBB240_26
	s_branch .LBB240_7
.LBB240_29:
	s_and_saveexec_b64 s[2:3], s[0:1]
	s_cbranch_execz .LBB240_34
; %bb.30:
	v_mad_u64_u32 v[2:3], s[0:1], v0, s33, v[0:1]
	v_add_u32_e32 v3, 16, v1
	s_lshl_b32 s7, s18, 4
	s_add_i32 s6, s33, 1
	v_mul_lo_u32 v3, s18, v3
	s_add_i32 s8, s7, 16
	s_mul_i32 s6, s6, s19
	v_add3_u32 v1, v3, v1, 0
	s_mul_i32 s8, s8, s19
	s_mov_b64 s[2:3], 0
	v_mov_b32_e32 v3, s39
.LBB240_31:                             ; =>This Loop Header: Depth=1
                                        ;     Child Loop BB240_32 Depth 2
	s_mov_b64 s[4:5], 0
	v_mov_b32_e32 v6, v1
	v_mov_b32_e32 v4, v2
	v_mov_b32_e32 v7, v0
.LBB240_32:                             ;   Parent Loop BB240_31 Depth=1
                                        ; =>  This Inner Loop Header: Depth=2
	ds_read2_b64 v[8:11], v6 offset1:1
	v_ashrrev_i32_e32 v5, 31, v4
	v_add_u32_e32 v7, 1, v7
	v_lshlrev_b64 v[12:13], 4, v[4:5]
	v_cmp_le_i32_e32 vcc, s18, v7
	v_add_co_u32_e64 v12, s[0:1], s38, v12
	v_add_u32_e32 v6, s7, v6
	v_add_u32_e32 v4, s33, v4
	v_addc_co_u32_e64 v13, s[0:1], v3, v13, s[0:1]
	s_or_b64 s[4:5], vcc, s[4:5]
	s_waitcnt lgkmcnt(0)
	global_store_dwordx4 v[12:13], v[8:11], off
	s_andn2_b64 exec, exec, s[4:5]
	s_cbranch_execnz .LBB240_32
; %bb.33:                               ;   in Loop: Header=BB240_31 Depth=1
	s_or_b64 exec, exec, s[4:5]
	v_add_u32_e32 v0, s19, v0
	v_cmp_le_i32_e32 vcc, s18, v0
	v_add_u32_e32 v2, s6, v2
	s_or_b64 s[2:3], vcc, s[2:3]
	v_add_u32_e32 v1, s8, v1
	s_andn2_b64 exec, exec, s[2:3]
	s_cbranch_execnz .LBB240_31
.LBB240_34:
	s_endpgm
	.section	.rodata,"a",@progbits
	.p2align	6, 0x0
	.amdhsa_kernel _ZN9rocsolver6v33100L20larft_kernel_forwardI19rocblas_complex_numIdEPS3_EEv15rocblas_storev_iiT0_iilPT_lS8_il
		.amdhsa_group_segment_fixed_size 0
		.amdhsa_private_segment_fixed_size 0
		.amdhsa_kernarg_size 336
		.amdhsa_user_sgpr_count 6
		.amdhsa_user_sgpr_private_segment_buffer 1
		.amdhsa_user_sgpr_dispatch_ptr 0
		.amdhsa_user_sgpr_queue_ptr 0
		.amdhsa_user_sgpr_kernarg_segment_ptr 1
		.amdhsa_user_sgpr_dispatch_id 0
		.amdhsa_user_sgpr_flat_scratch_init 0
		.amdhsa_user_sgpr_kernarg_preload_length 0
		.amdhsa_user_sgpr_kernarg_preload_offset 0
		.amdhsa_user_sgpr_private_segment_size 0
		.amdhsa_uses_dynamic_stack 0
		.amdhsa_system_sgpr_private_segment_wavefront_offset 0
		.amdhsa_system_sgpr_workgroup_id_x 1
		.amdhsa_system_sgpr_workgroup_id_y 1
		.amdhsa_system_sgpr_workgroup_id_z 0
		.amdhsa_system_sgpr_workgroup_info 0
		.amdhsa_system_vgpr_workitem_id 0
		.amdhsa_next_free_vgpr 28
		.amdhsa_next_free_sgpr 56
		.amdhsa_accum_offset 28
		.amdhsa_reserve_vcc 1
		.amdhsa_reserve_flat_scratch 0
		.amdhsa_float_round_mode_32 0
		.amdhsa_float_round_mode_16_64 0
		.amdhsa_float_denorm_mode_32 3
		.amdhsa_float_denorm_mode_16_64 3
		.amdhsa_dx10_clamp 1
		.amdhsa_ieee_mode 1
		.amdhsa_fp16_overflow 0
		.amdhsa_tg_split 0
		.amdhsa_exception_fp_ieee_invalid_op 0
		.amdhsa_exception_fp_denorm_src 0
		.amdhsa_exception_fp_ieee_div_zero 0
		.amdhsa_exception_fp_ieee_overflow 0
		.amdhsa_exception_fp_ieee_underflow 0
		.amdhsa_exception_fp_ieee_inexact 0
		.amdhsa_exception_int_div_zero 0
	.end_amdhsa_kernel
	.section	.text._ZN9rocsolver6v33100L20larft_kernel_forwardI19rocblas_complex_numIdEPS3_EEv15rocblas_storev_iiT0_iilPT_lS8_il,"axG",@progbits,_ZN9rocsolver6v33100L20larft_kernel_forwardI19rocblas_complex_numIdEPS3_EEv15rocblas_storev_iiT0_iilPT_lS8_il,comdat
.Lfunc_end240:
	.size	_ZN9rocsolver6v33100L20larft_kernel_forwardI19rocblas_complex_numIdEPS3_EEv15rocblas_storev_iiT0_iilPT_lS8_il, .Lfunc_end240-_ZN9rocsolver6v33100L20larft_kernel_forwardI19rocblas_complex_numIdEPS3_EEv15rocblas_storev_iiT0_iilPT_lS8_il
                                        ; -- End function
	.section	.AMDGPU.csdata,"",@progbits
; Kernel info:
; codeLenInByte = 1712
; NumSgprs: 60
; NumVgprs: 28
; NumAgprs: 0
; TotalNumVgprs: 28
; ScratchSize: 0
; MemoryBound: 0
; FloatMode: 240
; IeeeMode: 1
; LDSByteSize: 0 bytes/workgroup (compile time only)
; SGPRBlocks: 7
; VGPRBlocks: 3
; NumSGPRsForWavesPerEU: 60
; NumVGPRsForWavesPerEU: 28
; AccumOffset: 28
; Occupancy: 8
; WaveLimiterHint : 0
; COMPUTE_PGM_RSRC2:SCRATCH_EN: 0
; COMPUTE_PGM_RSRC2:USER_SGPR: 6
; COMPUTE_PGM_RSRC2:TRAP_HANDLER: 0
; COMPUTE_PGM_RSRC2:TGID_X_EN: 1
; COMPUTE_PGM_RSRC2:TGID_Y_EN: 1
; COMPUTE_PGM_RSRC2:TGID_Z_EN: 0
; COMPUTE_PGM_RSRC2:TIDIG_COMP_CNT: 0
; COMPUTE_PGM_RSRC3_GFX90A:ACCUM_OFFSET: 6
; COMPUTE_PGM_RSRC3_GFX90A:TG_SPLIT: 0
	.section	.text._ZN9rocsolver6v33100L21larft_kernel_backwardI19rocblas_complex_numIdEPS3_EEv15rocblas_storev_iiT0_iilPT_lS8_il,"axG",@progbits,_ZN9rocsolver6v33100L21larft_kernel_backwardI19rocblas_complex_numIdEPS3_EEv15rocblas_storev_iiT0_iilPT_lS8_il,comdat
	.globl	_ZN9rocsolver6v33100L21larft_kernel_backwardI19rocblas_complex_numIdEPS3_EEv15rocblas_storev_iiT0_iilPT_lS8_il ; -- Begin function _ZN9rocsolver6v33100L21larft_kernel_backwardI19rocblas_complex_numIdEPS3_EEv15rocblas_storev_iiT0_iilPT_lS8_il
	.p2align	8
	.type	_ZN9rocsolver6v33100L21larft_kernel_backwardI19rocblas_complex_numIdEPS3_EEv15rocblas_storev_iiT0_iilPT_lS8_il,@function
_ZN9rocsolver6v33100L21larft_kernel_backwardI19rocblas_complex_numIdEPS3_EEv15rocblas_storev_iiT0_iilPT_lS8_il: ; @_ZN9rocsolver6v33100L21larft_kernel_backwardI19rocblas_complex_numIdEPS3_EEv15rocblas_storev_iiT0_iilPT_lS8_il
; %bb.0:
	s_load_dword s2, s[4:5], 0x5c
	s_load_dword s30, s[4:5], 0x40
	s_load_dwordx2 s[0:1], s[4:5], 0x48
	s_load_dwordx4 s[16:19], s[4:5], 0x0
	s_load_dwordx8 s[8:15], s[4:5], 0x20
	s_waitcnt lgkmcnt(0)
	s_and_b32 s19, s2, 0xffff
	s_ashr_i32 s6, s7, 31
	s_mul_i32 s1, s7, s1
	s_mul_hi_u32 s2, s7, s0
	s_add_i32 s1, s2, s1
	s_mul_i32 s2, s6, s0
	s_add_i32 s1, s1, s2
	s_mul_i32 s0, s7, s0
	s_lshl_b64 s[0:1], s[0:1], 4
	s_add_u32 s31, s14, s0
	s_addc_u32 s33, s15, s1
	v_cmp_gt_i32_e64 s[0:1], s18, v0
	v_add_u32_e32 v1, 1, v0
	s_and_saveexec_b64 s[2:3], s[0:1]
	s_cbranch_execz .LBB241_5
; %bb.1:
	s_lshl_b32 s22, s18, 4
	s_add_i32 s14, s22, 0
	v_add_u32_e32 v4, 1, v0
	v_lshl_add_u32 v5, v0, 4, s14
	s_lshl_b32 s23, s19, 4
	s_mov_b64 s[14:15], 0
	v_mov_b32_e32 v6, s33
	v_mov_b32_e32 v7, v0
.LBB241_2:                              ; =>This Loop Header: Depth=1
                                        ;     Child Loop BB241_3 Depth 2
	s_mov_b64 s[20:21], 0
	v_mov_b32_e32 v2, v7
	v_mov_b32_e32 v8, v5
	s_mov_b32 s24, 0
.LBB241_3:                              ;   Parent Loop BB241_2 Depth=1
                                        ; =>  This Inner Loop Header: Depth=2
	v_ashrrev_i32_e32 v3, 31, v2
	v_lshlrev_b64 v[10:11], 4, v[2:3]
	v_add_co_u32_e32 v10, vcc, s31, v10
	v_addc_co_u32_e32 v11, vcc, v6, v11, vcc
	global_load_dwordx4 v[10:13], v[10:11], off
	s_add_i32 s24, s24, 1
	v_cmp_eq_u32_e32 vcc, s24, v4
	v_add_u32_e32 v2, s30, v2
	s_or_b64 s[20:21], vcc, s[20:21]
	s_waitcnt vmcnt(0)
	ds_write2_b64 v8, v[10:11], v[12:13] offset1:1
	v_add_u32_e32 v8, s22, v8
	s_andn2_b64 exec, exec, s[20:21]
	s_cbranch_execnz .LBB241_3
; %bb.4:                                ;   in Loop: Header=BB241_2 Depth=1
	s_or_b64 exec, exec, s[20:21]
	v_add_u32_e32 v7, s19, v7
	v_cmp_le_i32_e32 vcc, s18, v7
	v_add_u32_e32 v4, s19, v4
	s_or_b64 s[14:15], vcc, s[14:15]
	v_add_u32_e32 v5, s23, v5
	s_andn2_b64 exec, exec, s[14:15]
	s_cbranch_execnz .LBB241_2
.LBB241_5:
	s_or_b64 exec, exec, s[2:3]
	s_cmp_lt_i32 s18, 2
	s_waitcnt lgkmcnt(0)
	s_barrier
	s_cbranch_scc1 .LBB241_29
; %bb.6:
	s_load_dwordx4 s[20:23], s[4:5], 0x10
	s_mul_i32 s2, s7, s13
	s_mul_hi_u32 s3, s7, s12
	s_add_i32 s4, s3, s2
	s_mul_i32 s5, s6, s12
	s_add_i32 s5, s4, s5
	s_mul_i32 s4, s7, s12
	s_waitcnt lgkmcnt(0)
	s_ashr_i32 s3, s22, 31
	s_lshl_b64 s[4:5], s[4:5], 4
	s_mov_b32 s2, s22
	s_add_u32 s22, s10, s4
	s_addc_u32 s34, s11, s5
	s_lshl_b32 s35, s18, 4
	s_add_i32 s36, s35, 0
	s_add_i32 s10, s18, -2
	s_sub_i32 s37, s17, s18
	s_cmpk_lg_i32 s16, 0xb5
	s_mul_i32 s4, s8, s6
	s_mul_hi_u32 s5, s8, s7
	s_cselect_b64 s[12:13], -1, 0
	s_add_i32 s4, s5, s4
	s_mul_i32 s5, s9, s7
	s_add_i32 s5, s4, s5
	s_mul_i32 s4, s8, s7
	s_lshl_b64 s[4:5], s[4:5], 4
	s_lshl_b64 s[2:3], s[2:3], 4
	s_mov_b32 s11, 0
	s_add_u32 s6, s4, s2
	s_addc_u32 s7, s5, s3
	s_lshl_b64 s[2:3], s[10:11], 4
	s_add_u32 s4, s20, s2
	s_addc_u32 s5, s21, s3
	s_add_u32 s4, s4, s6
	v_lshlrev_b32_e32 v4, 4, v0
	s_addc_u32 s5, s5, s7
	v_mov_b32_e32 v2, s5
	v_add_co_u32_e32 v3, vcc, s4, v4
	s_ashr_i32 s5, s23, 31
	s_mov_b32 s4, s23
	s_lshl_b32 s38, s19, 4
	s_lshl_b64 s[8:9], s[4:5], 4
	s_add_u32 s4, s6, s20
	s_addc_u32 s5, s7, s21
	s_add_u32 s40, s4, 8
	s_addc_u32 s41, s5, 0
	s_add_u32 s42, s40, s2
	s_addc_u32 s43, s41, s3
	s_add_i32 s2, s18, -1
	s_mul_i32 s16, s23, s2
	s_add_i32 s2, s35, 16
	v_addc_co_u32_e32 v5, vcc, 0, v2, vcc
	s_mul_i32 s2, s18, s2
	v_add_co_u32_e32 v2, vcc, 16, v3
	s_add_i32 s2, s2, 0
	v_addc_co_u32_e32 v3, vcc, 0, v5, vcc
	s_mov_b32 s39, s11
	s_mul_i32 s14, s23, s10
	v_mul_lo_u32 v12, v0, s23
	s_mul_i32 s44, s23, s19
	v_add3_u32 v13, s2, v4, -16
	s_xor_b32 s45, s35, -16
	s_branch .LBB241_8
.LBB241_7:                              ;   in Loop: Header=BB241_8 Depth=1
	s_or_b64 exec, exec, s[2:3]
	s_add_i32 s2, s10, -1
	s_add_u32 s42, s42, -16
	v_add_co_u32_e32 v2, vcc, -16, v2
	s_addc_u32 s43, s43, -1
	s_sub_i32 s14, s14, s23
	s_sub_i32 s16, s16, s23
	v_addc_co_u32_e32 v3, vcc, -1, v3, vcc
	v_add_u32_e32 v13, s45, v13
	s_cmp_lt_i32 s10, 1
	s_mov_b32 s10, s2
	s_waitcnt lgkmcnt(0)
	s_barrier
	s_cbranch_scc1 .LBB241_29
.LBB241_8:                              ; =>This Loop Header: Depth=1
                                        ;     Child Loop BB241_12 Depth 2
                                        ;       Child Loop BB241_14 Depth 3
                                        ;     Child Loop BB241_20 Depth 2
                                        ;       Child Loop BB241_22 Depth 3
	;; [unrolled: 2-line block ×3, first 2 shown]
	s_lshl_b32 s2, s10, 4
	s_not_b32 s46, s10
	s_add_i32 s47, s36, s2
	s_mul_i32 s2, s10, s18
	s_add_i32 s46, s46, s18
	s_lshl_b32 s2, s2, 4
	s_add_i32 s48, s10, s37
	s_add_i32 s47, s47, s2
	s_mov_b64 s[4:5], -1
	s_and_b64 vcc, exec, s[12:13]
	v_cmp_gt_i32_e64 s[2:3], s46, v0
	s_cbranch_vccz .LBB241_16
; %bb.9:                                ;   in Loop: Header=BB241_8 Depth=1
	s_and_saveexec_b64 s[20:21], s[2:3]
	s_cbranch_execz .LBB241_15
; %bb.10:                               ;   in Loop: Header=BB241_8 Depth=1
	s_cmp_gt_i32 s48, 0
	s_cselect_b64 s[2:3], -1, 0
	s_lshl_b64 s[4:5], s[10:11], 4
	s_add_u32 s4, s22, s4
	s_addc_u32 s5, s34, s5
	s_load_dwordx4 s[4:7], s[4:5], 0x0
	s_add_i32 s15, s47, 16
	s_mov_b64 s[24:25], 0
	v_pk_mov_b32 v[4:5], v[2:3], v[2:3] op_sel:[0,1]
	v_mov_b32_e32 v10, v0
	s_branch .LBB241_12
.LBB241_11:                             ;   in Loop: Header=BB241_12 Depth=2
	v_lshlrev_b32_e32 v11, 4, v10
	v_add_u32_e32 v14, s15, v11
	ds_read2_b64 v[14:17], v14 offset1:1
	s_waitcnt lgkmcnt(0)
	v_mul_f64 v[18:19], v[6:7], s[6:7]
	v_mul_f64 v[20:21], v[8:9], s[6:7]
	v_fma_f64 v[8:9], v[8:9], s[4:5], -v[18:19]
	v_fmac_f64_e32 v[20:21], s[4:5], v[6:7]
	v_add_u32_e32 v10, s19, v10
	v_add_f64 v[6:7], v[14:15], v[8:9]
	v_add_f64 v[8:9], v[20:21], v[16:17]
	v_add_u32_e32 v11, 0, v11
	v_cmp_le_i32_e32 vcc, s46, v10
	ds_write2_b64 v11, v[6:7], v[8:9] offset1:1
	v_mov_b32_e32 v6, s39
	s_or_b64 s[24:25], vcc, s[24:25]
	v_add_co_u32_e32 v4, vcc, s38, v4
	v_addc_co_u32_e32 v5, vcc, v5, v6, vcc
	s_andn2_b64 exec, exec, s[24:25]
	s_cbranch_execz .LBB241_15
.LBB241_12:                             ;   Parent Loop BB241_8 Depth=1
                                        ; =>  This Loop Header: Depth=2
                                        ;       Child Loop BB241_14 Depth 3
	v_pk_mov_b32 v[6:7], 0, 0
	s_andn2_b64 vcc, exec, s[2:3]
	v_pk_mov_b32 v[8:9], v[6:7], v[6:7] op_sel:[0,1]
	s_cbranch_vccnz .LBB241_11
; %bb.13:                               ;   in Loop: Header=BB241_12 Depth=2
	v_pk_mov_b32 v[6:7], 0, 0
	s_mov_b64 s[26:27], 0
	s_mov_b32 s17, 0
	v_pk_mov_b32 v[8:9], v[6:7], v[6:7] op_sel:[0,1]
.LBB241_14:                             ;   Parent Loop BB241_8 Depth=1
                                        ;     Parent Loop BB241_12 Depth=2
                                        ; =>    This Inner Loop Header: Depth=3
	v_mov_b32_e32 v11, s27
	v_add_co_u32_e32 v14, vcc, s26, v4
	v_addc_co_u32_e32 v15, vcc, v5, v11, vcc
	global_load_dwordx4 v[14:17], v[14:15], off
	s_add_u32 s28, s42, s26
	s_addc_u32 s29, s43, s27
	s_add_u32 s28, s28, -8
	s_addc_u32 s29, s29, -1
	s_load_dwordx4 s[52:55], s[28:29], 0x0
	s_add_i32 s17, s17, 1
	s_add_u32 s26, s26, s8
	s_addc_u32 s27, s27, s9
	s_cmp_ge_i32 s17, s48
	s_waitcnt vmcnt(0) lgkmcnt(0)
	v_mul_f64 v[18:19], s[54:55], v[16:17]
	v_mul_f64 v[20:21], s[54:55], v[14:15]
	v_fmac_f64_e32 v[18:19], s[52:53], v[14:15]
	v_fma_f64 v[14:15], s[52:53], v[16:17], -v[20:21]
	v_add_f64 v[8:9], v[8:9], v[18:19]
	v_add_f64 v[6:7], v[6:7], v[14:15]
	s_cbranch_scc0 .LBB241_14
	s_branch .LBB241_11
.LBB241_15:                             ;   in Loop: Header=BB241_8 Depth=1
	s_or_b64 exec, exec, s[20:21]
	s_mov_b64 s[4:5], 0
.LBB241_16:                             ;   in Loop: Header=BB241_8 Depth=1
	s_andn2_b64 vcc, exec, s[4:5]
	s_cbranch_vccnz .LBB241_24
; %bb.17:                               ;   in Loop: Header=BB241_8 Depth=1
	v_cmp_gt_i32_e32 vcc, s46, v0
	s_and_saveexec_b64 s[2:3], vcc
	s_cbranch_execz .LBB241_23
; %bb.18:                               ;   in Loop: Header=BB241_8 Depth=1
	s_ashr_i32 s15, s14, 31
	s_lshl_b64 s[4:5], s[14:15], 4
	s_add_u32 s20, s40, s4
	s_addc_u32 s21, s41, s5
	s_ashr_i32 s17, s16, 31
	s_lshl_b64 s[26:27], s[16:17], 4
	s_cmp_gt_i32 s48, 0
	s_cselect_b64 s[24:25], -1, 0
	s_lshl_b64 s[4:5], s[10:11], 4
	s_add_u32 s4, s22, s4
	s_addc_u32 s5, s34, s5
	s_load_dwordx4 s[4:7], s[4:5], 0x0
	s_add_i32 s15, s47, 16
	s_add_u32 s17, s40, s26
	s_addc_u32 s49, s41, s27
	s_mov_b64 s[26:27], 0
	v_mov_b32_e32 v4, v12
	v_mov_b32_e32 v14, v0
	s_branch .LBB241_20
.LBB241_19:                             ;   in Loop: Header=BB241_20 Depth=2
	v_lshlrev_b32_e32 v5, 4, v14
	v_add_u32_e32 v10, s15, v5
	ds_read2_b64 v[16:19], v10 offset1:1
	s_waitcnt lgkmcnt(0)
	v_mul_f64 v[10:11], v[6:7], s[6:7]
	v_mul_f64 v[20:21], v[8:9], s[6:7]
	v_add_u32_e32 v14, s19, v14
	v_fma_f64 v[8:9], v[8:9], s[4:5], -v[10:11]
	v_fmac_f64_e32 v[20:21], s[4:5], v[6:7]
	v_cmp_le_i32_e32 vcc, s46, v14
	v_add_f64 v[6:7], v[16:17], v[8:9]
	v_add_f64 v[8:9], v[20:21], v[18:19]
	v_add_u32_e32 v5, 0, v5
	s_or_b64 s[26:27], vcc, s[26:27]
	v_add_u32_e32 v4, s44, v4
	ds_write2_b64 v5, v[6:7], v[8:9] offset1:1
	s_andn2_b64 exec, exec, s[26:27]
	s_cbranch_execz .LBB241_23
.LBB241_20:                             ;   Parent Loop BB241_8 Depth=1
                                        ; =>  This Loop Header: Depth=2
                                        ;       Child Loop BB241_22 Depth 3
	v_pk_mov_b32 v[6:7], 0, 0
	s_andn2_b64 vcc, exec, s[24:25]
	v_pk_mov_b32 v[8:9], v[6:7], v[6:7] op_sel:[0,1]
	s_cbranch_vccnz .LBB241_19
; %bb.21:                               ;   in Loop: Header=BB241_20 Depth=2
	v_ashrrev_i32_e32 v5, 31, v4
	v_lshlrev_b64 v[6:7], 4, v[4:5]
	v_mov_b32_e32 v5, s49
	v_add_co_u32_e32 v10, vcc, s17, v6
	v_addc_co_u32_e32 v11, vcc, v5, v7, vcc
	v_pk_mov_b32 v[6:7], 0, 0
	s_mov_b32 s50, 0
	s_mov_b64 s[28:29], s[20:21]
	v_pk_mov_b32 v[8:9], v[6:7], v[6:7] op_sel:[0,1]
.LBB241_22:                             ;   Parent Loop BB241_8 Depth=1
                                        ;     Parent Loop BB241_20 Depth=2
                                        ; =>    This Inner Loop Header: Depth=3
	global_load_dwordx4 v[16:19], v[10:11], off offset:-8
	s_add_u32 s52, s28, -8
	s_addc_u32 s53, s29, -1
	s_load_dwordx4 s[52:55], s[52:53], 0x0
	s_add_i32 s50, s50, 1
	s_add_u32 s28, s28, 16
	v_add_co_u32_e32 v10, vcc, 16, v10
	s_addc_u32 s29, s29, 0
	v_addc_co_u32_e32 v11, vcc, 0, v11, vcc
	s_cmp_ge_i32 s50, s48
	s_waitcnt vmcnt(0) lgkmcnt(0)
	v_mul_f64 v[20:21], v[18:19], s[54:55]
	v_mul_f64 v[18:19], v[18:19], s[52:53]
	v_fmac_f64_e32 v[20:21], s[52:53], v[16:17]
	v_fma_f64 v[16:17], v[16:17], s[54:55], -v[18:19]
	v_add_f64 v[8:9], v[8:9], v[20:21]
	v_add_f64 v[6:7], v[6:7], v[16:17]
	s_cbranch_scc0 .LBB241_22
	s_branch .LBB241_19
.LBB241_23:                             ;   in Loop: Header=BB241_8 Depth=1
	s_or_b64 exec, exec, s[2:3]
.LBB241_24:                             ;   in Loop: Header=BB241_8 Depth=1
	v_cmp_gt_i32_e32 vcc, s46, v0
	s_waitcnt lgkmcnt(0)
	s_barrier
	s_and_saveexec_b64 s[2:3], vcc
	s_cbranch_execz .LBB241_7
; %bb.25:                               ;   in Loop: Header=BB241_8 Depth=1
	s_add_i32 s47, s47, 16
	s_mov_b64 s[4:5], 0
	v_mov_b32_e32 v8, v13
	v_mov_b32_e32 v9, v0
.LBB241_26:                             ;   Parent Loop BB241_8 Depth=1
                                        ; =>  This Loop Header: Depth=2
                                        ;       Child Loop BB241_27 Depth 3
	v_pk_mov_b32 v[4:5], 0, 0
	s_mov_b32 s15, -1
	s_mov_b32 s17, 0
	s_mov_b64 s[6:7], 0
	v_mov_b32_e32 v10, v8
	v_pk_mov_b32 v[6:7], v[4:5], v[4:5] op_sel:[0,1]
.LBB241_27:                             ;   Parent Loop BB241_8 Depth=1
                                        ;     Parent Loop BB241_26 Depth=2
                                        ; =>    This Inner Loop Header: Depth=3
	v_mov_b32_e32 v11, s17
	ds_read2_b64 v[14:17], v10 offset1:1
	ds_read2_b64 v[18:21], v11 offset1:1
	s_add_i32 s15, s15, 1
	s_add_i32 s17, s17, 16
	v_cmp_eq_u32_e32 vcc, s15, v9
	v_add_u32_e32 v10, s35, v10
	s_waitcnt lgkmcnt(0)
	v_mul_f64 v[22:23], v[20:21], v[16:17]
	v_mul_f64 v[16:17], v[18:19], v[16:17]
	v_fma_f64 v[18:19], v[18:19], v[14:15], -v[22:23]
	v_fmac_f64_e32 v[16:17], v[20:21], v[14:15]
	s_or_b64 s[6:7], vcc, s[6:7]
	v_add_f64 v[4:5], v[4:5], v[18:19]
	v_add_f64 v[6:7], v[6:7], v[16:17]
	s_andn2_b64 exec, exec, s[6:7]
	s_cbranch_execnz .LBB241_27
; %bb.28:                               ;   in Loop: Header=BB241_26 Depth=2
	s_or_b64 exec, exec, s[6:7]
	v_lshl_add_u32 v10, v9, 4, s47
	v_add_u32_e32 v9, s19, v9
	v_cmp_le_i32_e32 vcc, s46, v9
	s_or_b64 s[4:5], vcc, s[4:5]
	v_add_u32_e32 v8, s38, v8
	ds_write2_b64 v10, v[4:5], v[6:7] offset1:1
	s_andn2_b64 exec, exec, s[4:5]
	s_cbranch_execnz .LBB241_26
	s_branch .LBB241_7
.LBB241_29:
	s_and_saveexec_b64 s[2:3], s[0:1]
	s_cbranch_execz .LBB241_34
; %bb.30:
	s_lshl_b32 s6, s18, 4
	s_add_i32 s0, s6, 0
	v_lshl_add_u32 v4, v0, 4, s0
	s_lshl_b32 s7, s19, 4
	s_mov_b64 s[2:3], 0
	v_mov_b32_e32 v5, s33
.LBB241_31:                             ; =>This Loop Header: Depth=1
                                        ;     Child Loop BB241_32 Depth 2
	s_mov_b64 s[4:5], 0
	v_mov_b32_e32 v6, v4
	v_mov_b32_e32 v2, v0
	s_mov_b32 s8, 0
.LBB241_32:                             ;   Parent Loop BB241_31 Depth=1
                                        ; =>  This Inner Loop Header: Depth=2
	ds_read2_b64 v[8:11], v6 offset1:1
	v_ashrrev_i32_e32 v3, 31, v2
	s_add_i32 s8, s8, 1
	v_lshlrev_b64 v[12:13], 4, v[2:3]
	v_cmp_eq_u32_e32 vcc, s8, v1
	v_add_co_u32_e64 v12, s[0:1], s31, v12
	v_add_u32_e32 v6, s6, v6
	v_add_u32_e32 v2, s30, v2
	v_addc_co_u32_e64 v13, s[0:1], v5, v13, s[0:1]
	s_or_b64 s[4:5], vcc, s[4:5]
	s_waitcnt lgkmcnt(0)
	global_store_dwordx4 v[12:13], v[8:11], off
	s_andn2_b64 exec, exec, s[4:5]
	s_cbranch_execnz .LBB241_32
; %bb.33:                               ;   in Loop: Header=BB241_31 Depth=1
	s_or_b64 exec, exec, s[4:5]
	v_add_u32_e32 v0, s19, v0
	v_cmp_le_i32_e32 vcc, s18, v0
	v_add_u32_e32 v1, s19, v1
	s_or_b64 s[2:3], vcc, s[2:3]
	v_add_u32_e32 v4, s7, v4
	s_andn2_b64 exec, exec, s[2:3]
	s_cbranch_execnz .LBB241_31
.LBB241_34:
	s_endpgm
	.section	.rodata,"a",@progbits
	.p2align	6, 0x0
	.amdhsa_kernel _ZN9rocsolver6v33100L21larft_kernel_backwardI19rocblas_complex_numIdEPS3_EEv15rocblas_storev_iiT0_iilPT_lS8_il
		.amdhsa_group_segment_fixed_size 0
		.amdhsa_private_segment_fixed_size 0
		.amdhsa_kernarg_size 336
		.amdhsa_user_sgpr_count 6
		.amdhsa_user_sgpr_private_segment_buffer 1
		.amdhsa_user_sgpr_dispatch_ptr 0
		.amdhsa_user_sgpr_queue_ptr 0
		.amdhsa_user_sgpr_kernarg_segment_ptr 1
		.amdhsa_user_sgpr_dispatch_id 0
		.amdhsa_user_sgpr_flat_scratch_init 0
		.amdhsa_user_sgpr_kernarg_preload_length 0
		.amdhsa_user_sgpr_kernarg_preload_offset 0
		.amdhsa_user_sgpr_private_segment_size 0
		.amdhsa_uses_dynamic_stack 0
		.amdhsa_system_sgpr_private_segment_wavefront_offset 0
		.amdhsa_system_sgpr_workgroup_id_x 1
		.amdhsa_system_sgpr_workgroup_id_y 1
		.amdhsa_system_sgpr_workgroup_id_z 0
		.amdhsa_system_sgpr_workgroup_info 0
		.amdhsa_system_vgpr_workitem_id 0
		.amdhsa_next_free_vgpr 24
		.amdhsa_next_free_sgpr 56
		.amdhsa_accum_offset 24
		.amdhsa_reserve_vcc 1
		.amdhsa_reserve_flat_scratch 0
		.amdhsa_float_round_mode_32 0
		.amdhsa_float_round_mode_16_64 0
		.amdhsa_float_denorm_mode_32 3
		.amdhsa_float_denorm_mode_16_64 3
		.amdhsa_dx10_clamp 1
		.amdhsa_ieee_mode 1
		.amdhsa_fp16_overflow 0
		.amdhsa_tg_split 0
		.amdhsa_exception_fp_ieee_invalid_op 0
		.amdhsa_exception_fp_denorm_src 0
		.amdhsa_exception_fp_ieee_div_zero 0
		.amdhsa_exception_fp_ieee_overflow 0
		.amdhsa_exception_fp_ieee_underflow 0
		.amdhsa_exception_fp_ieee_inexact 0
		.amdhsa_exception_int_div_zero 0
	.end_amdhsa_kernel
	.section	.text._ZN9rocsolver6v33100L21larft_kernel_backwardI19rocblas_complex_numIdEPS3_EEv15rocblas_storev_iiT0_iilPT_lS8_il,"axG",@progbits,_ZN9rocsolver6v33100L21larft_kernel_backwardI19rocblas_complex_numIdEPS3_EEv15rocblas_storev_iiT0_iilPT_lS8_il,comdat
.Lfunc_end241:
	.size	_ZN9rocsolver6v33100L21larft_kernel_backwardI19rocblas_complex_numIdEPS3_EEv15rocblas_storev_iiT0_iilPT_lS8_il, .Lfunc_end241-_ZN9rocsolver6v33100L21larft_kernel_backwardI19rocblas_complex_numIdEPS3_EEv15rocblas_storev_iiT0_iilPT_lS8_il
                                        ; -- End function
	.section	.AMDGPU.csdata,"",@progbits
; Kernel info:
; codeLenInByte = 1752
; NumSgprs: 60
; NumVgprs: 24
; NumAgprs: 0
; TotalNumVgprs: 24
; ScratchSize: 0
; MemoryBound: 0
; FloatMode: 240
; IeeeMode: 1
; LDSByteSize: 0 bytes/workgroup (compile time only)
; SGPRBlocks: 7
; VGPRBlocks: 2
; NumSGPRsForWavesPerEU: 60
; NumVGPRsForWavesPerEU: 24
; AccumOffset: 24
; Occupancy: 8
; WaveLimiterHint : 0
; COMPUTE_PGM_RSRC2:SCRATCH_EN: 0
; COMPUTE_PGM_RSRC2:USER_SGPR: 6
; COMPUTE_PGM_RSRC2:TRAP_HANDLER: 0
; COMPUTE_PGM_RSRC2:TGID_X_EN: 1
; COMPUTE_PGM_RSRC2:TGID_Y_EN: 1
; COMPUTE_PGM_RSRC2:TGID_Z_EN: 0
; COMPUTE_PGM_RSRC2:TIDIG_COMP_CNT: 0
; COMPUTE_PGM_RSRC3_GFX90A:ACCUM_OFFSET: 5
; COMPUTE_PGM_RSRC3_GFX90A:TG_SPLIT: 0
	.section	.text._ZN9rocsolver6v33100L9copymatA1I19rocblas_complex_numIdEPS3_EEviiT0_iilPT_,"axG",@progbits,_ZN9rocsolver6v33100L9copymatA1I19rocblas_complex_numIdEPS3_EEviiT0_iilPT_,comdat
	.globl	_ZN9rocsolver6v33100L9copymatA1I19rocblas_complex_numIdEPS3_EEviiT0_iilPT_ ; -- Begin function _ZN9rocsolver6v33100L9copymatA1I19rocblas_complex_numIdEPS3_EEviiT0_iilPT_
	.p2align	8
	.type	_ZN9rocsolver6v33100L9copymatA1I19rocblas_complex_numIdEPS3_EEviiT0_iilPT_,@function
_ZN9rocsolver6v33100L9copymatA1I19rocblas_complex_numIdEPS3_EEviiT0_iilPT_: ; @_ZN9rocsolver6v33100L9copymatA1I19rocblas_complex_numIdEPS3_EEviiT0_iilPT_
; %bb.0:
	s_load_dword s0, s[4:5], 0x34
	s_load_dwordx2 s[2:3], s[4:5], 0x0
	v_and_b32_e32 v1, 0x3ff, v0
	v_bfe_u32 v0, v0, 10, 10
	s_waitcnt lgkmcnt(0)
	s_lshr_b32 s1, s0, 16
	s_and_b32 s0, s0, 0xffff
	s_mul_i32 s6, s6, s0
	s_mul_i32 s7, s7, s1
	v_add_u32_e32 v1, s6, v1
	v_add_u32_e32 v0, s7, v0
	v_cmp_gt_u32_e32 vcc, s2, v0
	v_cmp_gt_u32_e64 s[0:1], s3, v1
	s_and_b64 s[0:1], s[0:1], vcc
	s_and_saveexec_b64 s[6:7], s[0:1]
	s_cbranch_execz .LBB242_2
; %bb.1:
	s_ashr_i32 s0, s2, 31
	s_load_dwordx8 s[12:19], s[4:5], 0x8
	s_mul_hi_u32 s4, s2, s8
	s_mul_i32 s0, s0, s8
	s_ashr_i32 s1, s3, 31
	s_add_i32 s0, s4, s0
	s_mul_i32 s4, s2, s8
	s_mul_i32 s1, s4, s1
	s_mul_hi_u32 s5, s4, s3
	s_add_i32 s1, s5, s1
	s_mul_i32 s0, s0, s3
	s_add_i32 s1, s1, s0
	s_mul_i32 s0, s4, s3
	s_lshl_b64 s[0:1], s[0:1], 4
	s_waitcnt lgkmcnt(0)
	s_add_u32 s3, s18, s0
	s_mul_i32 s4, s8, s17
	s_mul_hi_u32 s5, s8, s16
	s_addc_u32 s6, s19, s1
	s_add_i32 s5, s5, s4
	s_mul_i32 s4, s8, s16
	s_ashr_i32 s1, s14, 31
	s_lshl_b64 s[4:5], s[4:5], 4
	s_mov_b32 s0, s14
	s_add_u32 s4, s12, s4
	s_addc_u32 s5, s13, s5
	s_lshl_b64 s[0:1], s[0:1], 4
	s_add_u32 s4, s4, s0
	s_addc_u32 s5, s5, s1
	v_mad_u64_u32 v[6:7], s[0:1], v1, s15, v[0:1]
	v_mov_b32_e32 v7, 0
	v_lshlrev_b64 v[2:3], 4, v[6:7]
	v_mov_b32_e32 v4, s5
	v_add_co_u32_e32 v2, vcc, s4, v2
	v_addc_co_u32_e32 v3, vcc, v4, v3, vcc
	global_load_dwordx4 v[2:5], v[2:3], off
	v_mad_u64_u32 v[0:1], s[0:1], v1, s2, v[0:1]
	v_mov_b32_e32 v1, v7
	v_lshlrev_b64 v[0:1], 4, v[0:1]
	v_mov_b32_e32 v6, s6
	v_add_co_u32_e32 v0, vcc, s3, v0
	v_addc_co_u32_e32 v1, vcc, v6, v1, vcc
	s_waitcnt vmcnt(0)
	global_store_dwordx4 v[0:1], v[2:5], off
.LBB242_2:
	s_endpgm
	.section	.rodata,"a",@progbits
	.p2align	6, 0x0
	.amdhsa_kernel _ZN9rocsolver6v33100L9copymatA1I19rocblas_complex_numIdEPS3_EEviiT0_iilPT_
		.amdhsa_group_segment_fixed_size 0
		.amdhsa_private_segment_fixed_size 0
		.amdhsa_kernarg_size 296
		.amdhsa_user_sgpr_count 6
		.amdhsa_user_sgpr_private_segment_buffer 1
		.amdhsa_user_sgpr_dispatch_ptr 0
		.amdhsa_user_sgpr_queue_ptr 0
		.amdhsa_user_sgpr_kernarg_segment_ptr 1
		.amdhsa_user_sgpr_dispatch_id 0
		.amdhsa_user_sgpr_flat_scratch_init 0
		.amdhsa_user_sgpr_kernarg_preload_length 0
		.amdhsa_user_sgpr_kernarg_preload_offset 0
		.amdhsa_user_sgpr_private_segment_size 0
		.amdhsa_uses_dynamic_stack 0
		.amdhsa_system_sgpr_private_segment_wavefront_offset 0
		.amdhsa_system_sgpr_workgroup_id_x 1
		.amdhsa_system_sgpr_workgroup_id_y 1
		.amdhsa_system_sgpr_workgroup_id_z 1
		.amdhsa_system_sgpr_workgroup_info 0
		.amdhsa_system_vgpr_workitem_id 1
		.amdhsa_next_free_vgpr 8
		.amdhsa_next_free_sgpr 20
		.amdhsa_accum_offset 8
		.amdhsa_reserve_vcc 1
		.amdhsa_reserve_flat_scratch 0
		.amdhsa_float_round_mode_32 0
		.amdhsa_float_round_mode_16_64 0
		.amdhsa_float_denorm_mode_32 3
		.amdhsa_float_denorm_mode_16_64 3
		.amdhsa_dx10_clamp 1
		.amdhsa_ieee_mode 1
		.amdhsa_fp16_overflow 0
		.amdhsa_tg_split 0
		.amdhsa_exception_fp_ieee_invalid_op 0
		.amdhsa_exception_fp_denorm_src 0
		.amdhsa_exception_fp_ieee_div_zero 0
		.amdhsa_exception_fp_ieee_overflow 0
		.amdhsa_exception_fp_ieee_underflow 0
		.amdhsa_exception_fp_ieee_inexact 0
		.amdhsa_exception_int_div_zero 0
	.end_amdhsa_kernel
	.section	.text._ZN9rocsolver6v33100L9copymatA1I19rocblas_complex_numIdEPS3_EEviiT0_iilPT_,"axG",@progbits,_ZN9rocsolver6v33100L9copymatA1I19rocblas_complex_numIdEPS3_EEviiT0_iilPT_,comdat
.Lfunc_end242:
	.size	_ZN9rocsolver6v33100L9copymatA1I19rocblas_complex_numIdEPS3_EEviiT0_iilPT_, .Lfunc_end242-_ZN9rocsolver6v33100L9copymatA1I19rocblas_complex_numIdEPS3_EEviiT0_iilPT_
                                        ; -- End function
	.section	.AMDGPU.csdata,"",@progbits
; Kernel info:
; codeLenInByte = 296
; NumSgprs: 24
; NumVgprs: 8
; NumAgprs: 0
; TotalNumVgprs: 8
; ScratchSize: 0
; MemoryBound: 0
; FloatMode: 240
; IeeeMode: 1
; LDSByteSize: 0 bytes/workgroup (compile time only)
; SGPRBlocks: 2
; VGPRBlocks: 0
; NumSGPRsForWavesPerEU: 24
; NumVGPRsForWavesPerEU: 8
; AccumOffset: 8
; Occupancy: 8
; WaveLimiterHint : 0
; COMPUTE_PGM_RSRC2:SCRATCH_EN: 0
; COMPUTE_PGM_RSRC2:USER_SGPR: 6
; COMPUTE_PGM_RSRC2:TRAP_HANDLER: 0
; COMPUTE_PGM_RSRC2:TGID_X_EN: 1
; COMPUTE_PGM_RSRC2:TGID_Y_EN: 1
; COMPUTE_PGM_RSRC2:TGID_Z_EN: 1
; COMPUTE_PGM_RSRC2:TIDIG_COMP_CNT: 1
; COMPUTE_PGM_RSRC3_GFX90A:ACCUM_OFFSET: 1
; COMPUTE_PGM_RSRC3_GFX90A:TG_SPLIT: 0
	.section	.text._ZN9rocsolver6v33100L8addmatA1I19rocblas_complex_numIdEPS3_EEviiT0_iilPT_,"axG",@progbits,_ZN9rocsolver6v33100L8addmatA1I19rocblas_complex_numIdEPS3_EEviiT0_iilPT_,comdat
	.globl	_ZN9rocsolver6v33100L8addmatA1I19rocblas_complex_numIdEPS3_EEviiT0_iilPT_ ; -- Begin function _ZN9rocsolver6v33100L8addmatA1I19rocblas_complex_numIdEPS3_EEviiT0_iilPT_
	.p2align	8
	.type	_ZN9rocsolver6v33100L8addmatA1I19rocblas_complex_numIdEPS3_EEviiT0_iilPT_,@function
_ZN9rocsolver6v33100L8addmatA1I19rocblas_complex_numIdEPS3_EEviiT0_iilPT_: ; @_ZN9rocsolver6v33100L8addmatA1I19rocblas_complex_numIdEPS3_EEviiT0_iilPT_
; %bb.0:
	s_load_dword s0, s[4:5], 0x34
	s_load_dwordx2 s[10:11], s[4:5], 0x0
	v_and_b32_e32 v1, 0x3ff, v0
	v_bfe_u32 v0, v0, 10, 10
	s_waitcnt lgkmcnt(0)
	s_lshr_b32 s1, s0, 16
	s_and_b32 s0, s0, 0xffff
	s_mul_i32 s6, s6, s0
	s_mul_i32 s7, s7, s1
	v_add_u32_e32 v1, s6, v1
	v_add_u32_e32 v0, s7, v0
	v_cmp_gt_u32_e32 vcc, s10, v0
	v_cmp_gt_u32_e64 s[0:1], s11, v1
	s_and_b64 s[0:1], s[0:1], vcc
	s_and_saveexec_b64 s[2:3], s[0:1]
	s_cbranch_execz .LBB243_2
; %bb.1:
	s_ashr_i32 s9, s10, 31
	s_load_dwordx8 s[0:7], s[4:5], 0x8
	s_ashr_i32 s12, s11, 31
	s_mul_hi_u32 s13, s10, s8
	s_mul_i32 s9, s9, s8
	s_mul_i32 s14, s10, s8
	s_add_i32 s9, s13, s9
	s_mul_i32 s12, s14, s12
	s_mul_hi_u32 s13, s14, s11
	s_add_i32 s12, s13, s12
	s_mul_i32 s9, s9, s11
	s_add_i32 s13, s12, s9
	s_mul_i32 s12, s14, s11
	s_lshl_b64 s[12:13], s[12:13], 4
	s_waitcnt lgkmcnt(0)
	s_add_u32 s9, s6, s12
	s_addc_u32 s11, s7, s13
	s_ashr_i32 s7, s2, 31
	s_mov_b32 s6, s2
	s_mul_i32 s2, s8, s5
	s_mul_hi_u32 s5, s8, s4
	s_add_i32 s5, s5, s2
	s_mul_i32 s4, s8, s4
	s_lshl_b64 s[4:5], s[4:5], 4
	s_add_u32 s2, s0, s4
	s_addc_u32 s4, s1, s5
	s_lshl_b64 s[0:1], s[6:7], 4
	s_add_u32 s2, s2, s0
	s_addc_u32 s4, s4, s1
	v_mad_u64_u32 v[2:3], s[0:1], v1, s10, v[0:1]
	v_mov_b32_e32 v3, 0
	v_lshlrev_b64 v[4:5], 4, v[2:3]
	v_mad_u64_u32 v[0:1], s[0:1], v1, s3, v[0:1]
	v_mov_b32_e32 v2, s11
	v_add_co_u32_e32 v8, vcc, s9, v4
	v_mov_b32_e32 v1, v3
	v_addc_co_u32_e32 v9, vcc, v2, v5, vcc
	v_lshlrev_b64 v[0:1], 4, v[0:1]
	v_mov_b32_e32 v2, s4
	v_add_co_u32_e32 v10, vcc, s2, v0
	v_addc_co_u32_e32 v11, vcc, v2, v1, vcc
	global_load_dwordx4 v[0:3], v[8:9], off
	global_load_dwordx4 v[4:7], v[10:11], off
	s_waitcnt vmcnt(0)
	v_add_f64 v[0:1], v[4:5], -v[0:1]
	v_add_f64 v[2:3], v[6:7], -v[2:3]
	global_store_dwordx4 v[10:11], v[0:3], off
.LBB243_2:
	s_endpgm
	.section	.rodata,"a",@progbits
	.p2align	6, 0x0
	.amdhsa_kernel _ZN9rocsolver6v33100L8addmatA1I19rocblas_complex_numIdEPS3_EEviiT0_iilPT_
		.amdhsa_group_segment_fixed_size 0
		.amdhsa_private_segment_fixed_size 0
		.amdhsa_kernarg_size 296
		.amdhsa_user_sgpr_count 6
		.amdhsa_user_sgpr_private_segment_buffer 1
		.amdhsa_user_sgpr_dispatch_ptr 0
		.amdhsa_user_sgpr_queue_ptr 0
		.amdhsa_user_sgpr_kernarg_segment_ptr 1
		.amdhsa_user_sgpr_dispatch_id 0
		.amdhsa_user_sgpr_flat_scratch_init 0
		.amdhsa_user_sgpr_kernarg_preload_length 0
		.amdhsa_user_sgpr_kernarg_preload_offset 0
		.amdhsa_user_sgpr_private_segment_size 0
		.amdhsa_uses_dynamic_stack 0
		.amdhsa_system_sgpr_private_segment_wavefront_offset 0
		.amdhsa_system_sgpr_workgroup_id_x 1
		.amdhsa_system_sgpr_workgroup_id_y 1
		.amdhsa_system_sgpr_workgroup_id_z 1
		.amdhsa_system_sgpr_workgroup_info 0
		.amdhsa_system_vgpr_workitem_id 1
		.amdhsa_next_free_vgpr 12
		.amdhsa_next_free_sgpr 15
		.amdhsa_accum_offset 12
		.amdhsa_reserve_vcc 1
		.amdhsa_reserve_flat_scratch 0
		.amdhsa_float_round_mode_32 0
		.amdhsa_float_round_mode_16_64 0
		.amdhsa_float_denorm_mode_32 3
		.amdhsa_float_denorm_mode_16_64 3
		.amdhsa_dx10_clamp 1
		.amdhsa_ieee_mode 1
		.amdhsa_fp16_overflow 0
		.amdhsa_tg_split 0
		.amdhsa_exception_fp_ieee_invalid_op 0
		.amdhsa_exception_fp_denorm_src 0
		.amdhsa_exception_fp_ieee_div_zero 0
		.amdhsa_exception_fp_ieee_overflow 0
		.amdhsa_exception_fp_ieee_underflow 0
		.amdhsa_exception_fp_ieee_inexact 0
		.amdhsa_exception_int_div_zero 0
	.end_amdhsa_kernel
	.section	.text._ZN9rocsolver6v33100L8addmatA1I19rocblas_complex_numIdEPS3_EEviiT0_iilPT_,"axG",@progbits,_ZN9rocsolver6v33100L8addmatA1I19rocblas_complex_numIdEPS3_EEviiT0_iilPT_,comdat
.Lfunc_end243:
	.size	_ZN9rocsolver6v33100L8addmatA1I19rocblas_complex_numIdEPS3_EEviiT0_iilPT_, .Lfunc_end243-_ZN9rocsolver6v33100L8addmatA1I19rocblas_complex_numIdEPS3_EEviiT0_iilPT_
                                        ; -- End function
	.section	.AMDGPU.csdata,"",@progbits
; Kernel info:
; codeLenInByte = 320
; NumSgprs: 19
; NumVgprs: 12
; NumAgprs: 0
; TotalNumVgprs: 12
; ScratchSize: 0
; MemoryBound: 0
; FloatMode: 240
; IeeeMode: 1
; LDSByteSize: 0 bytes/workgroup (compile time only)
; SGPRBlocks: 2
; VGPRBlocks: 1
; NumSGPRsForWavesPerEU: 19
; NumVGPRsForWavesPerEU: 12
; AccumOffset: 12
; Occupancy: 8
; WaveLimiterHint : 0
; COMPUTE_PGM_RSRC2:SCRATCH_EN: 0
; COMPUTE_PGM_RSRC2:USER_SGPR: 6
; COMPUTE_PGM_RSRC2:TRAP_HANDLER: 0
; COMPUTE_PGM_RSRC2:TGID_X_EN: 1
; COMPUTE_PGM_RSRC2:TGID_Y_EN: 1
; COMPUTE_PGM_RSRC2:TGID_Z_EN: 1
; COMPUTE_PGM_RSRC2:TIDIG_COMP_CNT: 1
; COMPUTE_PGM_RSRC3_GFX90A:ACCUM_OFFSET: 2
; COMPUTE_PGM_RSRC3_GFX90A:TG_SPLIT: 0
	.section	.text._ZN9rocsolver6v33100L16orgl2_init_identI19rocblas_complex_numIdEPS3_EEviiiT0_iil,"axG",@progbits,_ZN9rocsolver6v33100L16orgl2_init_identI19rocblas_complex_numIdEPS3_EEviiiT0_iil,comdat
	.globl	_ZN9rocsolver6v33100L16orgl2_init_identI19rocblas_complex_numIdEPS3_EEviiiT0_iil ; -- Begin function _ZN9rocsolver6v33100L16orgl2_init_identI19rocblas_complex_numIdEPS3_EEviiiT0_iil
	.p2align	8
	.type	_ZN9rocsolver6v33100L16orgl2_init_identI19rocblas_complex_numIdEPS3_EEviiiT0_iil,@function
_ZN9rocsolver6v33100L16orgl2_init_identI19rocblas_complex_numIdEPS3_EEviiiT0_iil: ; @_ZN9rocsolver6v33100L16orgl2_init_identI19rocblas_complex_numIdEPS3_EEviiiT0_iil
; %bb.0:
	s_load_dword s0, s[4:5], 0x34
	s_load_dwordx4 s[12:15], s[4:5], 0x0
	v_bfe_u32 v1, v0, 10, 10
	v_and_b32_e32 v0, 0x3ff, v0
	s_waitcnt lgkmcnt(0)
	s_lshr_b32 s1, s0, 16
	s_and_b32 s0, s0, 0xffff
	s_mul_i32 s7, s7, s1
	s_mul_i32 s6, s6, s0
	v_add_u32_e32 v2, s7, v1
	v_add_u32_e32 v4, s6, v0
	v_cmp_gt_u32_e32 vcc, s12, v4
	v_cmp_gt_u32_e64 s[0:1], s13, v2
	s_and_b64 s[0:1], vcc, s[0:1]
	s_and_saveexec_b64 s[2:3], s[0:1]
	s_cbranch_execz .LBB244_5
; %bb.1:
	s_load_dwordx4 s[0:3], s[4:5], 0x10
	s_load_dwordx2 s[6:7], s[4:5], 0x20
	v_cmp_ne_u32_e32 vcc, v4, v2
                                        ; implicit-def: $vgpr0_vgpr1
	s_waitcnt lgkmcnt(0)
	s_ashr_i32 s5, s2, 31
	s_mov_b32 s4, s2
	s_mul_i32 s2, s8, s7
	s_mul_hi_u32 s7, s8, s6
	s_add_i32 s7, s7, s2
	s_mul_i32 s6, s8, s6
	s_lshl_b64 s[6:7], s[6:7], 4
	s_add_u32 s2, s0, s6
	s_addc_u32 s6, s1, s7
	s_lshl_b64 s[0:1], s[4:5], 4
	s_add_u32 s2, s2, s0
	s_addc_u32 s10, s6, s1
	s_mov_b64 s[4:5], 0
	s_and_saveexec_b64 s[0:1], vcc
	s_xor_b64 s[0:1], exec, s[0:1]
	s_cbranch_execnz .LBB244_6
; %bb.2:
	s_andn2_saveexec_b64 s[0:1], s[0:1]
	s_cbranch_execnz .LBB244_13
.LBB244_3:
	s_or_b64 exec, exec, s[0:1]
	s_and_b64 exec, exec, s[4:5]
	s_cbranch_execz .LBB244_5
.LBB244_4:
	v_mov_b32_e32 v2, 0
	v_mov_b32_e32 v3, v2
	global_store_dwordx2 v[0:1], v[2:3], off
.LBB244_5:
	s_endpgm
.LBB244_6:
	v_cmp_ge_u32_e32 vcc, v2, v4
                                        ; implicit-def: $vgpr0_vgpr1
	s_and_saveexec_b64 s[6:7], vcc
	s_xor_b64 s[6:7], exec, s[6:7]
	s_cbranch_execz .LBB244_10
; %bb.7:
	v_cmp_le_u32_e32 vcc, s14, v4
                                        ; implicit-def: $vgpr0_vgpr1
	s_and_saveexec_b64 s[8:9], vcc
	s_xor_b64 s[8:9], exec, s[8:9]
	s_cbranch_execz .LBB244_9
; %bb.8:
	v_mad_u64_u32 v[2:3], s[12:13], v2, s3, v[4:5]
	v_mov_b32_e32 v3, 0
	v_lshlrev_b64 v[0:1], 4, v[2:3]
	v_mov_b32_e32 v2, s10
	v_add_co_u32_e32 v4, vcc, s2, v0
	v_addc_co_u32_e32 v5, vcc, v2, v1, vcc
	v_add_co_u32_e32 v0, vcc, 8, v4
	s_mov_b64 s[4:5], exec
	v_addc_co_u32_e32 v1, vcc, 0, v5, vcc
	v_mov_b32_e32 v2, v3
	global_store_dwordx2 v[4:5], v[2:3], off
.LBB244_9:
	s_or_b64 exec, exec, s[8:9]
	s_and_b64 s[4:5], s[4:5], exec
                                        ; implicit-def: $vgpr4
                                        ; implicit-def: $vgpr2
.LBB244_10:
	s_andn2_saveexec_b64 s[6:7], s[6:7]
	s_cbranch_execz .LBB244_12
; %bb.11:
	v_mad_u64_u32 v[0:1], s[8:9], v2, s3, v[4:5]
	v_mov_b32_e32 v1, 0
	v_lshlrev_b64 v[2:3], 4, v[0:1]
	v_mov_b32_e32 v0, s10
	v_add_co_u32_e32 v2, vcc, s2, v2
	v_addc_co_u32_e32 v3, vcc, v0, v3, vcc
	v_mov_b32_e32 v0, v1
	global_store_dwordx2 v[2:3], v[0:1], off
	v_add_co_u32_e32 v0, vcc, 8, v2
	v_addc_co_u32_e32 v1, vcc, 0, v3, vcc
	s_or_b64 s[4:5], s[4:5], exec
.LBB244_12:
	s_or_b64 exec, exec, s[6:7]
	s_and_b64 s[4:5], s[4:5], exec
                                        ; implicit-def: $vgpr2
	s_andn2_saveexec_b64 s[0:1], s[0:1]
	s_cbranch_execz .LBB244_3
.LBB244_13:
	v_mad_u64_u32 v[0:1], s[6:7], v2, s3, v[2:3]
	v_mov_b32_e32 v1, 0
	v_lshlrev_b64 v[2:3], 4, v[0:1]
	v_mov_b32_e32 v0, s10
	v_add_co_u32_e32 v2, vcc, s2, v2
	v_addc_co_u32_e32 v3, vcc, v0, v3, vcc
	v_add_co_u32_e32 v0, vcc, 8, v2
	v_mov_b32_e32 v5, 0x3ff00000
	v_mov_b32_e32 v4, v1
	v_addc_co_u32_e32 v1, vcc, 0, v3, vcc
	s_or_b64 s[4:5], s[4:5], exec
	global_store_dwordx2 v[2:3], v[4:5], off
	s_or_b64 exec, exec, s[0:1]
	s_and_b64 exec, exec, s[4:5]
	s_cbranch_execnz .LBB244_4
	s_branch .LBB244_5
	.section	.rodata,"a",@progbits
	.p2align	6, 0x0
	.amdhsa_kernel _ZN9rocsolver6v33100L16orgl2_init_identI19rocblas_complex_numIdEPS3_EEviiiT0_iil
		.amdhsa_group_segment_fixed_size 0
		.amdhsa_private_segment_fixed_size 0
		.amdhsa_kernarg_size 296
		.amdhsa_user_sgpr_count 6
		.amdhsa_user_sgpr_private_segment_buffer 1
		.amdhsa_user_sgpr_dispatch_ptr 0
		.amdhsa_user_sgpr_queue_ptr 0
		.amdhsa_user_sgpr_kernarg_segment_ptr 1
		.amdhsa_user_sgpr_dispatch_id 0
		.amdhsa_user_sgpr_flat_scratch_init 0
		.amdhsa_user_sgpr_kernarg_preload_length 0
		.amdhsa_user_sgpr_kernarg_preload_offset 0
		.amdhsa_user_sgpr_private_segment_size 0
		.amdhsa_uses_dynamic_stack 0
		.amdhsa_system_sgpr_private_segment_wavefront_offset 0
		.amdhsa_system_sgpr_workgroup_id_x 1
		.amdhsa_system_sgpr_workgroup_id_y 1
		.amdhsa_system_sgpr_workgroup_id_z 1
		.amdhsa_system_sgpr_workgroup_info 0
		.amdhsa_system_vgpr_workitem_id 1
		.amdhsa_next_free_vgpr 6
		.amdhsa_next_free_sgpr 16
		.amdhsa_accum_offset 8
		.amdhsa_reserve_vcc 1
		.amdhsa_reserve_flat_scratch 0
		.amdhsa_float_round_mode_32 0
		.amdhsa_float_round_mode_16_64 0
		.amdhsa_float_denorm_mode_32 3
		.amdhsa_float_denorm_mode_16_64 3
		.amdhsa_dx10_clamp 1
		.amdhsa_ieee_mode 1
		.amdhsa_fp16_overflow 0
		.amdhsa_tg_split 0
		.amdhsa_exception_fp_ieee_invalid_op 0
		.amdhsa_exception_fp_denorm_src 0
		.amdhsa_exception_fp_ieee_div_zero 0
		.amdhsa_exception_fp_ieee_overflow 0
		.amdhsa_exception_fp_ieee_underflow 0
		.amdhsa_exception_fp_ieee_inexact 0
		.amdhsa_exception_int_div_zero 0
	.end_amdhsa_kernel
	.section	.text._ZN9rocsolver6v33100L16orgl2_init_identI19rocblas_complex_numIdEPS3_EEviiiT0_iil,"axG",@progbits,_ZN9rocsolver6v33100L16orgl2_init_identI19rocblas_complex_numIdEPS3_EEviiiT0_iil,comdat
.Lfunc_end244:
	.size	_ZN9rocsolver6v33100L16orgl2_init_identI19rocblas_complex_numIdEPS3_EEviiiT0_iil, .Lfunc_end244-_ZN9rocsolver6v33100L16orgl2_init_identI19rocblas_complex_numIdEPS3_EEviiiT0_iil
                                        ; -- End function
	.section	.AMDGPU.csdata,"",@progbits
; Kernel info:
; codeLenInByte = 472
; NumSgprs: 20
; NumVgprs: 6
; NumAgprs: 0
; TotalNumVgprs: 6
; ScratchSize: 0
; MemoryBound: 0
; FloatMode: 240
; IeeeMode: 1
; LDSByteSize: 0 bytes/workgroup (compile time only)
; SGPRBlocks: 2
; VGPRBlocks: 0
; NumSGPRsForWavesPerEU: 20
; NumVGPRsForWavesPerEU: 6
; AccumOffset: 8
; Occupancy: 8
; WaveLimiterHint : 0
; COMPUTE_PGM_RSRC2:SCRATCH_EN: 0
; COMPUTE_PGM_RSRC2:USER_SGPR: 6
; COMPUTE_PGM_RSRC2:TRAP_HANDLER: 0
; COMPUTE_PGM_RSRC2:TGID_X_EN: 1
; COMPUTE_PGM_RSRC2:TGID_Y_EN: 1
; COMPUTE_PGM_RSRC2:TGID_Z_EN: 1
; COMPUTE_PGM_RSRC2:TIDIG_COMP_CNT: 1
; COMPUTE_PGM_RSRC3_GFX90A:ACCUM_OFFSET: 1
; COMPUTE_PGM_RSRC3_GFX90A:TG_SPLIT: 0
	.section	.text._ZN9rocsolver6v33100L8set_zeroI19rocblas_complex_numIdEPS3_EEviiT0_iil13rocblas_fill_,"axG",@progbits,_ZN9rocsolver6v33100L8set_zeroI19rocblas_complex_numIdEPS3_EEviiT0_iil13rocblas_fill_,comdat
	.globl	_ZN9rocsolver6v33100L8set_zeroI19rocblas_complex_numIdEPS3_EEviiT0_iil13rocblas_fill_ ; -- Begin function _ZN9rocsolver6v33100L8set_zeroI19rocblas_complex_numIdEPS3_EEviiT0_iil13rocblas_fill_
	.p2align	8
	.type	_ZN9rocsolver6v33100L8set_zeroI19rocblas_complex_numIdEPS3_EEviiT0_iil13rocblas_fill_,@function
_ZN9rocsolver6v33100L8set_zeroI19rocblas_complex_numIdEPS3_EEviiT0_iil13rocblas_fill_: ; @_ZN9rocsolver6v33100L8set_zeroI19rocblas_complex_numIdEPS3_EEviiT0_iil13rocblas_fill_
; %bb.0:
	s_load_dword s2, s[4:5], 0x34
	s_load_dwordx2 s[0:1], s[4:5], 0x0
	v_and_b32_e32 v1, 0x3ff, v0
	v_bfe_u32 v0, v0, 10, 10
	s_waitcnt lgkmcnt(0)
	s_lshr_b32 s3, s2, 16
	s_and_b32 s2, s2, 0xffff
	s_mul_i32 s6, s6, s2
	s_mul_i32 s7, s7, s3
	v_add_u32_e32 v2, s6, v1
	v_add_u32_e32 v0, s7, v0
	v_cmp_gt_u32_e32 vcc, s0, v2
	v_cmp_gt_u32_e64 s[0:1], s1, v0
	s_and_b64 s[0:1], vcc, s[0:1]
	s_and_saveexec_b64 s[2:3], s[0:1]
	s_cbranch_execz .LBB245_12
; %bb.1:
	s_load_dword s6, s[4:5], 0x20
	s_waitcnt lgkmcnt(0)
	s_cmpk_lt_i32 s6, 0x7a
	s_cbranch_scc1 .LBB245_4
; %bb.2:
	s_cmpk_gt_i32 s6, 0x7a
	s_cbranch_scc0 .LBB245_5
; %bb.3:
	s_cmpk_eq_i32 s6, 0x7b
	s_cselect_b64 s[0:1], -1, 0
	s_cbranch_execz .LBB245_6
	s_branch .LBB245_7
.LBB245_4:
	s_mov_b64 s[0:1], 0
	s_cbranch_execnz .LBB245_8
	s_branch .LBB245_10
.LBB245_5:
	s_mov_b64 s[0:1], 0
.LBB245_6:
	v_cmp_gt_u32_e32 vcc, v0, v2
	s_andn2_b64 s[0:1], s[0:1], exec
	s_and_b64 s[2:3], vcc, exec
	s_or_b64 s[0:1], s[0:1], s[2:3]
.LBB245_7:
	s_branch .LBB245_10
.LBB245_8:
	s_cmpk_eq_i32 s6, 0x79
	s_cbranch_scc0 .LBB245_10
; %bb.9:
	v_cmp_gt_u32_e32 vcc, v2, v0
	s_andn2_b64 s[0:1], s[0:1], exec
	s_and_b64 s[2:3], vcc, exec
	s_or_b64 s[0:1], s[0:1], s[2:3]
.LBB245_10:
	s_and_b64 exec, exec, s[0:1]
	s_cbranch_execz .LBB245_12
; %bb.11:
	s_load_dwordx4 s[0:3], s[4:5], 0x8
	s_load_dwordx2 s[6:7], s[4:5], 0x18
	s_waitcnt lgkmcnt(0)
	s_ashr_i32 s5, s2, 31
	s_mov_b32 s4, s2
	s_mul_i32 s2, s8, s7
	s_mul_hi_u32 s7, s8, s6
	s_add_i32 s7, s7, s2
	s_mul_i32 s6, s8, s6
	s_lshl_b64 s[6:7], s[6:7], 4
	s_add_u32 s2, s0, s6
	s_addc_u32 s6, s1, s7
	s_lshl_b64 s[0:1], s[4:5], 4
	s_add_u32 s2, s2, s0
	s_addc_u32 s4, s6, s1
	v_mad_u64_u32 v[0:1], s[0:1], v0, s3, v[2:3]
	v_mov_b32_e32 v1, 0
	v_lshlrev_b64 v[2:3], 4, v[0:1]
	v_mov_b32_e32 v0, s4
	v_add_co_u32_e32 v4, vcc, s2, v2
	v_addc_co_u32_e32 v5, vcc, v0, v3, vcc
	v_mov_b32_e32 v0, v1
	v_mov_b32_e32 v2, v1
	;; [unrolled: 1-line block ×3, first 2 shown]
	global_store_dwordx4 v[4:5], v[0:3], off
.LBB245_12:
	s_endpgm
	.section	.rodata,"a",@progbits
	.p2align	6, 0x0
	.amdhsa_kernel _ZN9rocsolver6v33100L8set_zeroI19rocblas_complex_numIdEPS3_EEviiT0_iil13rocblas_fill_
		.amdhsa_group_segment_fixed_size 0
		.amdhsa_private_segment_fixed_size 0
		.amdhsa_kernarg_size 296
		.amdhsa_user_sgpr_count 6
		.amdhsa_user_sgpr_private_segment_buffer 1
		.amdhsa_user_sgpr_dispatch_ptr 0
		.amdhsa_user_sgpr_queue_ptr 0
		.amdhsa_user_sgpr_kernarg_segment_ptr 1
		.amdhsa_user_sgpr_dispatch_id 0
		.amdhsa_user_sgpr_flat_scratch_init 0
		.amdhsa_user_sgpr_kernarg_preload_length 0
		.amdhsa_user_sgpr_kernarg_preload_offset 0
		.amdhsa_user_sgpr_private_segment_size 0
		.amdhsa_uses_dynamic_stack 0
		.amdhsa_system_sgpr_private_segment_wavefront_offset 0
		.amdhsa_system_sgpr_workgroup_id_x 1
		.amdhsa_system_sgpr_workgroup_id_y 1
		.amdhsa_system_sgpr_workgroup_id_z 1
		.amdhsa_system_sgpr_workgroup_info 0
		.amdhsa_system_vgpr_workitem_id 1
		.amdhsa_next_free_vgpr 6
		.amdhsa_next_free_sgpr 9
		.amdhsa_accum_offset 8
		.amdhsa_reserve_vcc 1
		.amdhsa_reserve_flat_scratch 0
		.amdhsa_float_round_mode_32 0
		.amdhsa_float_round_mode_16_64 0
		.amdhsa_float_denorm_mode_32 3
		.amdhsa_float_denorm_mode_16_64 3
		.amdhsa_dx10_clamp 1
		.amdhsa_ieee_mode 1
		.amdhsa_fp16_overflow 0
		.amdhsa_tg_split 0
		.amdhsa_exception_fp_ieee_invalid_op 0
		.amdhsa_exception_fp_denorm_src 0
		.amdhsa_exception_fp_ieee_div_zero 0
		.amdhsa_exception_fp_ieee_overflow 0
		.amdhsa_exception_fp_ieee_underflow 0
		.amdhsa_exception_fp_ieee_inexact 0
		.amdhsa_exception_int_div_zero 0
	.end_amdhsa_kernel
	.section	.text._ZN9rocsolver6v33100L8set_zeroI19rocblas_complex_numIdEPS3_EEviiT0_iil13rocblas_fill_,"axG",@progbits,_ZN9rocsolver6v33100L8set_zeroI19rocblas_complex_numIdEPS3_EEviiT0_iil13rocblas_fill_,comdat
.Lfunc_end245:
	.size	_ZN9rocsolver6v33100L8set_zeroI19rocblas_complex_numIdEPS3_EEviiT0_iil13rocblas_fill_, .Lfunc_end245-_ZN9rocsolver6v33100L8set_zeroI19rocblas_complex_numIdEPS3_EEviiT0_iil13rocblas_fill_
                                        ; -- End function
	.section	.AMDGPU.csdata,"",@progbits
; Kernel info:
; codeLenInByte = 324
; NumSgprs: 13
; NumVgprs: 6
; NumAgprs: 0
; TotalNumVgprs: 6
; ScratchSize: 0
; MemoryBound: 0
; FloatMode: 240
; IeeeMode: 1
; LDSByteSize: 0 bytes/workgroup (compile time only)
; SGPRBlocks: 1
; VGPRBlocks: 0
; NumSGPRsForWavesPerEU: 13
; NumVGPRsForWavesPerEU: 6
; AccumOffset: 8
; Occupancy: 8
; WaveLimiterHint : 0
; COMPUTE_PGM_RSRC2:SCRATCH_EN: 0
; COMPUTE_PGM_RSRC2:USER_SGPR: 6
; COMPUTE_PGM_RSRC2:TRAP_HANDLER: 0
; COMPUTE_PGM_RSRC2:TGID_X_EN: 1
; COMPUTE_PGM_RSRC2:TGID_Y_EN: 1
; COMPUTE_PGM_RSRC2:TGID_Z_EN: 1
; COMPUTE_PGM_RSRC2:TIDIG_COMP_CNT: 1
; COMPUTE_PGM_RSRC3_GFX90A:ACCUM_OFFSET: 1
; COMPUTE_PGM_RSRC3_GFX90A:TG_SPLIT: 0
	.section	.text._ZN9rocsolver6v33100L11set_taubetaI19rocblas_complex_numIdEidPS3_EEvPT_lS6_T2_llPT1_ll,"axG",@progbits,_ZN9rocsolver6v33100L11set_taubetaI19rocblas_complex_numIdEidPS3_EEvPT_lS6_T2_llPT1_ll,comdat
	.globl	_ZN9rocsolver6v33100L11set_taubetaI19rocblas_complex_numIdEidPS3_EEvPT_lS6_T2_llPT1_ll ; -- Begin function _ZN9rocsolver6v33100L11set_taubetaI19rocblas_complex_numIdEidPS3_EEvPT_lS6_T2_llPT1_ll
	.p2align	8
	.type	_ZN9rocsolver6v33100L11set_taubetaI19rocblas_complex_numIdEidPS3_EEvPT_lS6_T2_llPT1_ll,@function
_ZN9rocsolver6v33100L11set_taubetaI19rocblas_complex_numIdEidPS3_EEvPT_lS6_T2_llPT1_ll: ; @_ZN9rocsolver6v33100L11set_taubetaI19rocblas_complex_numIdEidPS3_EEvPT_lS6_T2_llPT1_ll
; %bb.0:
	s_load_dwordx16 s[8:23], s[4:5], 0x0
	s_ashr_i32 s7, s6, 31
	s_mov_b64 s[24:25], 0
	s_mov_b64 s[0:1], 0
	s_waitcnt lgkmcnt(0)
	s_cmp_eq_u64 s[20:21], 0
	s_cbranch_scc1 .LBB246_2
; %bb.1:
	s_load_dwordx2 s[0:1], s[4:5], 0x40
	s_waitcnt lgkmcnt(0)
	s_mul_i32 s1, s6, s1
	s_mul_hi_u32 s2, s6, s0
	s_mul_i32 s3, s7, s0
	s_add_i32 s1, s2, s1
	s_mul_i32 s0, s6, s0
	s_add_i32 s1, s1, s3
	s_lshl_b64 s[0:1], s[0:1], 3
	s_add_u32 s2, s20, s0
	s_addc_u32 s3, s21, s1
	s_lshl_b64 s[0:1], s[22:23], 3
	s_add_u32 s0, s2, s0
	s_addc_u32 s1, s3, s1
.LBB246_2:
	s_mul_i32 s2, s6, s19
	s_mul_hi_u32 s3, s6, s18
	s_add_i32 s2, s3, s2
	s_mul_i32 s3, s7, s18
	s_add_i32 s3, s2, s3
	s_mul_i32 s2, s6, s18
	s_lshl_b64 s[2:3], s[2:3], 4
	s_add_u32 s4, s14, s2
	s_addc_u32 s5, s15, s3
	s_lshl_b64 s[2:3], s[16:17], 4
	s_add_u32 s2, s4, s2
	s_addc_u32 s3, s5, s3
	s_mul_i32 s4, s6, s11
	s_mul_hi_u32 s5, s6, s10
	s_add_i32 s4, s5, s4
	s_mul_i32 s5, s7, s10
	s_add_i32 s5, s4, s5
	s_mul_i32 s4, s6, s10
	s_lshl_b64 s[4:5], s[4:5], 4
	s_add_u32 s8, s8, s4
	s_addc_u32 s9, s9, s5
	s_lshl_b64 s[4:5], s[6:7], 4
	s_add_u32 s12, s12, s4
	s_addc_u32 s13, s13, s5
	s_load_dwordx2 s[10:11], s[2:3], 0x8
	s_load_dwordx2 s[14:15], s[12:13], 0x0
	s_cmp_eq_u64 s[0:1], 0
	s_cselect_b64 s[4:5], -1, 0
	s_cmp_lg_u64 s[0:1], 0
	s_waitcnt lgkmcnt(0)
	v_mul_f64 v[4:5], s[10:11], s[10:11]
	v_max_f64 v[0:1], s[14:15], s[14:15]
	v_max_f64 v[0:1], v[0:1], v[4:5]
	v_cmp_nlt_f64_e32 vcc, 0, v[0:1]
	s_cselect_b64 s[6:7], -1, 0
	s_cbranch_vccz .LBB246_6
; %bb.3:
	v_mov_b32_e32 v0, 0
	v_mov_b32_e32 v1, 0x3ff00000
	;; [unrolled: 1-line block ×4, first 2 shown]
	global_store_dwordx4 v0, v[0:3], s[12:13]
	s_mov_b64 s[16:17], 0
	v_mov_b32_e32 v1, v0
	s_and_b64 vcc, exec, s[6:7]
	global_store_dwordx4 v0, v[0:3], s[8:9]
	s_cbranch_vccz .LBB246_7
; %bb.4:
	global_load_dwordx2 v[0:1], v0, s[2:3]
	s_mov_b64 s[24:25], -1
	s_and_b64 vcc, exec, s[16:17]
	s_cbranch_vccnz .LBB246_8
.LBB246_5:
	s_mov_b64 s[4:5], 0
	s_andn2_b64 vcc, exec, s[24:25]
	s_cbranch_vccz .LBB246_9
	s_branch .LBB246_10
.LBB246_6:
	s_mov_b64 s[16:17], -1
.LBB246_7:
                                        ; implicit-def: $vgpr0_vgpr1
	s_and_b64 vcc, exec, s[16:17]
	s_cbranch_vccz .LBB246_5
.LBB246_8:
	s_load_dwordx2 s[16:17], s[2:3], 0x0
	s_mov_b32 s18, 0
	s_brev_b32 s19, 8
	s_mov_b64 s[24:25], s[6:7]
	s_waitcnt vmcnt(0) lgkmcnt(0)
	v_fma_f64 v[0:1], s[16:17], s[16:17], v[4:5]
	v_add_f64 v[0:1], s[14:15], v[0:1]
	v_cmp_gt_f64_e32 vcc, s[18:19], v[0:1]
	v_cndmask_b32_e64 v2, 0, 1, vcc
	v_lshlrev_b32_e32 v2, 8, v2
	v_ldexp_f64 v[0:1], v[0:1], v2
	v_rsq_f64_e32 v[2:3], v[0:1]
	s_and_b64 s[14:15], vcc, exec
	s_cselect_b32 s14, 0xffffff80, 0
	v_mul_f64 v[6:7], v[0:1], v[2:3]
	v_mul_f64 v[2:3], v[2:3], 0.5
	v_fma_f64 v[8:9], -v[2:3], v[6:7], 0.5
	v_fmac_f64_e32 v[6:7], v[6:7], v[8:9]
	v_fmac_f64_e32 v[2:3], v[2:3], v[8:9]
	v_fma_f64 v[8:9], -v[6:7], v[6:7], v[0:1]
	v_fmac_f64_e32 v[6:7], v[8:9], v[2:3]
	v_fma_f64 v[8:9], -v[6:7], v[6:7], v[0:1]
	v_fmac_f64_e32 v[6:7], v[8:9], v[2:3]
	v_ldexp_f64 v[2:3], v[6:7], s14
	v_mov_b32_e32 v6, 0x260
	v_cmp_class_f64_e32 vcc, v[0:1], v6
	v_cndmask_b32_e32 v1, v3, v1, vcc
	v_cndmask_b32_e32 v0, v2, v0, vcc
	v_xor_b32_e32 v2, 0x80000000, v1
	v_cmp_ge_f64_e64 vcc, s[16:17], 0
	v_cndmask_b32_e32 v1, v1, v2, vcc
	v_add_f64 v[2:3], s[16:17], -v[0:1]
	v_fmac_f64_e32 v[4:5], v[2:3], v[2:3]
	v_div_scale_f64 v[6:7], s[14:15], v[4:5], v[4:5], v[2:3]
	v_rcp_f64_e32 v[8:9], v[6:7]
	v_fma_f64 v[10:11], -v[6:7], v[8:9], 1.0
	v_fmac_f64_e32 v[8:9], v[8:9], v[10:11]
	v_fma_f64 v[10:11], -v[6:7], v[8:9], 1.0
	v_fmac_f64_e32 v[8:9], v[8:9], v[10:11]
	v_div_scale_f64 v[10:11], vcc, v[2:3], v[4:5], v[2:3]
	v_mul_f64 v[12:13], v[10:11], v[8:9]
	v_fma_f64 v[6:7], -v[6:7], v[12:13], v[10:11]
	v_div_scale_f64 v[10:11], s[14:15], v[4:5], v[4:5], -s[10:11]
	v_rcp_f64_e32 v[14:15], v[10:11]
	v_div_fmas_f64 v[6:7], v[6:7], v[8:9], v[12:13]
	v_div_fixup_f64 v[2:3], v[6:7], v[4:5], v[2:3]
	v_fma_f64 v[6:7], -v[10:11], v[14:15], 1.0
	v_fmac_f64_e32 v[14:15], v[14:15], v[6:7]
	v_fma_f64 v[6:7], -v[10:11], v[14:15], 1.0
	v_fmac_f64_e32 v[14:15], v[14:15], v[6:7]
	v_div_scale_f64 v[6:7], vcc, -s[10:11], v[4:5], -s[10:11]
	v_mul_f64 v[8:9], v[6:7], v[14:15]
	v_fma_f64 v[6:7], -v[10:11], v[8:9], v[6:7]
	s_nop 1
	v_div_fmas_f64 v[6:7], v[6:7], v[14:15], v[8:9]
	v_add_f64 v[8:9], v[0:1], -s[16:17]
	v_div_scale_f64 v[10:11], s[14:15], v[0:1], v[0:1], v[8:9]
	v_rcp_f64_e32 v[12:13], v[10:11]
	v_div_fixup_f64 v[4:5], v[6:7], v[4:5], -s[10:11]
	v_mov_b32_e32 v14, 0
	global_store_dwordx4 v14, v[2:5], s[12:13]
	v_div_scale_f64 v[6:7], s[12:13], v[0:1], v[0:1], -s[10:11]
	v_fma_f64 v[2:3], -v[10:11], v[12:13], 1.0
	v_fmac_f64_e32 v[12:13], v[12:13], v[2:3]
	v_fma_f64 v[2:3], -v[10:11], v[12:13], 1.0
	v_fmac_f64_e32 v[12:13], v[12:13], v[2:3]
	v_div_scale_f64 v[2:3], vcc, v[8:9], v[0:1], v[8:9]
	v_mul_f64 v[4:5], v[2:3], v[12:13]
	v_fma_f64 v[2:3], -v[10:11], v[4:5], v[2:3]
	v_rcp_f64_e32 v[10:11], v[6:7]
	s_nop 0
	v_div_fmas_f64 v[2:3], v[2:3], v[12:13], v[4:5]
	v_div_fixup_f64 v[2:3], v[2:3], v[0:1], v[8:9]
	v_fma_f64 v[4:5], -v[6:7], v[10:11], 1.0
	v_fmac_f64_e32 v[10:11], v[10:11], v[4:5]
	v_fma_f64 v[4:5], -v[6:7], v[10:11], 1.0
	v_fmac_f64_e32 v[10:11], v[10:11], v[4:5]
	v_div_scale_f64 v[4:5], vcc, -s[10:11], v[0:1], -s[10:11]
	v_mul_f64 v[8:9], v[4:5], v[10:11]
	v_fma_f64 v[4:5], -v[6:7], v[8:9], v[4:5]
	s_nop 1
	v_div_fmas_f64 v[4:5], v[4:5], v[10:11], v[8:9]
	v_div_fixup_f64 v[4:5], v[4:5], v[0:1], -s[10:11]
	global_store_dwordx4 v14, v[2:5], s[8:9]
	s_andn2_b64 vcc, exec, s[24:25]
	s_cbranch_vccnz .LBB246_10
.LBB246_9:
	v_pk_mov_b32 v[2:3], s[0:1], s[0:1] op_sel:[0,1]
	s_waitcnt vmcnt(0)
	flat_store_dwordx2 v[2:3], v[0:1]
	v_mov_b32_e32 v0, 0
	s_mov_b64 s[4:5], -1
	v_mov_b32_e32 v1, 0x3ff00000
.LBB246_10:
	s_andn2_b64 vcc, exec, s[4:5]
	s_cbranch_vccz .LBB246_12
; %bb.11:
	s_endpgm
.LBB246_12:
	v_mov_b32_e32 v2, 0
	v_mov_b32_e32 v3, v2
	s_waitcnt vmcnt(0) lgkmcnt(0)
	global_store_dwordx4 v2, v[0:3], s[2:3]
	s_endpgm
	.section	.rodata,"a",@progbits
	.p2align	6, 0x0
	.amdhsa_kernel _ZN9rocsolver6v33100L11set_taubetaI19rocblas_complex_numIdEidPS3_EEvPT_lS6_T2_llPT1_ll
		.amdhsa_group_segment_fixed_size 0
		.amdhsa_private_segment_fixed_size 0
		.amdhsa_kernarg_size 72
		.amdhsa_user_sgpr_count 6
		.amdhsa_user_sgpr_private_segment_buffer 1
		.amdhsa_user_sgpr_dispatch_ptr 0
		.amdhsa_user_sgpr_queue_ptr 0
		.amdhsa_user_sgpr_kernarg_segment_ptr 1
		.amdhsa_user_sgpr_dispatch_id 0
		.amdhsa_user_sgpr_flat_scratch_init 0
		.amdhsa_user_sgpr_kernarg_preload_length 0
		.amdhsa_user_sgpr_kernarg_preload_offset 0
		.amdhsa_user_sgpr_private_segment_size 0
		.amdhsa_uses_dynamic_stack 0
		.amdhsa_system_sgpr_private_segment_wavefront_offset 0
		.amdhsa_system_sgpr_workgroup_id_x 1
		.amdhsa_system_sgpr_workgroup_id_y 0
		.amdhsa_system_sgpr_workgroup_id_z 0
		.amdhsa_system_sgpr_workgroup_info 0
		.amdhsa_system_vgpr_workitem_id 0
		.amdhsa_next_free_vgpr 16
		.amdhsa_next_free_sgpr 26
		.amdhsa_accum_offset 16
		.amdhsa_reserve_vcc 1
		.amdhsa_reserve_flat_scratch 0
		.amdhsa_float_round_mode_32 0
		.amdhsa_float_round_mode_16_64 0
		.amdhsa_float_denorm_mode_32 3
		.amdhsa_float_denorm_mode_16_64 3
		.amdhsa_dx10_clamp 1
		.amdhsa_ieee_mode 1
		.amdhsa_fp16_overflow 0
		.amdhsa_tg_split 0
		.amdhsa_exception_fp_ieee_invalid_op 0
		.amdhsa_exception_fp_denorm_src 0
		.amdhsa_exception_fp_ieee_div_zero 0
		.amdhsa_exception_fp_ieee_overflow 0
		.amdhsa_exception_fp_ieee_underflow 0
		.amdhsa_exception_fp_ieee_inexact 0
		.amdhsa_exception_int_div_zero 0
	.end_amdhsa_kernel
	.section	.text._ZN9rocsolver6v33100L11set_taubetaI19rocblas_complex_numIdEidPS3_EEvPT_lS6_T2_llPT1_ll,"axG",@progbits,_ZN9rocsolver6v33100L11set_taubetaI19rocblas_complex_numIdEidPS3_EEvPT_lS6_T2_llPT1_ll,comdat
.Lfunc_end246:
	.size	_ZN9rocsolver6v33100L11set_taubetaI19rocblas_complex_numIdEidPS3_EEvPT_lS6_T2_llPT1_ll, .Lfunc_end246-_ZN9rocsolver6v33100L11set_taubetaI19rocblas_complex_numIdEidPS3_EEvPT_lS6_T2_llPT1_ll
                                        ; -- End function
	.section	.AMDGPU.csdata,"",@progbits
; Kernel info:
; codeLenInByte = 976
; NumSgprs: 30
; NumVgprs: 16
; NumAgprs: 0
; TotalNumVgprs: 16
; ScratchSize: 0
; MemoryBound: 0
; FloatMode: 240
; IeeeMode: 1
; LDSByteSize: 0 bytes/workgroup (compile time only)
; SGPRBlocks: 3
; VGPRBlocks: 1
; NumSGPRsForWavesPerEU: 30
; NumVGPRsForWavesPerEU: 16
; AccumOffset: 16
; Occupancy: 8
; WaveLimiterHint : 0
; COMPUTE_PGM_RSRC2:SCRATCH_EN: 0
; COMPUTE_PGM_RSRC2:USER_SGPR: 6
; COMPUTE_PGM_RSRC2:TRAP_HANDLER: 0
; COMPUTE_PGM_RSRC2:TGID_X_EN: 1
; COMPUTE_PGM_RSRC2:TGID_Y_EN: 0
; COMPUTE_PGM_RSRC2:TGID_Z_EN: 0
; COMPUTE_PGM_RSRC2:TIDIG_COMP_CNT: 0
; COMPUTE_PGM_RSRC3_GFX90A:ACCUM_OFFSET: 3
; COMPUTE_PGM_RSRC3_GFX90A:TG_SPLIT: 0
	.section	.text._ZN9rocsolver6v33100L8set_diagI19rocblas_complex_numIdEidPS3_TnNSt9enable_ifIXaa18rocblas_is_complexIT_Ent18rocblas_is_complexIT1_EEiE4typeELi0EEEvPS7_llT2_lT0_lSC_b,"axG",@progbits,_ZN9rocsolver6v33100L8set_diagI19rocblas_complex_numIdEidPS3_TnNSt9enable_ifIXaa18rocblas_is_complexIT_Ent18rocblas_is_complexIT1_EEiE4typeELi0EEEvPS7_llT2_lT0_lSC_b,comdat
	.globl	_ZN9rocsolver6v33100L8set_diagI19rocblas_complex_numIdEidPS3_TnNSt9enable_ifIXaa18rocblas_is_complexIT_Ent18rocblas_is_complexIT1_EEiE4typeELi0EEEvPS7_llT2_lT0_lSC_b ; -- Begin function _ZN9rocsolver6v33100L8set_diagI19rocblas_complex_numIdEidPS3_TnNSt9enable_ifIXaa18rocblas_is_complexIT_Ent18rocblas_is_complexIT1_EEiE4typeELi0EEEvPS7_llT2_lT0_lSC_b
	.p2align	8
	.type	_ZN9rocsolver6v33100L8set_diagI19rocblas_complex_numIdEidPS3_TnNSt9enable_ifIXaa18rocblas_is_complexIT_Ent18rocblas_is_complexIT1_EEiE4typeELi0EEEvPS7_llT2_lT0_lSC_b,@function
_ZN9rocsolver6v33100L8set_diagI19rocblas_complex_numIdEidPS3_TnNSt9enable_ifIXaa18rocblas_is_complexIT_Ent18rocblas_is_complexIT1_EEiE4typeELi0EEEvPS7_llT2_lT0_lSC_b: ; @_ZN9rocsolver6v33100L8set_diagI19rocblas_complex_numIdEidPS3_TnNSt9enable_ifIXaa18rocblas_is_complexIT_Ent18rocblas_is_complexIT1_EEiE4typeELi0EEEvPS7_llT2_lT0_lSC_b
; %bb.0:
	s_load_dword s2, s[4:5], 0x4c
	s_load_dwordx2 s[0:1], s[4:5], 0x38
	v_bfe_u32 v0, v0, 10, 10
	s_waitcnt lgkmcnt(0)
	s_lshr_b32 s2, s2, 16
	s_mul_i32 s7, s7, s2
	v_add_u32_e32 v2, s7, v0
	v_cmp_gt_i32_e32 vcc, s0, v2
	s_and_saveexec_b64 s[2:3], vcc
	s_cbranch_execz .LBB247_5
; %bb.1:
	s_load_dwordx2 s[2:3], s[4:5], 0x20
	s_load_dword s7, s[4:5], 0x28
	s_load_dwordx2 s[16:17], s[4:5], 0x30
	s_load_dwordx8 s[8:15], s[4:5], 0x0
	s_bitcmp1_b32 s1, 0
	s_cselect_b64 s[0:1], -1, 0
	s_ashr_i32 s18, s6, 31
	s_waitcnt lgkmcnt(0)
	s_mul_i32 s4, s6, s17
	s_mul_hi_u32 s5, s6, s16
	s_add_i32 s4, s5, s4
	s_mul_i32 s5, s18, s16
	s_add_i32 s5, s4, s5
	s_mul_i32 s4, s6, s16
	s_lshl_b64 s[4:5], s[4:5], 4
	s_add_u32 s4, s14, s4
	s_addc_u32 s5, s15, s5
	s_lshl_b64 s[2:3], s[2:3], 4
	s_add_u32 s4, s4, s2
	s_addc_u32 s5, s5, s3
	v_mad_u64_u32 v[0:1], s[2:3], v2, s7, v[2:3]
	v_ashrrev_i32_e32 v1, 31, v0
	v_lshlrev_b64 v[0:1], 4, v[0:1]
	v_mov_b32_e32 v3, s5
	v_add_co_u32_e32 v4, vcc, s4, v0
	v_addc_co_u32_e32 v5, vcc, v3, v1, vcc
	global_load_dwordx2 v[0:1], v[4:5], off
	s_mul_i32 s3, s6, s13
	s_mul_hi_u32 s4, s6, s12
	s_mul_i32 s18, s18, s12
	s_add_i32 s3, s4, s3
	s_mul_i32 s2, s6, s12
	s_add_i32 s3, s3, s18
	s_lshl_b64 s[2:3], s[2:3], 3
	s_add_u32 s4, s8, s2
	s_addc_u32 s5, s9, s3
	s_lshl_b64 s[2:3], s[10:11], 3
	v_ashrrev_i32_e32 v3, 31, v2
	s_add_u32 s2, s4, s2
	v_lshlrev_b64 v[2:3], 3, v[2:3]
	s_addc_u32 s3, s5, s3
	s_and_b64 vcc, exec, s[0:1]
	v_mov_b32_e32 v6, s3
	v_add_co_u32_e64 v2, s[0:1], s2, v2
	v_addc_co_u32_e64 v3, s[0:1], v6, v3, s[0:1]
	s_waitcnt vmcnt(0)
	global_store_dwordx2 v[2:3], v[0:1], off
	s_cbranch_vccnz .LBB247_3
; %bb.2:
	global_load_dwordx2 v[2:3], v[4:5], off offset:8
	s_branch .LBB247_4
.LBB247_3:
	v_mov_b32_e32 v0, 0
	v_pk_mov_b32 v[2:3], 0, 0
	v_mov_b32_e32 v1, 0x3ff00000
.LBB247_4:
	s_waitcnt vmcnt(0)
	global_store_dwordx4 v[4:5], v[0:3], off
.LBB247_5:
	s_endpgm
	.section	.rodata,"a",@progbits
	.p2align	6, 0x0
	.amdhsa_kernel _ZN9rocsolver6v33100L8set_diagI19rocblas_complex_numIdEidPS3_TnNSt9enable_ifIXaa18rocblas_is_complexIT_Ent18rocblas_is_complexIT1_EEiE4typeELi0EEEvPS7_llT2_lT0_lSC_b
		.amdhsa_group_segment_fixed_size 0
		.amdhsa_private_segment_fixed_size 0
		.amdhsa_kernarg_size 320
		.amdhsa_user_sgpr_count 6
		.amdhsa_user_sgpr_private_segment_buffer 1
		.amdhsa_user_sgpr_dispatch_ptr 0
		.amdhsa_user_sgpr_queue_ptr 0
		.amdhsa_user_sgpr_kernarg_segment_ptr 1
		.amdhsa_user_sgpr_dispatch_id 0
		.amdhsa_user_sgpr_flat_scratch_init 0
		.amdhsa_user_sgpr_kernarg_preload_length 0
		.amdhsa_user_sgpr_kernarg_preload_offset 0
		.amdhsa_user_sgpr_private_segment_size 0
		.amdhsa_uses_dynamic_stack 0
		.amdhsa_system_sgpr_private_segment_wavefront_offset 0
		.amdhsa_system_sgpr_workgroup_id_x 1
		.amdhsa_system_sgpr_workgroup_id_y 1
		.amdhsa_system_sgpr_workgroup_id_z 0
		.amdhsa_system_sgpr_workgroup_info 0
		.amdhsa_system_vgpr_workitem_id 1
		.amdhsa_next_free_vgpr 7
		.amdhsa_next_free_sgpr 19
		.amdhsa_accum_offset 8
		.amdhsa_reserve_vcc 1
		.amdhsa_reserve_flat_scratch 0
		.amdhsa_float_round_mode_32 0
		.amdhsa_float_round_mode_16_64 0
		.amdhsa_float_denorm_mode_32 3
		.amdhsa_float_denorm_mode_16_64 3
		.amdhsa_dx10_clamp 1
		.amdhsa_ieee_mode 1
		.amdhsa_fp16_overflow 0
		.amdhsa_tg_split 0
		.amdhsa_exception_fp_ieee_invalid_op 0
		.amdhsa_exception_fp_denorm_src 0
		.amdhsa_exception_fp_ieee_div_zero 0
		.amdhsa_exception_fp_ieee_overflow 0
		.amdhsa_exception_fp_ieee_underflow 0
		.amdhsa_exception_fp_ieee_inexact 0
		.amdhsa_exception_int_div_zero 0
	.end_amdhsa_kernel
	.section	.text._ZN9rocsolver6v33100L8set_diagI19rocblas_complex_numIdEidPS3_TnNSt9enable_ifIXaa18rocblas_is_complexIT_Ent18rocblas_is_complexIT1_EEiE4typeELi0EEEvPS7_llT2_lT0_lSC_b,"axG",@progbits,_ZN9rocsolver6v33100L8set_diagI19rocblas_complex_numIdEidPS3_TnNSt9enable_ifIXaa18rocblas_is_complexIT_Ent18rocblas_is_complexIT1_EEiE4typeELi0EEEvPS7_llT2_lT0_lSC_b,comdat
.Lfunc_end247:
	.size	_ZN9rocsolver6v33100L8set_diagI19rocblas_complex_numIdEidPS3_TnNSt9enable_ifIXaa18rocblas_is_complexIT_Ent18rocblas_is_complexIT1_EEiE4typeELi0EEEvPS7_llT2_lT0_lSC_b, .Lfunc_end247-_ZN9rocsolver6v33100L8set_diagI19rocblas_complex_numIdEidPS3_TnNSt9enable_ifIXaa18rocblas_is_complexIT_Ent18rocblas_is_complexIT1_EEiE4typeELi0EEEvPS7_llT2_lT0_lSC_b
                                        ; -- End function
	.section	.AMDGPU.csdata,"",@progbits
; Kernel info:
; codeLenInByte = 336
; NumSgprs: 23
; NumVgprs: 7
; NumAgprs: 0
; TotalNumVgprs: 7
; ScratchSize: 0
; MemoryBound: 0
; FloatMode: 240
; IeeeMode: 1
; LDSByteSize: 0 bytes/workgroup (compile time only)
; SGPRBlocks: 2
; VGPRBlocks: 0
; NumSGPRsForWavesPerEU: 23
; NumVGPRsForWavesPerEU: 7
; AccumOffset: 8
; Occupancy: 8
; WaveLimiterHint : 0
; COMPUTE_PGM_RSRC2:SCRATCH_EN: 0
; COMPUTE_PGM_RSRC2:USER_SGPR: 6
; COMPUTE_PGM_RSRC2:TRAP_HANDLER: 0
; COMPUTE_PGM_RSRC2:TGID_X_EN: 1
; COMPUTE_PGM_RSRC2:TGID_Y_EN: 1
; COMPUTE_PGM_RSRC2:TGID_Z_EN: 0
; COMPUTE_PGM_RSRC2:TIDIG_COMP_CNT: 1
; COMPUTE_PGM_RSRC3_GFX90A:ACCUM_OFFSET: 1
; COMPUTE_PGM_RSRC3_GFX90A:TG_SPLIT: 0
	.section	.text._ZN9rocsolver6v33100L12restore_diagI19rocblas_complex_numIdEidPS3_EEvPT1_llT2_lT0_lS8_,"axG",@progbits,_ZN9rocsolver6v33100L12restore_diagI19rocblas_complex_numIdEidPS3_EEvPT1_llT2_lT0_lS8_,comdat
	.globl	_ZN9rocsolver6v33100L12restore_diagI19rocblas_complex_numIdEidPS3_EEvPT1_llT2_lT0_lS8_ ; -- Begin function _ZN9rocsolver6v33100L12restore_diagI19rocblas_complex_numIdEidPS3_EEvPT1_llT2_lT0_lS8_
	.p2align	8
	.type	_ZN9rocsolver6v33100L12restore_diagI19rocblas_complex_numIdEidPS3_EEvPT1_llT2_lT0_lS8_,@function
_ZN9rocsolver6v33100L12restore_diagI19rocblas_complex_numIdEidPS3_EEvPT1_llT2_lT0_lS8_: ; @_ZN9rocsolver6v33100L12restore_diagI19rocblas_complex_numIdEidPS3_EEvPT1_llT2_lT0_lS8_
; %bb.0:
	s_load_dword s0, s[4:5], 0x4c
	s_load_dword s1, s[4:5], 0x38
	v_bfe_u32 v0, v0, 10, 10
	s_waitcnt lgkmcnt(0)
	s_lshr_b32 s0, s0, 16
	s_mul_i32 s7, s7, s0
	v_add_u32_e32 v0, s7, v0
	v_cmp_gt_i32_e32 vcc, s1, v0
	s_and_saveexec_b64 s[0:1], vcc
	s_cbranch_execz .LBB248_2
; %bb.1:
	s_load_dwordx2 s[0:1], s[4:5], 0x30
	s_load_dwordx2 s[2:3], s[4:5], 0x20
	s_load_dword s7, s[4:5], 0x28
	s_load_dwordx8 s[8:15], s[4:5], 0x0
	s_ashr_i32 s4, s6, 31
	s_waitcnt lgkmcnt(0)
	s_mul_i32 s1, s6, s1
	s_mul_hi_u32 s5, s6, s0
	s_add_i32 s1, s5, s1
	s_mul_i32 s5, s4, s0
	s_add_i32 s1, s1, s5
	s_mul_i32 s0, s6, s0
	s_lshl_b64 s[0:1], s[0:1], 4
	s_add_u32 s5, s14, s0
	s_addc_u32 s14, s15, s1
	s_lshl_b64 s[0:1], s[2:3], 4
	s_add_u32 s2, s5, s0
	s_addc_u32 s3, s14, s1
	s_mul_i32 s0, s6, s13
	s_mul_hi_u32 s1, s6, s12
	s_add_i32 s0, s1, s0
	s_mul_i32 s4, s4, s12
	s_add_i32 s1, s0, s4
	s_mul_i32 s0, s6, s12
	s_lshl_b64 s[0:1], s[0:1], 3
	s_add_u32 s4, s8, s0
	s_addc_u32 s5, s9, s1
	s_lshl_b64 s[0:1], s[10:11], 3
	s_add_u32 s4, s4, s0
	s_addc_u32 s5, s5, s1
	v_mad_u64_u32 v[2:3], s[0:1], v0, s7, v[0:1]
	v_ashrrev_i32_e32 v1, 31, v0
	v_lshlrev_b64 v[0:1], 3, v[0:1]
	v_mov_b32_e32 v3, s5
	v_add_co_u32_e32 v0, vcc, s4, v0
	v_addc_co_u32_e32 v1, vcc, v3, v1, vcc
	global_load_dwordx2 v[0:1], v[0:1], off
	v_ashrrev_i32_e32 v3, 31, v2
	v_lshlrev_b64 v[2:3], 4, v[2:3]
	v_mov_b32_e32 v5, s3
	v_add_co_u32_e32 v4, vcc, s2, v2
	v_mov_b32_e32 v2, 0
	v_addc_co_u32_e32 v5, vcc, v5, v3, vcc
	v_mov_b32_e32 v3, v2
	s_waitcnt vmcnt(0)
	global_store_dwordx4 v[4:5], v[0:3], off
.LBB248_2:
	s_endpgm
	.section	.rodata,"a",@progbits
	.p2align	6, 0x0
	.amdhsa_kernel _ZN9rocsolver6v33100L12restore_diagI19rocblas_complex_numIdEidPS3_EEvPT1_llT2_lT0_lS8_
		.amdhsa_group_segment_fixed_size 0
		.amdhsa_private_segment_fixed_size 0
		.amdhsa_kernarg_size 320
		.amdhsa_user_sgpr_count 6
		.amdhsa_user_sgpr_private_segment_buffer 1
		.amdhsa_user_sgpr_dispatch_ptr 0
		.amdhsa_user_sgpr_queue_ptr 0
		.amdhsa_user_sgpr_kernarg_segment_ptr 1
		.amdhsa_user_sgpr_dispatch_id 0
		.amdhsa_user_sgpr_flat_scratch_init 0
		.amdhsa_user_sgpr_kernarg_preload_length 0
		.amdhsa_user_sgpr_kernarg_preload_offset 0
		.amdhsa_user_sgpr_private_segment_size 0
		.amdhsa_uses_dynamic_stack 0
		.amdhsa_system_sgpr_private_segment_wavefront_offset 0
		.amdhsa_system_sgpr_workgroup_id_x 1
		.amdhsa_system_sgpr_workgroup_id_y 1
		.amdhsa_system_sgpr_workgroup_id_z 0
		.amdhsa_system_sgpr_workgroup_info 0
		.amdhsa_system_vgpr_workitem_id 1
		.amdhsa_next_free_vgpr 6
		.amdhsa_next_free_sgpr 16
		.amdhsa_accum_offset 8
		.amdhsa_reserve_vcc 1
		.amdhsa_reserve_flat_scratch 0
		.amdhsa_float_round_mode_32 0
		.amdhsa_float_round_mode_16_64 0
		.amdhsa_float_denorm_mode_32 3
		.amdhsa_float_denorm_mode_16_64 3
		.amdhsa_dx10_clamp 1
		.amdhsa_ieee_mode 1
		.amdhsa_fp16_overflow 0
		.amdhsa_tg_split 0
		.amdhsa_exception_fp_ieee_invalid_op 0
		.amdhsa_exception_fp_denorm_src 0
		.amdhsa_exception_fp_ieee_div_zero 0
		.amdhsa_exception_fp_ieee_overflow 0
		.amdhsa_exception_fp_ieee_underflow 0
		.amdhsa_exception_fp_ieee_inexact 0
		.amdhsa_exception_int_div_zero 0
	.end_amdhsa_kernel
	.section	.text._ZN9rocsolver6v33100L12restore_diagI19rocblas_complex_numIdEidPS3_EEvPT1_llT2_lT0_lS8_,"axG",@progbits,_ZN9rocsolver6v33100L12restore_diagI19rocblas_complex_numIdEidPS3_EEvPT1_llT2_lT0_lS8_,comdat
.Lfunc_end248:
	.size	_ZN9rocsolver6v33100L12restore_diagI19rocblas_complex_numIdEidPS3_EEvPT1_llT2_lT0_lS8_, .Lfunc_end248-_ZN9rocsolver6v33100L12restore_diagI19rocblas_complex_numIdEidPS3_EEvPT1_llT2_lT0_lS8_
                                        ; -- End function
	.section	.AMDGPU.csdata,"",@progbits
; Kernel info:
; codeLenInByte = 276
; NumSgprs: 20
; NumVgprs: 6
; NumAgprs: 0
; TotalNumVgprs: 6
; ScratchSize: 0
; MemoryBound: 0
; FloatMode: 240
; IeeeMode: 1
; LDSByteSize: 0 bytes/workgroup (compile time only)
; SGPRBlocks: 2
; VGPRBlocks: 0
; NumSGPRsForWavesPerEU: 20
; NumVGPRsForWavesPerEU: 6
; AccumOffset: 8
; Occupancy: 8
; WaveLimiterHint : 0
; COMPUTE_PGM_RSRC2:SCRATCH_EN: 0
; COMPUTE_PGM_RSRC2:USER_SGPR: 6
; COMPUTE_PGM_RSRC2:TRAP_HANDLER: 0
; COMPUTE_PGM_RSRC2:TGID_X_EN: 1
; COMPUTE_PGM_RSRC2:TGID_Y_EN: 1
; COMPUTE_PGM_RSRC2:TGID_Z_EN: 0
; COMPUTE_PGM_RSRC2:TIDIG_COMP_CNT: 1
; COMPUTE_PGM_RSRC3_GFX90A:ACCUM_OFFSET: 1
; COMPUTE_PGM_RSRC3_GFX90A:TG_SPLIT: 0
	.section	.text._ZN9rocsolver6v33100L8copy_matI19rocblas_complex_numIdEPS3_S4_NS0_7no_maskEEEviiT0_iilT1_iilT2_13rocblas_fill_17rocblas_diagonal_,"axG",@progbits,_ZN9rocsolver6v33100L8copy_matI19rocblas_complex_numIdEPS3_S4_NS0_7no_maskEEEviiT0_iilT1_iilT2_13rocblas_fill_17rocblas_diagonal_,comdat
	.globl	_ZN9rocsolver6v33100L8copy_matI19rocblas_complex_numIdEPS3_S4_NS0_7no_maskEEEviiT0_iilT1_iilT2_13rocblas_fill_17rocblas_diagonal_ ; -- Begin function _ZN9rocsolver6v33100L8copy_matI19rocblas_complex_numIdEPS3_S4_NS0_7no_maskEEEviiT0_iilT1_iilT2_13rocblas_fill_17rocblas_diagonal_
	.p2align	8
	.type	_ZN9rocsolver6v33100L8copy_matI19rocblas_complex_numIdEPS3_S4_NS0_7no_maskEEEviiT0_iilT1_iilT2_13rocblas_fill_17rocblas_diagonal_,@function
_ZN9rocsolver6v33100L8copy_matI19rocblas_complex_numIdEPS3_S4_NS0_7no_maskEEEviiT0_iilT1_iilT2_13rocblas_fill_17rocblas_diagonal_: ; @_ZN9rocsolver6v33100L8copy_matI19rocblas_complex_numIdEPS3_S4_NS0_7no_maskEEEviiT0_iilT1_iilT2_13rocblas_fill_17rocblas_diagonal_
; %bb.0:
	s_load_dword s2, s[4:5], 0x54
	s_load_dwordx2 s[0:1], s[4:5], 0x0
	v_bfe_u32 v1, v0, 10, 10
	v_and_b32_e32 v0, 0x3ff, v0
	s_waitcnt lgkmcnt(0)
	s_lshr_b32 s3, s2, 16
	s_and_b32 s2, s2, 0xffff
	s_mul_i32 s7, s7, s3
	s_mul_i32 s6, s6, s2
	v_add_u32_e32 v1, s7, v1
	v_add_u32_e32 v0, s6, v0
	v_cmp_gt_u32_e32 vcc, s0, v0
	v_cmp_gt_u32_e64 s[0:1], s1, v1
	s_and_b64 s[0:1], s[0:1], vcc
	s_and_saveexec_b64 s[2:3], s[0:1]
	s_cbranch_execz .LBB249_14
; %bb.1:
	s_load_dwordx2 s[2:3], s[4:5], 0x3c
	s_waitcnt lgkmcnt(0)
	s_cmpk_lt_i32 s2, 0x7a
	s_cbranch_scc1 .LBB249_4
; %bb.2:
	s_cmpk_gt_i32 s2, 0x7a
	s_cbranch_scc0 .LBB249_5
; %bb.3:
	s_cmpk_lg_i32 s2, 0x7b
	s_mov_b64 s[6:7], -1
	s_cselect_b64 s[10:11], -1, 0
	s_cbranch_execz .LBB249_6
	s_branch .LBB249_7
.LBB249_4:
	s_mov_b64 s[10:11], 0
	s_mov_b64 s[6:7], 0
	s_cbranch_execnz .LBB249_8
	s_branch .LBB249_10
.LBB249_5:
	s_mov_b64 s[6:7], 0
	s_mov_b64 s[10:11], 0
.LBB249_6:
	v_cmp_gt_u32_e32 vcc, v0, v1
	v_cmp_le_u32_e64 s[0:1], v0, v1
	s_andn2_b64 s[6:7], s[6:7], exec
	s_and_b64 s[12:13], vcc, exec
	s_andn2_b64 s[10:11], s[10:11], exec
	s_and_b64 s[0:1], s[0:1], exec
	s_or_b64 s[6:7], s[6:7], s[12:13]
	s_or_b64 s[10:11], s[10:11], s[0:1]
.LBB249_7:
	s_branch .LBB249_10
.LBB249_8:
	s_cmpk_eq_i32 s2, 0x79
	s_mov_b64 s[10:11], -1
	s_cbranch_scc0 .LBB249_10
; %bb.9:
	v_cmp_gt_u32_e32 vcc, v1, v0
	v_cmp_le_u32_e64 s[0:1], v1, v0
	s_andn2_b64 s[6:7], s[6:7], exec
	s_and_b64 s[10:11], vcc, exec
	s_or_b64 s[6:7], s[6:7], s[10:11]
	s_orn2_b64 s[10:11], s[0:1], exec
.LBB249_10:
	s_and_saveexec_b64 s[0:1], s[10:11]
; %bb.11:
	s_cmpk_eq_i32 s3, 0x83
	s_cselect_b64 s[2:3], -1, 0
	v_cmp_eq_u32_e32 vcc, v0, v1
	s_and_b64 s[2:3], s[2:3], vcc
	s_andn2_b64 s[6:7], s[6:7], exec
	s_and_b64 s[2:3], s[2:3], exec
	s_or_b64 s[6:7], s[6:7], s[2:3]
; %bb.12:
	s_or_b64 exec, exec, s[0:1]
	s_and_b64 exec, exec, s[6:7]
	s_cbranch_execz .LBB249_14
; %bb.13:
	s_load_dwordx8 s[12:19], s[4:5], 0x8
	s_waitcnt lgkmcnt(0)
	s_mul_i32 s3, s8, s17
	s_mul_hi_u32 s6, s8, s16
	s_mul_i32 s2, s8, s16
	s_add_i32 s3, s6, s3
	s_ashr_i32 s1, s14, 31
	s_lshl_b64 s[2:3], s[2:3], 4
	s_mov_b32 s0, s14
	s_add_u32 s2, s12, s2
	s_addc_u32 s3, s13, s3
	s_lshl_b64 s[0:1], s[0:1], 4
	s_add_u32 s2, s2, s0
	s_addc_u32 s3, s3, s1
	v_mad_u64_u32 v[6:7], s[0:1], v1, s15, v[0:1]
	v_mov_b32_e32 v7, 0
	v_lshlrev_b64 v[2:3], 4, v[6:7]
	v_mov_b32_e32 v4, s3
	v_add_co_u32_e32 v2, vcc, s2, v2
	v_addc_co_u32_e32 v3, vcc, v4, v3, vcc
	global_load_dwordx4 v[2:5], v[2:3], off
	s_load_dwordx4 s[0:3], s[4:5], 0x28
	s_waitcnt lgkmcnt(0)
	s_ashr_i32 s5, s0, 31
	s_mov_b32 s4, s0
	s_mul_i32 s0, s8, s3
	s_mul_hi_u32 s3, s8, s2
	s_add_i32 s3, s3, s0
	s_mul_i32 s2, s8, s2
	s_lshl_b64 s[2:3], s[2:3], 4
	s_add_u32 s0, s18, s2
	s_addc_u32 s6, s19, s3
	s_lshl_b64 s[2:3], s[4:5], 4
	s_add_u32 s2, s0, s2
	v_mad_u64_u32 v[0:1], s[0:1], v1, s1, v[0:1]
	v_mov_b32_e32 v1, v7
	s_addc_u32 s3, s6, s3
	v_lshlrev_b64 v[0:1], 4, v[0:1]
	v_mov_b32_e32 v6, s3
	v_add_co_u32_e32 v0, vcc, s2, v0
	v_addc_co_u32_e32 v1, vcc, v6, v1, vcc
	s_waitcnt vmcnt(0)
	global_store_dwordx4 v[0:1], v[2:5], off
.LBB249_14:
	s_endpgm
	.section	.rodata,"a",@progbits
	.p2align	6, 0x0
	.amdhsa_kernel _ZN9rocsolver6v33100L8copy_matI19rocblas_complex_numIdEPS3_S4_NS0_7no_maskEEEviiT0_iilT1_iilT2_13rocblas_fill_17rocblas_diagonal_
		.amdhsa_group_segment_fixed_size 0
		.amdhsa_private_segment_fixed_size 0
		.amdhsa_kernarg_size 328
		.amdhsa_user_sgpr_count 6
		.amdhsa_user_sgpr_private_segment_buffer 1
		.amdhsa_user_sgpr_dispatch_ptr 0
		.amdhsa_user_sgpr_queue_ptr 0
		.amdhsa_user_sgpr_kernarg_segment_ptr 1
		.amdhsa_user_sgpr_dispatch_id 0
		.amdhsa_user_sgpr_flat_scratch_init 0
		.amdhsa_user_sgpr_kernarg_preload_length 0
		.amdhsa_user_sgpr_kernarg_preload_offset 0
		.amdhsa_user_sgpr_private_segment_size 0
		.amdhsa_uses_dynamic_stack 0
		.amdhsa_system_sgpr_private_segment_wavefront_offset 0
		.amdhsa_system_sgpr_workgroup_id_x 1
		.amdhsa_system_sgpr_workgroup_id_y 1
		.amdhsa_system_sgpr_workgroup_id_z 1
		.amdhsa_system_sgpr_workgroup_info 0
		.amdhsa_system_vgpr_workitem_id 1
		.amdhsa_next_free_vgpr 8
		.amdhsa_next_free_sgpr 20
		.amdhsa_accum_offset 8
		.amdhsa_reserve_vcc 1
		.amdhsa_reserve_flat_scratch 0
		.amdhsa_float_round_mode_32 0
		.amdhsa_float_round_mode_16_64 0
		.amdhsa_float_denorm_mode_32 3
		.amdhsa_float_denorm_mode_16_64 3
		.amdhsa_dx10_clamp 1
		.amdhsa_ieee_mode 1
		.amdhsa_fp16_overflow 0
		.amdhsa_tg_split 0
		.amdhsa_exception_fp_ieee_invalid_op 0
		.amdhsa_exception_fp_denorm_src 0
		.amdhsa_exception_fp_ieee_div_zero 0
		.amdhsa_exception_fp_ieee_overflow 0
		.amdhsa_exception_fp_ieee_underflow 0
		.amdhsa_exception_fp_ieee_inexact 0
		.amdhsa_exception_int_div_zero 0
	.end_amdhsa_kernel
	.section	.text._ZN9rocsolver6v33100L8copy_matI19rocblas_complex_numIdEPS3_S4_NS0_7no_maskEEEviiT0_iilT1_iilT2_13rocblas_fill_17rocblas_diagonal_,"axG",@progbits,_ZN9rocsolver6v33100L8copy_matI19rocblas_complex_numIdEPS3_S4_NS0_7no_maskEEEviiT0_iilT1_iilT2_13rocblas_fill_17rocblas_diagonal_,comdat
.Lfunc_end249:
	.size	_ZN9rocsolver6v33100L8copy_matI19rocblas_complex_numIdEPS3_S4_NS0_7no_maskEEEviiT0_iilT1_iilT2_13rocblas_fill_17rocblas_diagonal_, .Lfunc_end249-_ZN9rocsolver6v33100L8copy_matI19rocblas_complex_numIdEPS3_S4_NS0_7no_maskEEEviiT0_iilT1_iilT2_13rocblas_fill_17rocblas_diagonal_
                                        ; -- End function
	.section	.AMDGPU.csdata,"",@progbits
; Kernel info:
; codeLenInByte = 492
; NumSgprs: 24
; NumVgprs: 8
; NumAgprs: 0
; TotalNumVgprs: 8
; ScratchSize: 0
; MemoryBound: 0
; FloatMode: 240
; IeeeMode: 1
; LDSByteSize: 0 bytes/workgroup (compile time only)
; SGPRBlocks: 2
; VGPRBlocks: 0
; NumSGPRsForWavesPerEU: 24
; NumVGPRsForWavesPerEU: 8
; AccumOffset: 8
; Occupancy: 8
; WaveLimiterHint : 0
; COMPUTE_PGM_RSRC2:SCRATCH_EN: 0
; COMPUTE_PGM_RSRC2:USER_SGPR: 6
; COMPUTE_PGM_RSRC2:TRAP_HANDLER: 0
; COMPUTE_PGM_RSRC2:TGID_X_EN: 1
; COMPUTE_PGM_RSRC2:TGID_Y_EN: 1
; COMPUTE_PGM_RSRC2:TGID_Z_EN: 1
; COMPUTE_PGM_RSRC2:TIDIG_COMP_CNT: 1
; COMPUTE_PGM_RSRC3_GFX90A:ACCUM_OFFSET: 1
; COMPUTE_PGM_RSRC3_GFX90A:TG_SPLIT: 0
	.section	.text._ZN9rocsolver6v33100L15copyshift_rightI19rocblas_complex_numIdEPS3_EEvbiT0_iilPT_iil,"axG",@progbits,_ZN9rocsolver6v33100L15copyshift_rightI19rocblas_complex_numIdEPS3_EEvbiT0_iilPT_iil,comdat
	.globl	_ZN9rocsolver6v33100L15copyshift_rightI19rocblas_complex_numIdEPS3_EEvbiT0_iilPT_iil ; -- Begin function _ZN9rocsolver6v33100L15copyshift_rightI19rocblas_complex_numIdEPS3_EEvbiT0_iilPT_iil
	.p2align	8
	.type	_ZN9rocsolver6v33100L15copyshift_rightI19rocblas_complex_numIdEPS3_EEvbiT0_iilPT_iil,@function
_ZN9rocsolver6v33100L15copyshift_rightI19rocblas_complex_numIdEPS3_EEvbiT0_iilPT_iil: ; @_ZN9rocsolver6v33100L15copyshift_rightI19rocblas_complex_numIdEPS3_EEvbiT0_iilPT_iil
; %bb.0:
	s_load_dwordx4 s[0:3], s[4:5], 0x0
	s_load_dwordx4 s[12:15], s[4:5], 0x18
	s_load_dword s9, s[4:5], 0x44
	s_load_dwordx2 s[10:11], s[4:5], 0x10
	v_and_b32_e32 v1, 0x3ff, v0
	s_waitcnt lgkmcnt(0)
	s_bitcmp1_b32 s0, 0
	s_cselect_b64 s[16:17], -1, 0
	s_and_b32 s0, s9, 0xffff
	s_lshr_b32 s9, s9, 16
	s_mul_i32 s7, s7, s9
	s_mul_i32 s6, s6, s0
	;; [unrolled: 1-line block ×3, first 2 shown]
	s_mul_hi_u32 s9, s8, s12
	v_bfe_u32 v0, v0, 10, 10
	s_add_i32 s13, s9, s0
	s_mul_i32 s12, s8, s12
	s_xor_b64 s[16:17], s[16:17], -1
	v_add_u32_e32 v6, s7, v0
	s_ashr_i32 s7, s10, 31
	s_lshl_b64 s[12:13], s[12:13], 4
	v_add_u32_e32 v4, s6, v1
	s_mov_b32 s6, s10
	s_add_u32 s0, s2, s12
	s_addc_u32 s9, s3, s13
	s_lshl_b64 s[2:3], s[6:7], 4
	v_or_b32_e32 v0, v4, v6
	s_add_u32 s6, s0, s2
	v_cmp_eq_u32_e32 vcc, 0, v0
	s_addc_u32 s7, s9, s3
	s_and_b64 s[12:13], vcc, s[16:17]
	s_and_saveexec_b64 s[2:3], s[12:13]
	s_cbranch_execz .LBB250_2
; %bb.1:
	v_mov_b32_e32 v0, 0
	v_mov_b32_e32 v1, 0x3ff00000
	;; [unrolled: 1-line block ×4, first 2 shown]
	global_store_dwordx4 v0, v[0:3], s[6:7]
.LBB250_2:
	s_or_b64 exec, exec, s[2:3]
	v_max_u32_e32 v0, v6, v4
	v_cmp_gt_u32_e32 vcc, s1, v0
	v_cmp_le_u32_e64 s[0:1], v6, v4
	s_and_b64 s[0:1], s[0:1], vcc
	s_and_saveexec_b64 s[2:3], s[0:1]
	s_cbranch_execz .LBB250_11
; %bb.3:
	s_load_dwordx4 s[0:3], s[4:5], 0x28
	s_waitcnt lgkmcnt(0)
	s_ashr_i32 s5, s0, 31
	s_mov_b32 s4, s0
	s_mul_i32 s0, s8, s3
	s_mul_hi_u32 s3, s8, s2
	s_mul_i32 s2, s8, s2
	s_add_i32 s3, s3, s0
	s_lshl_b64 s[2:3], s[2:3], 4
	s_add_u32 s0, s14, s2
	s_addc_u32 s8, s15, s3
	s_lshl_b64 s[2:3], s[4:5], 4
	s_add_u32 s0, s0, s2
	s_addc_u32 s4, s8, s3
	v_mad_u64_u32 v[0:1], s[2:3], v6, v6, v[6:7]
	v_lshrrev_b32_e32 v5, 1, v0
	s_mov_b64 s[2:3], -1
	s_and_b64 vcc, exec, s[16:17]
	s_cbranch_vccz .LBB250_7
; %bb.4:
	v_mad_u64_u32 v[0:1], s[2:3], v6, s1, v[4:5]
	v_sub_u32_e32 v0, v0, v5
	v_mov_b32_e32 v1, 0
	v_lshlrev_b64 v[2:3], 4, v[0:1]
	v_mov_b32_e32 v0, s4
	v_add_co_u32_e32 v2, vcc, s0, v2
	v_addc_co_u32_e32 v3, vcc, v0, v3, vcc
	global_load_dwordx4 v[8:11], v[2:3], off
	v_mul_lo_u32 v2, v6, s11
	v_add3_u32 v0, v4, v2, 1
	v_lshlrev_b64 v[12:13], 4, v[0:1]
	v_mov_b32_e32 v3, s7
	v_add_co_u32_e32 v12, vcc, s6, v12
	v_addc_co_u32_e32 v13, vcc, v3, v13, vcc
	v_cmp_eq_u32_e32 vcc, v4, v6
	s_waitcnt vmcnt(0)
	global_store_dwordx4 v[12:13], v[8:11], off
	s_and_saveexec_b64 s[2:3], vcc
	s_cbranch_execz .LBB250_6
; %bb.5:
	v_add_u32_e32 v0, s11, v2
	v_lshlrev_b64 v[2:3], 4, v[0:1]
	v_mov_b32_e32 v0, s7
	v_add_co_u32_e32 v8, vcc, s6, v2
	v_addc_co_u32_e32 v9, vcc, v0, v3, vcc
	v_mov_b32_e32 v0, v1
	v_mov_b32_e32 v2, v1
	v_mov_b32_e32 v3, v1
	global_store_dwordx4 v[8:9], v[0:3], off
.LBB250_6:
	s_or_b64 exec, exec, s[2:3]
	s_mov_b64 s[2:3], 0
.LBB250_7:
	s_andn2_b64 vcc, exec, s[2:3]
	s_cbranch_vccnz .LBB250_11
; %bb.8:
	v_pk_mov_b32 v[0:1], 0, 0
	v_cmp_ne_u32_e32 vcc, 0, v6
	v_pk_mov_b32 v[2:3], v[0:1], v[0:1] op_sel:[0,1]
	s_and_saveexec_b64 s[2:3], vcc
	s_cbranch_execz .LBB250_10
; %bb.9:
	v_add_u32_e32 v0, -1, v6
	v_mul_lo_u32 v0, v0, s11
	v_add3_u32 v0, v4, v0, 1
	v_mov_b32_e32 v1, 0
	v_lshlrev_b64 v[0:1], 4, v[0:1]
	v_mov_b32_e32 v2, s7
	v_add_co_u32_e32 v0, vcc, s6, v0
	v_addc_co_u32_e32 v1, vcc, v2, v1, vcc
	global_load_dwordx4 v[0:3], v[0:1], off
.LBB250_10:
	s_or_b64 exec, exec, s[2:3]
	v_mad_u64_u32 v[6:7], s[2:3], v6, s1, v[4:5]
	v_sub_u32_e32 v4, v6, v5
	v_mov_b32_e32 v5, 0
	v_lshlrev_b64 v[4:5], 4, v[4:5]
	v_mov_b32_e32 v6, s4
	v_add_co_u32_e32 v4, vcc, s0, v4
	v_addc_co_u32_e32 v5, vcc, v6, v5, vcc
	s_waitcnt vmcnt(0)
	global_store_dwordx4 v[4:5], v[0:3], off
.LBB250_11:
	s_endpgm
	.section	.rodata,"a",@progbits
	.p2align	6, 0x0
	.amdhsa_kernel _ZN9rocsolver6v33100L15copyshift_rightI19rocblas_complex_numIdEPS3_EEvbiT0_iilPT_iil
		.amdhsa_group_segment_fixed_size 0
		.amdhsa_private_segment_fixed_size 0
		.amdhsa_kernarg_size 312
		.amdhsa_user_sgpr_count 6
		.amdhsa_user_sgpr_private_segment_buffer 1
		.amdhsa_user_sgpr_dispatch_ptr 0
		.amdhsa_user_sgpr_queue_ptr 0
		.amdhsa_user_sgpr_kernarg_segment_ptr 1
		.amdhsa_user_sgpr_dispatch_id 0
		.amdhsa_user_sgpr_flat_scratch_init 0
		.amdhsa_user_sgpr_kernarg_preload_length 0
		.amdhsa_user_sgpr_kernarg_preload_offset 0
		.amdhsa_user_sgpr_private_segment_size 0
		.amdhsa_uses_dynamic_stack 0
		.amdhsa_system_sgpr_private_segment_wavefront_offset 0
		.amdhsa_system_sgpr_workgroup_id_x 1
		.amdhsa_system_sgpr_workgroup_id_y 1
		.amdhsa_system_sgpr_workgroup_id_z 1
		.amdhsa_system_sgpr_workgroup_info 0
		.amdhsa_system_vgpr_workitem_id 1
		.amdhsa_next_free_vgpr 14
		.amdhsa_next_free_sgpr 18
		.amdhsa_accum_offset 16
		.amdhsa_reserve_vcc 1
		.amdhsa_reserve_flat_scratch 0
		.amdhsa_float_round_mode_32 0
		.amdhsa_float_round_mode_16_64 0
		.amdhsa_float_denorm_mode_32 3
		.amdhsa_float_denorm_mode_16_64 3
		.amdhsa_dx10_clamp 1
		.amdhsa_ieee_mode 1
		.amdhsa_fp16_overflow 0
		.amdhsa_tg_split 0
		.amdhsa_exception_fp_ieee_invalid_op 0
		.amdhsa_exception_fp_denorm_src 0
		.amdhsa_exception_fp_ieee_div_zero 0
		.amdhsa_exception_fp_ieee_overflow 0
		.amdhsa_exception_fp_ieee_underflow 0
		.amdhsa_exception_fp_ieee_inexact 0
		.amdhsa_exception_int_div_zero 0
	.end_amdhsa_kernel
	.section	.text._ZN9rocsolver6v33100L15copyshift_rightI19rocblas_complex_numIdEPS3_EEvbiT0_iilPT_iil,"axG",@progbits,_ZN9rocsolver6v33100L15copyshift_rightI19rocblas_complex_numIdEPS3_EEvbiT0_iilPT_iil,comdat
.Lfunc_end250:
	.size	_ZN9rocsolver6v33100L15copyshift_rightI19rocblas_complex_numIdEPS3_EEvbiT0_iilPT_iil, .Lfunc_end250-_ZN9rocsolver6v33100L15copyshift_rightI19rocblas_complex_numIdEPS3_EEvbiT0_iilPT_iil
                                        ; -- End function
	.section	.AMDGPU.csdata,"",@progbits
; Kernel info:
; codeLenInByte = 604
; NumSgprs: 22
; NumVgprs: 14
; NumAgprs: 0
; TotalNumVgprs: 14
; ScratchSize: 0
; MemoryBound: 0
; FloatMode: 240
; IeeeMode: 1
; LDSByteSize: 0 bytes/workgroup (compile time only)
; SGPRBlocks: 2
; VGPRBlocks: 1
; NumSGPRsForWavesPerEU: 22
; NumVGPRsForWavesPerEU: 14
; AccumOffset: 16
; Occupancy: 8
; WaveLimiterHint : 0
; COMPUTE_PGM_RSRC2:SCRATCH_EN: 0
; COMPUTE_PGM_RSRC2:USER_SGPR: 6
; COMPUTE_PGM_RSRC2:TRAP_HANDLER: 0
; COMPUTE_PGM_RSRC2:TGID_X_EN: 1
; COMPUTE_PGM_RSRC2:TGID_Y_EN: 1
; COMPUTE_PGM_RSRC2:TGID_Z_EN: 1
; COMPUTE_PGM_RSRC2:TIDIG_COMP_CNT: 1
; COMPUTE_PGM_RSRC3_GFX90A:ACCUM_OFFSET: 3
; COMPUTE_PGM_RSRC3_GFX90A:TG_SPLIT: 0
	.section	.text._ZN9rocsolver6v33100L14copyshift_downI19rocblas_complex_numIdEPS3_EEvbiT0_iilPT_iil,"axG",@progbits,_ZN9rocsolver6v33100L14copyshift_downI19rocblas_complex_numIdEPS3_EEvbiT0_iilPT_iil,comdat
	.globl	_ZN9rocsolver6v33100L14copyshift_downI19rocblas_complex_numIdEPS3_EEvbiT0_iilPT_iil ; -- Begin function _ZN9rocsolver6v33100L14copyshift_downI19rocblas_complex_numIdEPS3_EEvbiT0_iilPT_iil
	.p2align	8
	.type	_ZN9rocsolver6v33100L14copyshift_downI19rocblas_complex_numIdEPS3_EEvbiT0_iilPT_iil,@function
_ZN9rocsolver6v33100L14copyshift_downI19rocblas_complex_numIdEPS3_EEvbiT0_iilPT_iil: ; @_ZN9rocsolver6v33100L14copyshift_downI19rocblas_complex_numIdEPS3_EEvbiT0_iilPT_iil
; %bb.0:
	s_load_dwordx4 s[12:15], s[4:5], 0x0
	s_load_dwordx4 s[0:3], s[4:5], 0x18
	s_load_dword s9, s[4:5], 0x44
	s_load_dwordx2 s[10:11], s[4:5], 0x10
	v_and_b32_e32 v1, 0x3ff, v0
	s_waitcnt lgkmcnt(0)
	s_bitcmp1_b32 s12, 0
	s_cselect_b64 s[16:17], -1, 0
	s_and_b32 s12, s9, 0xffff
	s_lshr_b32 s9, s9, 16
	s_mul_i32 s7, s7, s9
	s_mul_i32 s1, s8, s1
	s_mul_hi_u32 s9, s8, s0
	v_bfe_u32 v0, v0, 10, 10
	s_add_i32 s1, s9, s1
	s_mul_i32 s0, s8, s0
	s_xor_b64 s[16:17], s[16:17], -1
	s_mul_i32 s6, s6, s12
	v_add_u32_e32 v0, s7, v0
	s_ashr_i32 s7, s10, 31
	s_lshl_b64 s[0:1], s[0:1], 4
	v_add_u32_e32 v4, s6, v1
	s_mov_b32 s6, s10
	s_add_u32 s9, s14, s0
	s_addc_u32 s10, s15, s1
	s_lshl_b64 s[0:1], s[6:7], 4
	v_or_b32_e32 v1, v4, v0
	s_add_u32 s6, s9, s0
	v_cmp_eq_u32_e32 vcc, 0, v1
	s_addc_u32 s7, s10, s1
	s_and_b64 s[14:15], vcc, s[16:17]
	s_and_saveexec_b64 s[0:1], s[14:15]
	s_cbranch_execz .LBB251_2
; %bb.1:
	v_mov_b32_e32 v6, 0
	v_mov_b32_e32 v7, 0x3ff00000
	;; [unrolled: 1-line block ×4, first 2 shown]
	global_store_dwordx4 v6, v[6:9], s[6:7]
.LBB251_2:
	s_or_b64 exec, exec, s[0:1]
	v_max_u32_e32 v1, v0, v4
	v_cmp_gt_u32_e32 vcc, s13, v1
	v_cmp_le_u32_e64 s[0:1], v4, v0
	s_and_b64 s[0:1], s[0:1], vcc
	s_and_saveexec_b64 s[12:13], s[0:1]
	s_cbranch_execz .LBB251_11
; %bb.3:
	s_load_dword s0, s[4:5], 0x28
	s_load_dwordx2 s[12:13], s[4:5], 0x30
	v_add_u32_e32 v8, 1, v0
	v_mul_lo_u32 v1, v8, v0
	v_lshrrev_b32_e32 v1, 1, v1
	s_waitcnt lgkmcnt(0)
	s_ashr_i32 s1, s0, 31
	s_mul_i32 s5, s8, s13
	s_mul_hi_u32 s9, s8, s12
	s_mul_i32 s4, s8, s12
	s_add_i32 s5, s9, s5
	s_lshl_b64 s[4:5], s[4:5], 4
	s_add_u32 s2, s2, s4
	s_addc_u32 s3, s3, s5
	s_lshl_b64 s[0:1], s[0:1], 4
	s_add_u32 s2, s2, s0
	s_addc_u32 s3, s3, s1
	s_mov_b64 s[0:1], -1
	s_and_b64 vcc, exec, s[16:17]
	v_add_u32_e32 v6, v4, v1
	s_cbranch_vccz .LBB251_7
; %bb.4:
	v_mov_b32_e32 v7, 0
	v_lshlrev_b64 v[2:3], 4, v[6:7]
	v_mov_b32_e32 v1, s3
	v_add_co_u32_e32 v2, vcc, s2, v2
	v_addc_co_u32_e32 v3, vcc, v1, v3, vcc
	global_load_dwordx4 v[10:13], v[2:3], off
	v_mad_u64_u32 v[2:3], s[0:1], v8, s11, v[4:5]
	v_mov_b32_e32 v3, v7
	v_lshlrev_b64 v[2:3], 4, v[2:3]
	v_mov_b32_e32 v1, s7
	v_add_co_u32_e32 v2, vcc, s6, v2
	v_addc_co_u32_e32 v3, vcc, v1, v3, vcc
	v_cmp_eq_u32_e32 vcc, v4, v0
	s_waitcnt vmcnt(0)
	global_store_dwordx4 v[2:3], v[10:13], off
	s_and_saveexec_b64 s[0:1], vcc
	s_cbranch_execz .LBB251_6
; %bb.5:
	v_mov_b32_e32 v5, v7
	v_lshlrev_b64 v[0:1], 4, v[4:5]
	v_mov_b32_e32 v2, s7
	v_add_co_u32_e32 v10, vcc, s6, v0
	v_addc_co_u32_e32 v11, vcc, v2, v1, vcc
	v_mov_b32_e32 v0, v7
	v_mov_b32_e32 v1, v7
	;; [unrolled: 1-line block ×4, first 2 shown]
	global_store_dwordx4 v[10:11], v[0:3], off offset:16
.LBB251_6:
	s_or_b64 exec, exec, s[0:1]
	s_mov_b64 s[0:1], 0
.LBB251_7:
	s_andn2_b64 vcc, exec, s[0:1]
	s_cbranch_vccnz .LBB251_11
; %bb.8:
	v_pk_mov_b32 v[0:1], 0, 0
	v_cmp_ne_u32_e32 vcc, 0, v4
	v_pk_mov_b32 v[2:3], v[0:1], v[0:1] op_sel:[0,1]
	s_and_saveexec_b64 s[0:1], vcc
	s_cbranch_execz .LBB251_10
; %bb.9:
	v_mul_lo_u32 v0, v8, s11
	v_add3_u32 v0, v4, v0, -1
	v_mov_b32_e32 v1, 0
	v_lshlrev_b64 v[0:1], 4, v[0:1]
	v_mov_b32_e32 v2, s7
	v_add_co_u32_e32 v0, vcc, s6, v0
	v_addc_co_u32_e32 v1, vcc, v2, v1, vcc
	global_load_dwordx4 v[0:3], v[0:1], off
.LBB251_10:
	s_or_b64 exec, exec, s[0:1]
	v_mov_b32_e32 v7, 0
	v_lshlrev_b64 v[4:5], 4, v[6:7]
	v_mov_b32_e32 v6, s3
	v_add_co_u32_e32 v4, vcc, s2, v4
	v_addc_co_u32_e32 v5, vcc, v6, v5, vcc
	s_waitcnt vmcnt(0)
	global_store_dwordx4 v[4:5], v[0:3], off
.LBB251_11:
	s_endpgm
	.section	.rodata,"a",@progbits
	.p2align	6, 0x0
	.amdhsa_kernel _ZN9rocsolver6v33100L14copyshift_downI19rocblas_complex_numIdEPS3_EEvbiT0_iilPT_iil
		.amdhsa_group_segment_fixed_size 0
		.amdhsa_private_segment_fixed_size 0
		.amdhsa_kernarg_size 312
		.amdhsa_user_sgpr_count 6
		.amdhsa_user_sgpr_private_segment_buffer 1
		.amdhsa_user_sgpr_dispatch_ptr 0
		.amdhsa_user_sgpr_queue_ptr 0
		.amdhsa_user_sgpr_kernarg_segment_ptr 1
		.amdhsa_user_sgpr_dispatch_id 0
		.amdhsa_user_sgpr_flat_scratch_init 0
		.amdhsa_user_sgpr_kernarg_preload_length 0
		.amdhsa_user_sgpr_kernarg_preload_offset 0
		.amdhsa_user_sgpr_private_segment_size 0
		.amdhsa_uses_dynamic_stack 0
		.amdhsa_system_sgpr_private_segment_wavefront_offset 0
		.amdhsa_system_sgpr_workgroup_id_x 1
		.amdhsa_system_sgpr_workgroup_id_y 1
		.amdhsa_system_sgpr_workgroup_id_z 1
		.amdhsa_system_sgpr_workgroup_info 0
		.amdhsa_system_vgpr_workitem_id 1
		.amdhsa_next_free_vgpr 14
		.amdhsa_next_free_sgpr 18
		.amdhsa_accum_offset 16
		.amdhsa_reserve_vcc 1
		.amdhsa_reserve_flat_scratch 0
		.amdhsa_float_round_mode_32 0
		.amdhsa_float_round_mode_16_64 0
		.amdhsa_float_denorm_mode_32 3
		.amdhsa_float_denorm_mode_16_64 3
		.amdhsa_dx10_clamp 1
		.amdhsa_ieee_mode 1
		.amdhsa_fp16_overflow 0
		.amdhsa_tg_split 0
		.amdhsa_exception_fp_ieee_invalid_op 0
		.amdhsa_exception_fp_denorm_src 0
		.amdhsa_exception_fp_ieee_div_zero 0
		.amdhsa_exception_fp_ieee_overflow 0
		.amdhsa_exception_fp_ieee_underflow 0
		.amdhsa_exception_fp_ieee_inexact 0
		.amdhsa_exception_int_div_zero 0
	.end_amdhsa_kernel
	.section	.text._ZN9rocsolver6v33100L14copyshift_downI19rocblas_complex_numIdEPS3_EEvbiT0_iilPT_iil,"axG",@progbits,_ZN9rocsolver6v33100L14copyshift_downI19rocblas_complex_numIdEPS3_EEvbiT0_iilPT_iil,comdat
.Lfunc_end251:
	.size	_ZN9rocsolver6v33100L14copyshift_downI19rocblas_complex_numIdEPS3_EEvbiT0_iilPT_iil, .Lfunc_end251-_ZN9rocsolver6v33100L14copyshift_downI19rocblas_complex_numIdEPS3_EEvbiT0_iilPT_iil
                                        ; -- End function
	.section	.AMDGPU.csdata,"",@progbits
; Kernel info:
; codeLenInByte = 588
; NumSgprs: 22
; NumVgprs: 14
; NumAgprs: 0
; TotalNumVgprs: 14
; ScratchSize: 0
; MemoryBound: 0
; FloatMode: 240
; IeeeMode: 1
; LDSByteSize: 0 bytes/workgroup (compile time only)
; SGPRBlocks: 2
; VGPRBlocks: 1
; NumSGPRsForWavesPerEU: 22
; NumVGPRsForWavesPerEU: 14
; AccumOffset: 16
; Occupancy: 8
; WaveLimiterHint : 0
; COMPUTE_PGM_RSRC2:SCRATCH_EN: 0
; COMPUTE_PGM_RSRC2:USER_SGPR: 6
; COMPUTE_PGM_RSRC2:TRAP_HANDLER: 0
; COMPUTE_PGM_RSRC2:TGID_X_EN: 1
; COMPUTE_PGM_RSRC2:TGID_Y_EN: 1
; COMPUTE_PGM_RSRC2:TGID_Z_EN: 1
; COMPUTE_PGM_RSRC2:TIDIG_COMP_CNT: 1
; COMPUTE_PGM_RSRC3_GFX90A:ACCUM_OFFSET: 3
; COMPUTE_PGM_RSRC3_GFX90A:TG_SPLIT: 0
	.section	.text._ZN9rocsolver6v33100L17bdsqr_lower2upperI19rocblas_complex_numIdEdPS3_S4_EEviiiPT0_lS6_lT1_iilT2_iilPiS6_lS9_,"axG",@progbits,_ZN9rocsolver6v33100L17bdsqr_lower2upperI19rocblas_complex_numIdEdPS3_S4_EEviiiPT0_lS6_lT1_iilT2_iilPiS6_lS9_,comdat
	.globl	_ZN9rocsolver6v33100L17bdsqr_lower2upperI19rocblas_complex_numIdEdPS3_S4_EEviiiPT0_lS6_lT1_iilT2_iilPiS6_lS9_ ; -- Begin function _ZN9rocsolver6v33100L17bdsqr_lower2upperI19rocblas_complex_numIdEdPS3_S4_EEviiiPT0_lS6_lT1_iilT2_iilPiS6_lS9_
	.p2align	8
	.type	_ZN9rocsolver6v33100L17bdsqr_lower2upperI19rocblas_complex_numIdEdPS3_S4_EEviiiPT0_lS6_lT1_iilT2_iilPiS6_lS9_,@function
_ZN9rocsolver6v33100L17bdsqr_lower2upperI19rocblas_complex_numIdEdPS3_S4_EEviiiPT0_lS6_lT1_iilT2_iilPiS6_lS9_: ; @_ZN9rocsolver6v33100L17bdsqr_lower2upperI19rocblas_complex_numIdEdPS3_S4_EEviiiPT0_lS6_lT1_iilT2_iilPiS6_lS9_
; %bb.0:
	s_load_dwordx2 s[0:1], s[4:5], 0x78
	s_mov_b32 s26, s7
	s_ashr_i32 s27, s7, 31
	s_lshl_b64 s[2:3], s[26:27], 2
	s_waitcnt lgkmcnt(0)
	s_add_u32 s0, s0, s2
	s_addc_u32 s1, s1, s3
	s_load_dword s0, s[0:1], 0x8
	s_waitcnt lgkmcnt(0)
	s_cmp_lg_u32 s0, 0
	s_cbranch_scc1 .LBB252_34
; %bb.1:
	s_load_dwordx8 s[8:15], s[4:5], 0x30
	s_load_dwordx4 s[0:3], s[4:5], 0x68
	s_mov_b64 s[6:7], 0
	s_mov_b64 s[24:25], 0
	s_waitcnt lgkmcnt(0)
	s_cmp_eq_u64 s[8:9], 0
	s_cbranch_scc1 .LBB252_3
; %bb.2:
	s_ashr_i32 s17, s10, 31
	s_mov_b32 s16, s10
	s_mul_i32 s10, s26, s13
	s_mul_hi_u32 s13, s26, s12
	s_add_i32 s10, s13, s10
	s_mul_i32 s13, s27, s12
	s_add_i32 s13, s10, s13
	s_mul_i32 s12, s26, s12
	s_lshl_b64 s[12:13], s[12:13], 4
	s_add_u32 s10, s8, s12
	s_addc_u32 s12, s9, s13
	s_lshl_b64 s[8:9], s[16:17], 4
	s_add_u32 s24, s10, s8
	s_addc_u32 s25, s12, s9
.LBB252_3:
	s_load_dwordx2 s[8:9], s[4:5], 0x50
	s_cmp_eq_u64 s[14:15], 0
	s_cbranch_scc1 .LBB252_5
; %bb.4:
	s_load_dwordx2 s[6:7], s[4:5], 0x58
	s_waitcnt lgkmcnt(0)
	s_ashr_i32 s13, s8, 31
	s_mov_b32 s12, s8
	s_mul_i32 s7, s26, s7
	s_mul_hi_u32 s8, s26, s6
	s_mul_i32 s10, s27, s6
	s_add_i32 s7, s8, s7
	s_add_i32 s7, s7, s10
	s_mul_i32 s6, s26, s6
	s_lshl_b64 s[6:7], s[6:7], 4
	s_add_u32 s8, s14, s6
	s_addc_u32 s10, s15, s7
	s_lshl_b64 s[6:7], s[12:13], 4
	s_add_u32 s6, s8, s6
	s_addc_u32 s7, s10, s7
.LBB252_5:
	s_mul_i32 s3, s26, s3
	s_waitcnt lgkmcnt(0)
	s_mul_hi_u32 s8, s26, s2
	s_load_dwordx4 s[20:23], s[4:5], 0x0
	s_add_i32 s3, s8, s3
	s_mul_i32 s8, s27, s2
	s_add_i32 s3, s3, s8
	s_mul_i32 s2, s26, s2
	s_lshl_b64 s[2:3], s[2:3], 3
	s_add_u32 s8, s0, s2
	s_waitcnt lgkmcnt(0)
	s_addc_u32 s23, s1, s3
	v_cmp_eq_u32_e32 vcc, 0, v0
	s_and_saveexec_b64 s[0:1], vcc
	s_cbranch_execz .LBB252_22
; %bb.6:
	s_load_dwordx8 s[12:19], s[4:5], 0x10
	s_waitcnt lgkmcnt(0)
	s_mul_i32 s2, s26, s15
	s_mul_hi_u32 s3, s26, s14
	s_mul_i32 s10, s27, s14
	s_add_i32 s2, s3, s2
	s_add_i32 s3, s2, s10
	s_mul_i32 s2, s26, s14
	s_lshl_b64 s[28:29], s[2:3], 3
	s_add_u32 s2, s12, s28
	s_addc_u32 s3, s13, s29
	s_load_dwordx2 s[30:31], s[2:3], 0x0
	s_add_i32 s14, s20, -1
	s_cmp_lt_i32 s20, 2
	s_waitcnt lgkmcnt(0)
	v_pk_mov_b32 v[4:5], s[30:31], s[30:31] op_sel:[0,1]
	s_cbranch_scc1 .LBB252_21
; %bb.7:
	s_mul_i32 s10, s26, s19
	s_mul_hi_u32 s15, s26, s18
	s_add_i32 s10, s15, s10
	s_mul_i32 s15, s27, s18
	s_add_i32 s19, s10, s15
	s_mul_i32 s18, s26, s18
	s_lshl_b64 s[18:19], s[18:19], 3
	s_add_u32 s34, s18, s16
	s_addc_u32 s35, s19, s17
	s_or_b32 s10, s22, s21
	s_cmp_lg_u32 s10, 0
	s_cselect_b64 s[18:19], -1, 0
	s_add_u32 s26, s8, 32
	s_addc_u32 s27, s23, 0
	s_load_dwordx2 s[36:37], s[34:35], 0x0
	s_add_u32 s10, s28, s12
	s_addc_u32 s13, s29, s13
	s_add_u32 s12, s10, 8
	s_addc_u32 s13, s13, 0
	s_add_u32 s28, s34, 8
	v_pk_mov_b32 v[4:5], s[30:31], s[30:31] op_sel:[0,1]
	s_mov_b32 s30, 0
	s_mov_b32 s17, 0
	s_addc_u32 s29, s35, 0
	s_waitcnt lgkmcnt(0)
	v_pk_mov_b32 v[2:3], s[36:37], s[36:37] op_sel:[0,1]
	s_brev_b32 s31, 8
	v_mov_b32_e32 v1, 0x260
	v_mov_b32_e32 v10, 0
	s_mov_b64 s[34:35], s[26:27]
	s_mov_b32 s10, 0
	s_branch .LBB252_9
.LBB252_8:                              ;   in Loop: Header=BB252_9 Depth=1
	s_add_i32 s10, s10, 1
	s_add_u32 s34, s34, 8
	s_addc_u32 s35, s35, 0
	s_add_u32 s12, s12, 8
	s_addc_u32 s13, s13, 0
	;; [unrolled: 2-line block ×3, first 2 shown]
	s_cmp_lg_u32 s14, s10
	s_waitcnt vmcnt(0)
	v_mul_f64 v[4:5], v[6:7], v[4:5]
	s_cbranch_scc0 .LBB252_21
.LBB252_9:                              ; =>This Inner Loop Header: Depth=1
	v_cmp_eq_f64_e32 vcc, 0, v[2:3]
	v_pk_mov_b32 v[8:9], 0, 0
	s_cbranch_vccnz .LBB252_13
; %bb.10:                               ;   in Loop: Header=BB252_9 Depth=1
	v_cmp_neq_f64_e32 vcc, 0, v[4:5]
	s_cbranch_vccz .LBB252_14
; %bb.11:                               ;   in Loop: Header=BB252_9 Depth=1
	v_cmp_ngt_f64_e64 s[36:37], |v[2:3]|, |v[4:5]|
	s_and_b64 vcc, exec, s[36:37]
	s_cbranch_vccz .LBB252_15
; %bb.12:                               ;   in Loop: Header=BB252_9 Depth=1
	v_div_scale_f64 v[6:7], s[36:37], v[4:5], v[4:5], -v[2:3]
	v_rcp_f64_e32 v[8:9], v[6:7]
	v_div_scale_f64 v[12:13], vcc, -v[2:3], v[4:5], -v[2:3]
	v_fma_f64 v[14:15], -v[6:7], v[8:9], 1.0
	v_fmac_f64_e32 v[8:9], v[8:9], v[14:15]
	v_fma_f64 v[14:15], -v[6:7], v[8:9], 1.0
	v_fmac_f64_e32 v[8:9], v[8:9], v[14:15]
	v_mul_f64 v[14:15], v[12:13], v[8:9]
	v_fma_f64 v[6:7], -v[6:7], v[14:15], v[12:13]
	v_div_fmas_f64 v[6:7], v[6:7], v[8:9], v[14:15]
	v_div_fixup_f64 v[8:9], v[6:7], v[4:5], -v[2:3]
	v_fma_f64 v[6:7], v[8:9], v[8:9], 1.0
	v_cmp_gt_f64_e32 vcc, s[30:31], v[6:7]
	v_cndmask_b32_e64 v11, 0, 1, vcc
	v_lshlrev_b32_e32 v11, 8, v11
	v_ldexp_f64 v[6:7], v[6:7], v11
	v_rsq_f64_e32 v[12:13], v[6:7]
	s_and_b64 s[36:37], vcc, exec
	s_cselect_b32 s15, 0xffffff80, 0
	v_cmp_class_f64_e32 vcc, v[6:7], v1
	v_mul_f64 v[14:15], v[6:7], v[12:13]
	v_mul_f64 v[12:13], v[12:13], 0.5
	v_fma_f64 v[16:17], -v[12:13], v[14:15], 0.5
	v_fmac_f64_e32 v[14:15], v[14:15], v[16:17]
	v_fma_f64 v[18:19], -v[14:15], v[14:15], v[6:7]
	v_fmac_f64_e32 v[12:13], v[12:13], v[16:17]
	v_fmac_f64_e32 v[14:15], v[18:19], v[12:13]
	v_fma_f64 v[16:17], -v[14:15], v[14:15], v[6:7]
	v_fmac_f64_e32 v[14:15], v[16:17], v[12:13]
	v_ldexp_f64 v[12:13], v[14:15], s15
	v_cndmask_b32_e32 v7, v13, v7, vcc
	v_cndmask_b32_e32 v6, v12, v6, vcc
	v_div_scale_f64 v[12:13], s[36:37], v[6:7], v[6:7], 1.0
	v_rcp_f64_e32 v[14:15], v[12:13]
	v_fma_f64 v[16:17], -v[12:13], v[14:15], 1.0
	v_fmac_f64_e32 v[14:15], v[14:15], v[16:17]
	v_fma_f64 v[16:17], -v[12:13], v[14:15], 1.0
	v_fmac_f64_e32 v[14:15], v[14:15], v[16:17]
	v_div_scale_f64 v[16:17], vcc, 1.0, v[6:7], 1.0
	v_mul_f64 v[18:19], v[16:17], v[14:15]
	v_fma_f64 v[12:13], -v[12:13], v[18:19], v[16:17]
	s_nop 1
	v_div_fmas_f64 v[12:13], v[12:13], v[14:15], v[18:19]
	v_div_fixup_f64 v[6:7], v[12:13], v[6:7], 1.0
	v_mul_f64 v[8:9], v[8:9], v[6:7]
	s_cbranch_execz .LBB252_16
	s_branch .LBB252_17
.LBB252_13:                             ;   in Loop: Header=BB252_9 Depth=1
	v_mov_b32_e32 v6, 0
	v_mov_b32_e32 v7, 0x3ff00000
	s_branch .LBB252_19
.LBB252_14:                             ;   in Loop: Header=BB252_9 Depth=1
                                        ; implicit-def: $vgpr4_vgpr5
                                        ; implicit-def: $vgpr6_vgpr7
                                        ; implicit-def: $vgpr8_vgpr9
	s_cbranch_execnz .LBB252_18
	s_branch .LBB252_19
.LBB252_15:                             ;   in Loop: Header=BB252_9 Depth=1
                                        ; implicit-def: $vgpr6_vgpr7
                                        ; implicit-def: $vgpr8_vgpr9
.LBB252_16:                             ;   in Loop: Header=BB252_9 Depth=1
	v_div_scale_f64 v[6:7], s[36:37], v[2:3], v[2:3], -v[4:5]
	v_rcp_f64_e32 v[8:9], v[6:7]
	v_div_scale_f64 v[12:13], vcc, -v[4:5], v[2:3], -v[4:5]
	v_fma_f64 v[14:15], -v[6:7], v[8:9], 1.0
	v_fmac_f64_e32 v[8:9], v[8:9], v[14:15]
	v_fma_f64 v[14:15], -v[6:7], v[8:9], 1.0
	v_fmac_f64_e32 v[8:9], v[8:9], v[14:15]
	v_mul_f64 v[14:15], v[12:13], v[8:9]
	v_fma_f64 v[6:7], -v[6:7], v[14:15], v[12:13]
	v_div_fmas_f64 v[6:7], v[6:7], v[8:9], v[14:15]
	v_div_fixup_f64 v[6:7], v[6:7], v[2:3], -v[4:5]
	v_fma_f64 v[8:9], v[6:7], v[6:7], 1.0
	v_cmp_gt_f64_e32 vcc, s[30:31], v[8:9]
	v_cndmask_b32_e64 v11, 0, 1, vcc
	v_lshlrev_b32_e32 v11, 8, v11
	v_ldexp_f64 v[8:9], v[8:9], v11
	v_rsq_f64_e32 v[12:13], v[8:9]
	s_and_b64 s[36:37], vcc, exec
	s_cselect_b32 s15, 0xffffff80, 0
	v_cmp_class_f64_e32 vcc, v[8:9], v1
	v_mul_f64 v[14:15], v[8:9], v[12:13]
	v_mul_f64 v[12:13], v[12:13], 0.5
	v_fma_f64 v[16:17], -v[12:13], v[14:15], 0.5
	v_fmac_f64_e32 v[14:15], v[14:15], v[16:17]
	v_fma_f64 v[18:19], -v[14:15], v[14:15], v[8:9]
	v_fmac_f64_e32 v[12:13], v[12:13], v[16:17]
	v_fmac_f64_e32 v[14:15], v[18:19], v[12:13]
	v_fma_f64 v[16:17], -v[14:15], v[14:15], v[8:9]
	v_fmac_f64_e32 v[14:15], v[16:17], v[12:13]
	v_ldexp_f64 v[12:13], v[14:15], s15
	v_cndmask_b32_e32 v9, v13, v9, vcc
	v_cndmask_b32_e32 v8, v12, v8, vcc
	v_div_scale_f64 v[12:13], s[36:37], v[8:9], v[8:9], 1.0
	v_rcp_f64_e32 v[14:15], v[12:13]
	v_fma_f64 v[16:17], -v[12:13], v[14:15], 1.0
	v_fmac_f64_e32 v[14:15], v[14:15], v[16:17]
	v_fma_f64 v[16:17], -v[12:13], v[14:15], 1.0
	v_fmac_f64_e32 v[14:15], v[14:15], v[16:17]
	v_div_scale_f64 v[16:17], vcc, 1.0, v[8:9], 1.0
	v_mul_f64 v[18:19], v[16:17], v[14:15]
	v_fma_f64 v[12:13], -v[12:13], v[18:19], v[16:17]
	s_nop 1
	v_div_fmas_f64 v[12:13], v[12:13], v[14:15], v[18:19]
	v_div_fixup_f64 v[8:9], v[12:13], v[8:9], 1.0
	v_mul_f64 v[6:7], v[6:7], v[8:9]
.LBB252_17:                             ;   in Loop: Header=BB252_9 Depth=1
	v_mul_f64 v[12:13], v[2:3], v[8:9]
	v_fma_f64 v[4:5], v[4:5], v[6:7], -v[12:13]
	s_branch .LBB252_19
.LBB252_18:                             ;   in Loop: Header=BB252_9 Depth=1
	v_xor_b32_e32 v3, 0x80000000, v3
	v_mov_b32_e32 v8, 0
	v_pk_mov_b32 v[6:7], 0, 0
	v_mov_b32_e32 v9, 0x3ff00000
	v_pk_mov_b32 v[4:5], v[2:3], v[2:3] op_sel:[0,1]
.LBB252_19:                             ;   in Loop: Header=BB252_9 Depth=1
	global_load_dwordx2 v[12:13], v10, s[12:13]
	s_andn2_b64 vcc, exec, s[18:19]
	global_store_dwordx2 v10, v[4:5], s[12:13] offset:-8
	global_load_dwordx2 v[2:3], v10, s[28:29]
	s_waitcnt vmcnt(2)
	v_mul_f64 v[4:5], v[12:13], -v[8:9]
	global_store_dwordx2 v10, v[4:5], s[28:29] offset:-8
	global_load_dwordx2 v[4:5], v10, s[12:13]
	s_cbranch_vccnz .LBB252_8
; %bb.20:                               ;   in Loop: Header=BB252_9 Depth=1
	s_add_i32 s16, s20, s10
	s_lshl_b64 s[36:37], s[16:17], 3
	s_add_u32 s36, s26, s36
	s_addc_u32 s37, s27, s37
	global_store_dwordx2 v10, v[6:7], s[34:35]
	global_store_dwordx2 v10, v[8:9], s[36:37]
	s_branch .LBB252_8
.LBB252_21:
	s_ashr_i32 s15, s14, 31
	s_lshl_b64 s[12:13], s[14:15], 3
	s_add_u32 s2, s2, s12
	s_addc_u32 s3, s3, s13
	v_mov_b32_e32 v1, 0
	global_store_dwordx2 v1, v[4:5], s[2:3]
.LBB252_22:
	s_or_b64 exec, exec, s[0:1]
	v_cmp_gt_i32_e32 vcc, s21, v0
	s_barrier
	s_and_saveexec_b64 s[2:3], vcc
	s_cbranch_execz .LBB252_28
; %bb.23:
	s_load_dword s10, s[4:5], 0x8c
	s_add_i32 s28, s20, -1
	s_cmp_gt_i32 s20, 1
	s_cselect_b64 s[0:1], -1, 0
	s_mul_i32 s18, s28, s11
	s_waitcnt lgkmcnt(0)
	s_and_b32 s29, s10, 0xffff
	s_add_u32 s12, s8, 32
	s_addc_u32 s13, s23, 0
	s_ashr_i32 s19, s18, 31
	s_ashr_i32 s15, s11, 31
	s_mov_b32 s14, s11
	s_lshl_b64 s[10:11], s[14:15], 4
	s_mov_b32 s15, 0
	s_mov_b32 s14, s20
	v_cndmask_b32_e64 v2, 0, 1, s[0:1]
	s_lshl_b64 s[18:19], s[18:19], 4
	s_lshl_b64 s[14:15], s[14:15], 3
	s_mov_b64 s[16:17], 0
	v_mov_b32_e32 v1, s25
	v_cmp_ne_u32_e64 s[0:1], 1, v2
	v_mov_b32_e32 v12, 0
	v_mov_b32_e32 v13, s19
	v_mov_b32_e32 v6, v0
	s_branch .LBB252_25
.LBB252_24:                             ;   in Loop: Header=BB252_25 Depth=1
	v_add_co_u32_e32 v8, vcc, s18, v8
	v_addc_co_u32_e32 v9, vcc, v9, v13, vcc
	v_add_u32_e32 v6, s29, v6
	v_cmp_le_i32_e32 vcc, s21, v6
	s_or_b64 s[16:17], vcc, s[16:17]
	s_waitcnt vmcnt(0) lgkmcnt(0)
	flat_store_dwordx4 v[8:9], v[2:5]
	s_andn2_b64 exec, exec, s[16:17]
	s_cbranch_execz .LBB252_28
.LBB252_25:                             ; =>This Loop Header: Depth=1
                                        ;     Child Loop BB252_27 Depth 2
	v_ashrrev_i32_e32 v7, 31, v6
	v_lshlrev_b64 v[2:3], 4, v[6:7]
	v_add_co_u32_e32 v8, vcc, s24, v2
	v_addc_co_u32_e32 v9, vcc, v1, v3, vcc
	flat_load_dwordx4 v[2:5], v[8:9]
	s_and_b64 vcc, exec, s[0:1]
	s_cbranch_vccnz .LBB252_24
; %bb.26:                               ;   in Loop: Header=BB252_25 Depth=1
	s_mov_b32 s19, s28
	s_mov_b64 s[26:27], s[12:13]
	v_pk_mov_b32 v[10:11], v[8:9], v[8:9] op_sel:[0,1]
.LBB252_27:                             ;   Parent Loop BB252_25 Depth=1
                                        ; =>  This Inner Loop Header: Depth=2
	v_mov_b32_e32 v7, s11
	v_add_co_u32_e32 v22, vcc, s10, v10
	v_addc_co_u32_e32 v23, vcc, v11, v7, vcc
	s_add_u32 s30, s26, s14
	flat_load_dwordx4 v[14:17], v[22:23]
	s_addc_u32 s31, s27, s15
	global_load_dwordx2 v[24:25], v12, s[30:31]
	global_load_dwordx2 v[26:27], v12, s[26:27]
	s_add_u32 s26, s26, 8
	s_addc_u32 s27, s27, 0
	s_add_i32 s19, s19, -1
	s_cmp_lg_u32 s19, 0
	s_waitcnt vmcnt(0) lgkmcnt(0)
	v_mul_f64 v[18:19], v[14:15], v[24:25]
	v_mul_f64 v[20:21], v[16:17], v[24:25]
	v_fma_f64 v[18:19], v[2:3], v[26:27], -v[18:19]
	v_fma_f64 v[20:21], v[4:5], v[26:27], -v[20:21]
	v_mul_f64 v[2:3], v[2:3], v[24:25]
	v_mul_f64 v[4:5], v[4:5], v[24:25]
	flat_store_dwordx4 v[10:11], v[18:21]
	v_fmac_f64_e32 v[2:3], v[14:15], v[26:27]
	v_fmac_f64_e32 v[4:5], v[16:17], v[26:27]
	v_pk_mov_b32 v[10:11], v[22:23], v[22:23] op_sel:[0,1]
	s_cbranch_scc1 .LBB252_27
	s_branch .LBB252_24
.LBB252_28:
	s_or_b64 exec, exec, s[2:3]
	v_cmp_gt_i32_e32 vcc, s22, v0
	s_and_saveexec_b64 s[0:1], vcc
	s_cbranch_execz .LBB252_34
; %bb.29:
	s_load_dword s3, s[4:5], 0x8c
	s_add_i32 s2, s20, -1
	s_cmp_gt_i32 s20, 1
	s_cselect_b64 s[0:1], -1, 0
	s_mov_b32 s21, 0
	s_waitcnt lgkmcnt(0)
	s_and_b32 s18, s3, 0xffff
	s_add_u32 s4, s8, 32
	s_addc_u32 s5, s23, 0
	s_ashr_i32 s3, s2, 31
	v_cndmask_b32_e64 v2, 0, 1, s[0:1]
	v_mul_lo_u32 v6, v0, s9
	s_mul_i32 s8, s9, s18
	s_lshl_b64 s[10:11], s[20:21], 3
	s_mov_b64 s[12:13], 0
	v_mov_b32_e32 v1, s7
	v_cmp_ne_u32_e64 s[0:1], 1, v2
	v_mov_b32_e32 v12, 0
	s_lshl_b64 s[14:15], s[2:3], 4
	s_branch .LBB252_31
.LBB252_30:                             ;   in Loop: Header=BB252_31 Depth=1
	v_mov_b32_e32 v7, s15
	v_add_co_u32_e32 v8, vcc, s14, v8
	v_addc_co_u32_e32 v9, vcc, v9, v7, vcc
	v_add_u32_e32 v0, s18, v0
	v_cmp_le_i32_e32 vcc, s22, v0
	s_or_b64 s[12:13], vcc, s[12:13]
	v_add_u32_e32 v6, s8, v6
	s_waitcnt vmcnt(0) lgkmcnt(0)
	flat_store_dwordx4 v[8:9], v[2:5]
	s_andn2_b64 exec, exec, s[12:13]
	s_cbranch_execz .LBB252_34
.LBB252_31:                             ; =>This Loop Header: Depth=1
                                        ;     Child Loop BB252_33 Depth 2
	v_mul_lo_u32 v2, v0, s9
	v_ashrrev_i32_e32 v3, 31, v2
	v_lshlrev_b64 v[2:3], 4, v[2:3]
	v_add_co_u32_e32 v8, vcc, s6, v2
	v_addc_co_u32_e32 v9, vcc, v1, v3, vcc
	flat_load_dwordx4 v[2:5], v[8:9]
	s_and_b64 vcc, exec, s[0:1]
	s_cbranch_vccnz .LBB252_30
; %bb.32:                               ;   in Loop: Header=BB252_31 Depth=1
	v_ashrrev_i32_e32 v7, 31, v6
	v_lshlrev_b64 v[10:11], 4, v[6:7]
	v_add_co_u32_e32 v10, vcc, s6, v10
	v_addc_co_u32_e32 v11, vcc, v1, v11, vcc
	s_mov_b32 s3, s2
	s_mov_b64 s[16:17], s[4:5]
.LBB252_33:                             ;   Parent Loop BB252_31 Depth=1
                                        ; =>  This Inner Loop Header: Depth=2
	s_add_u32 s20, s16, s10
	s_addc_u32 s21, s17, s11
	flat_load_dwordx4 v[14:17], v[10:11] offset:16
	global_load_dwordx2 v[22:23], v12, s[16:17]
	global_load_dwordx2 v[24:25], v12, s[20:21]
	v_add_co_u32_e32 v26, vcc, 16, v10
	s_add_u32 s16, s16, 8
	v_addc_co_u32_e32 v27, vcc, 0, v11, vcc
	s_addc_u32 s17, s17, 0
	s_add_i32 s3, s3, -1
	s_cmp_lg_u32 s3, 0
	s_waitcnt vmcnt(0) lgkmcnt(0)
	v_mul_f64 v[18:19], v[14:15], v[24:25]
	v_mul_f64 v[20:21], v[16:17], v[24:25]
	v_fma_f64 v[18:19], v[2:3], v[22:23], -v[18:19]
	v_fma_f64 v[20:21], v[4:5], v[22:23], -v[20:21]
	v_mul_f64 v[2:3], v[2:3], v[24:25]
	v_mul_f64 v[4:5], v[4:5], v[24:25]
	flat_store_dwordx4 v[10:11], v[18:21]
	v_fmac_f64_e32 v[2:3], v[14:15], v[22:23]
	v_fmac_f64_e32 v[4:5], v[16:17], v[22:23]
	v_pk_mov_b32 v[10:11], v[26:27], v[26:27] op_sel:[0,1]
	s_cbranch_scc1 .LBB252_33
	s_branch .LBB252_30
.LBB252_34:
	s_endpgm
	.section	.rodata,"a",@progbits
	.p2align	6, 0x0
	.amdhsa_kernel _ZN9rocsolver6v33100L17bdsqr_lower2upperI19rocblas_complex_numIdEdPS3_S4_EEviiiPT0_lS6_lT1_iilT2_iilPiS6_lS9_
		.amdhsa_group_segment_fixed_size 0
		.amdhsa_private_segment_fixed_size 0
		.amdhsa_kernarg_size 384
		.amdhsa_user_sgpr_count 6
		.amdhsa_user_sgpr_private_segment_buffer 1
		.amdhsa_user_sgpr_dispatch_ptr 0
		.amdhsa_user_sgpr_queue_ptr 0
		.amdhsa_user_sgpr_kernarg_segment_ptr 1
		.amdhsa_user_sgpr_dispatch_id 0
		.amdhsa_user_sgpr_flat_scratch_init 0
		.amdhsa_user_sgpr_kernarg_preload_length 0
		.amdhsa_user_sgpr_kernarg_preload_offset 0
		.amdhsa_user_sgpr_private_segment_size 0
		.amdhsa_uses_dynamic_stack 0
		.amdhsa_system_sgpr_private_segment_wavefront_offset 0
		.amdhsa_system_sgpr_workgroup_id_x 1
		.amdhsa_system_sgpr_workgroup_id_y 1
		.amdhsa_system_sgpr_workgroup_id_z 0
		.amdhsa_system_sgpr_workgroup_info 0
		.amdhsa_system_vgpr_workitem_id 0
		.amdhsa_next_free_vgpr 28
		.amdhsa_next_free_sgpr 38
		.amdhsa_accum_offset 28
		.amdhsa_reserve_vcc 1
		.amdhsa_reserve_flat_scratch 0
		.amdhsa_float_round_mode_32 0
		.amdhsa_float_round_mode_16_64 0
		.amdhsa_float_denorm_mode_32 3
		.amdhsa_float_denorm_mode_16_64 3
		.amdhsa_dx10_clamp 1
		.amdhsa_ieee_mode 1
		.amdhsa_fp16_overflow 0
		.amdhsa_tg_split 0
		.amdhsa_exception_fp_ieee_invalid_op 0
		.amdhsa_exception_fp_denorm_src 0
		.amdhsa_exception_fp_ieee_div_zero 0
		.amdhsa_exception_fp_ieee_overflow 0
		.amdhsa_exception_fp_ieee_underflow 0
		.amdhsa_exception_fp_ieee_inexact 0
		.amdhsa_exception_int_div_zero 0
	.end_amdhsa_kernel
	.section	.text._ZN9rocsolver6v33100L17bdsqr_lower2upperI19rocblas_complex_numIdEdPS3_S4_EEviiiPT0_lS6_lT1_iilT2_iilPiS6_lS9_,"axG",@progbits,_ZN9rocsolver6v33100L17bdsqr_lower2upperI19rocblas_complex_numIdEdPS3_S4_EEviiiPT0_lS6_lT1_iilT2_iilPiS6_lS9_,comdat
.Lfunc_end252:
	.size	_ZN9rocsolver6v33100L17bdsqr_lower2upperI19rocblas_complex_numIdEdPS3_S4_EEviiiPT0_lS6_lT1_iilT2_iilPiS6_lS9_, .Lfunc_end252-_ZN9rocsolver6v33100L17bdsqr_lower2upperI19rocblas_complex_numIdEdPS3_S4_EEviiiPT0_lS6_lT1_iilT2_iilPiS6_lS9_
                                        ; -- End function
	.section	.AMDGPU.csdata,"",@progbits
; Kernel info:
; codeLenInByte = 2144
; NumSgprs: 42
; NumVgprs: 28
; NumAgprs: 0
; TotalNumVgprs: 28
; ScratchSize: 0
; MemoryBound: 0
; FloatMode: 240
; IeeeMode: 1
; LDSByteSize: 0 bytes/workgroup (compile time only)
; SGPRBlocks: 5
; VGPRBlocks: 3
; NumSGPRsForWavesPerEU: 42
; NumVGPRsForWavesPerEU: 28
; AccumOffset: 28
; Occupancy: 8
; WaveLimiterHint : 0
; COMPUTE_PGM_RSRC2:SCRATCH_EN: 0
; COMPUTE_PGM_RSRC2:USER_SGPR: 6
; COMPUTE_PGM_RSRC2:TRAP_HANDLER: 0
; COMPUTE_PGM_RSRC2:TGID_X_EN: 1
; COMPUTE_PGM_RSRC2:TGID_Y_EN: 1
; COMPUTE_PGM_RSRC2:TGID_Z_EN: 0
; COMPUTE_PGM_RSRC2:TIDIG_COMP_CNT: 0
; COMPUTE_PGM_RSRC3_GFX90A:ACCUM_OFFSET: 6
; COMPUTE_PGM_RSRC3_GFX90A:TG_SPLIT: 0
	.section	.text._ZN9rocsolver6v33100L13bdsqr_computeILi256E19rocblas_complex_numIdEdPS3_S4_S4_EEviiiiPT1_lS6_lT2_iilT3_iilT4_iiliS5_S5_S5_S5_PiS6_ilSA_,"axG",@progbits,_ZN9rocsolver6v33100L13bdsqr_computeILi256E19rocblas_complex_numIdEdPS3_S4_S4_EEviiiiPT1_lS6_lT2_iilT3_iilT4_iiliS5_S5_S5_S5_PiS6_ilSA_,comdat
	.globl	_ZN9rocsolver6v33100L13bdsqr_computeILi256E19rocblas_complex_numIdEdPS3_S4_S4_EEviiiiPT1_lS6_lT2_iilT3_iilT4_iiliS5_S5_S5_S5_PiS6_ilSA_ ; -- Begin function _ZN9rocsolver6v33100L13bdsqr_computeILi256E19rocblas_complex_numIdEdPS3_S4_S4_EEviiiiPT1_lS6_lT2_iilT3_iilT4_iiliS5_S5_S5_S5_PiS6_ilSA_
	.p2align	8
	.type	_ZN9rocsolver6v33100L13bdsqr_computeILi256E19rocblas_complex_numIdEdPS3_S4_S4_EEviiiiPT1_lS6_lT2_iilT3_iilT4_iiliS5_S5_S5_S5_PiS6_ilSA_,@function
_ZN9rocsolver6v33100L13bdsqr_computeILi256E19rocblas_complex_numIdEdPS3_S4_S4_EEviiiiPT1_lS6_lT2_iilT3_iilT4_iiliS5_S5_S5_S5_PiS6_ilSA_: ; @_ZN9rocsolver6v33100L13bdsqr_computeILi256E19rocblas_complex_numIdEdPS3_S4_S4_EEviiiiPT1_lS6_lT2_iilT3_iilT4_iiliS5_S5_S5_S5_PiS6_ilSA_
; %bb.0:
	s_load_dwordx4 s[0:3], s[4:5], 0xb8
	s_ashr_i32 s9, s8, 31
	s_lshl_b64 s[10:11], s[8:9], 2
	s_waitcnt lgkmcnt(0)
	s_add_u32 s2, s2, s10
	s_addc_u32 s3, s3, s11
	s_load_dword s2, s[2:3], 0x8
	s_waitcnt lgkmcnt(0)
	s_cmp_lg_u32 s2, 0
	s_cbranch_scc1 .LBB253_180
; %bb.1:
	s_load_dwordx8 s[20:27], s[4:5], 0x30
	s_mov_b64 s[34:35], 0
	s_mov_b64 s[48:49], 0
	s_waitcnt lgkmcnt(0)
	s_cmp_eq_u64 s[20:21], 0
	s_cbranch_scc1 .LBB253_3
; %bb.2:
	s_mul_i32 s6, s8, s25
	s_mul_hi_u32 s10, s8, s24
	s_add_i32 s6, s10, s6
	s_mul_i32 s10, s9, s24
	s_add_i32 s11, s6, s10
	s_mul_i32 s10, s8, s24
	s_ashr_i32 s3, s22, 31
	s_lshl_b64 s[10:11], s[10:11], 4
	s_mov_b32 s2, s22
	s_add_u32 s6, s20, s10
	s_addc_u32 s10, s21, s11
	s_lshl_b64 s[2:3], s[2:3], 4
	s_add_u32 s48, s6, s2
	s_addc_u32 s49, s10, s3
.LBB253_3:
	s_load_dwordx2 s[60:61], s[4:5], 0x50
	s_load_dwordx4 s[12:15], s[4:5], 0x58
	s_cmp_eq_u64 s[26:27], 0
	s_cbranch_scc1 .LBB253_5
; %bb.4:
	s_waitcnt lgkmcnt(0)
	s_mul_i32 s6, s8, s13
	s_mul_hi_u32 s10, s8, s12
	s_add_i32 s6, s10, s6
	s_mul_i32 s10, s9, s12
	s_add_i32 s11, s6, s10
	s_mul_i32 s10, s8, s12
	s_ashr_i32 s3, s60, 31
	s_lshl_b64 s[10:11], s[10:11], 4
	s_mov_b32 s2, s60
	s_add_u32 s6, s26, s10
	s_addc_u32 s10, s27, s11
	s_lshl_b64 s[2:3], s[2:3], 4
	s_add_u32 s34, s6, s2
	s_addc_u32 s35, s10, s3
.LBB253_5:
	s_load_dwordx2 s[50:51], s[4:5], 0x68
	s_waitcnt lgkmcnt(0)
	s_cmp_eq_u64 s[14:15], 0
	s_mov_b64 s[52:53], 0
	s_cbranch_scc1 .LBB253_7
; %bb.6:
	s_load_dwordx2 s[2:3], s[4:5], 0x70
	s_ashr_i32 s11, s50, 31
	s_mov_b32 s10, s50
	s_waitcnt lgkmcnt(0)
	s_mul_i32 s3, s8, s3
	s_mul_hi_u32 s6, s8, s2
	s_mul_i32 s12, s9, s2
	s_add_i32 s3, s6, s3
	s_add_i32 s3, s3, s12
	s_mul_i32 s2, s8, s2
	s_lshl_b64 s[2:3], s[2:3], 4
	s_add_u32 s6, s14, s2
	s_addc_u32 s12, s15, s3
	s_lshl_b64 s[2:3], s[10:11], 4
	s_add_u32 s52, s6, s2
	s_addc_u32 s53, s12, s3
.LBB253_7:
	s_load_dwordx8 s[24:31], s[4:5], 0x90
	s_mul_i32 s1, s8, s1
	s_mul_hi_u32 s2, s8, s0
	s_add_i32 s1, s2, s1
	s_mul_i32 s2, s9, s0
	s_add_i32 s1, s1, s2
	s_mul_i32 s0, s8, s0
	s_lshl_b64 s[10:11], s[0:1], 3
	s_waitcnt lgkmcnt(0)
	s_add_u32 s54, s30, s10
	s_addc_u32 s55, s31, s11
	s_load_dwordx2 s[0:1], s[54:55], 0x10
	s_waitcnt lgkmcnt(0)
	v_cvt_i32_f64_e32 v1, s[0:1]
	v_cmp_ge_i32_e32 vcc, s7, v1
	s_cbranch_vccnz .LBB253_180
; %bb.8:
	s_load_dwordx4 s[44:47], s[4:5], 0x0
	s_load_dwordx8 s[36:43], s[4:5], 0x10
                                        ; implicit-def: $vgpr44 : SGPR spill to VGPR lane
	v_lshlrev_b32_e32 v18, 3, v0
	v_mul_lo_u32 v23, v0, s23
	v_mul_lo_u32 v25, v0, s51
	s_waitcnt lgkmcnt(0)
	s_mul_i32 s0, s8, s44
	s_lshl_b32 s0, s0, 1
	s_ashr_i32 s1, s0, 31
	s_lshl_b64 s[0:1], s[0:1], 2
	s_mul_i32 s2, s8, s39
	s_mul_hi_u32 s3, s8, s38
	s_add_u32 s6, s28, s0
	s_addc_u32 s20, s29, s1
	s_add_i32 s0, s3, s2
	s_mul_i32 s1, s9, s38
	s_add_i32 s1, s0, s1
	s_mul_i32 s0, s8, s38
	s_lshl_b64 s[0:1], s[0:1], 3
	s_add_u32 s22, s36, s0
	s_addc_u32 s33, s37, s1
	s_mul_i32 s0, s8, s43
	s_mul_hi_u32 s1, s8, s42
	s_add_i32 s0, s1, s0
	s_mul_i32 s1, s9, s42
	s_add_i32 s1, s0, s1
	s_mul_i32 s0, s8, s42
	v_writelane_b32 v44, s0, 0
	s_lshl_b64 s[12:13], s[0:1], 3
	s_add_u32 s44, s40, s12
	s_addc_u32 s50, s41, s13
	s_cmp_lg_u32 s45, 0
	s_cselect_b64 s[36:37], -1, 0
	s_or_b32 s8, s47, s46
	s_cmp_eq_u32 s8, 0
	v_writelane_b32 v44, s1, 1
	s_cselect_b64 s[8:9], -1, 0
	v_writelane_b32 v44, s8, 2
	s_cmp_lg_u64 s[48:49], 0
	v_writelane_b32 v44, s9, 3
	s_cselect_b64 s[8:9], -1, 0
	s_and_b64 s[90:91], s[36:37], s[8:9]
	s_add_u32 s56, s4, 0xc8
	s_addc_u32 s57, s5, 0
	s_cmp_lg_u64 s[34:35], 0
	s_cselect_b64 s[8:9], -1, 0
	s_cmp_lg_u32 s46, 0
	s_cselect_b64 s[14:15], -1, 0
	s_and_b64 s[94:95], s[14:15], s[8:9]
	s_cmp_lg_u64 s[52:53], 0
	s_cselect_b64 s[8:9], -1, 0
	s_cmp_lg_u32 s47, 0
	s_cselect_b64 s[14:15], -1, 0
	s_and_b64 s[8:9], s[14:15], s[8:9]
	v_writelane_b32 v44, s8, 4
	v_writelane_b32 v44, s9, 5
	s_add_u32 s8, s22, -8
	v_writelane_b32 v44, s8, 6
	s_addc_u32 s8, s33, -1
	v_writelane_b32 v44, s8, 7
	s_add_u32 s8, s30, s10
	s_addc_u32 s9, s31, s11
	v_writelane_b32 v44, s8, 8
	s_add_u32 s8, s8, 24
	v_writelane_b32 v44, s8, 9
	v_writelane_b32 v44, s9, 10
	s_addc_u32 s8, s9, 0
	v_writelane_b32 v44, s8, 11
	v_cmp_gt_i32_e64 s[8:9], s46, v0
	v_writelane_b32 v44, s8, 12
	v_writelane_b32 v44, s9, 13
	v_cmp_gt_i32_e64 s[8:9], s47, v0
	v_writelane_b32 v44, s8, 14
	v_writelane_b32 v44, s9, 15
	s_load_dword s8, s[4:5], 0x78
	s_load_dwordx2 s[14:15], s[4:5], 0x80
	s_add_u32 s10, s40, -8
	s_load_dword s60, s[4:5], 0xb0
	s_load_dword s9, s[4:5], 0xcc
	s_addc_u32 s11, s41, -1
	v_mov_b32_e32 v2, s33
	s_waitcnt lgkmcnt(0)
	v_writelane_b32 v44, s14, 16
	v_add_co_u32_e32 v19, vcc, s22, v18
	v_writelane_b32 v44, s15, 17
	v_addc_co_u32_e32 v20, vcc, 0, v2, vcc
	v_writelane_b32 v44, s10, 18
	s_add_u32 s4, s10, s12
	s_movk_i32 s0, 0x80
	v_mov_b32_e32 v2, s50
	v_add_co_u32_e32 v21, vcc, s44, v18
	v_writelane_b32 v44, s4, 19
	s_mov_b32 s40, 0
	v_cmp_gt_u32_e64 s[0:1], s0, v0
	v_cmp_gt_u32_e64 s[2:3], 64, v0
	v_cmp_eq_u32_e64 s[16:17], 0, v0
	v_cmp_gt_i32_e64 s[92:93], s45, v0
	v_addc_co_u32_e32 v22, vcc, 0, v2, vcc
	v_mov_b32_e32 v6, 0
	v_writelane_b32 v44, s11, 20
	s_addc_u32 s4, s11, s13
	v_add_u32_e32 v24, -1, v23
	v_add_u32_e32 v26, -1, v25
	v_mov_b32_e32 v27, 0x260
	v_mov_b32_e32 v28, 1
	s_brev_b32 s41, 8
	v_writelane_b32 v44, s4, 21
	s_branch .LBB253_11
.LBB253_9:                              ;   in Loop: Header=BB253_11 Depth=1
	s_or_b64 exec, exec, s[12:13]
.LBB253_10:                             ;   in Loop: Header=BB253_11 Depth=1
	s_add_i32 s7, s9, s7
	v_cmp_lt_i32_e32 vcc, s7, v1
	s_cbranch_vccz .LBB253_180
.LBB253_11:                             ; =>This Loop Header: Depth=1
                                        ;     Child Loop BB253_15 Depth 2
                                        ;     Child Loop BB253_40 Depth 2
	;; [unrolled: 1-line block ×5, first 2 shown]
                                        ;       Child Loop BB253_163 Depth 3
                                        ;     Child Loop BB253_169 Depth 2
                                        ;       Child Loop BB253_171 Depth 3
                                        ;     Child Loop BB253_177 Depth 2
                                        ;       Child Loop BB253_179 Depth 3
	s_lshl_b32 s4, s7, 2
	s_ashr_i32 s5, s4, 31
	s_lshl_b64 s[4:5], s[4:5], 2
	s_add_u32 s12, s6, s4
	s_addc_u32 s13, s20, s5
	global_load_dwordx2 v[2:3], v6, s[12:13] offset:4
	s_waitcnt vmcnt(0)
	v_readfirstlane_b32 s66, v2
	v_readfirstlane_b32 s64, v3
	s_cmp_le_i32 s64, s66
	s_cbranch_scc1 .LBB253_10
; %bb.12:                               ;   in Loop: Header=BB253_11 Depth=1
	global_load_dword v2, v6, s[12:13] offset:12
	s_waitcnt vmcnt(0)
	v_cmp_le_i32_e32 vcc, s8, v2
	s_cbranch_vccnz .LBB253_10
; %bb.13:                               ;   in Loop: Header=BB253_11 Depth=1
	s_sub_i32 s62, s64, s66
	s_ashr_i32 s67, s66, 31
	v_cmp_ge_i32_e32 vcc, s62, v0
	v_pk_mov_b32 v[2:3], 0, 0
	s_and_saveexec_b64 s[4:5], vcc
	s_cbranch_execz .LBB253_17
; %bb.14:                               ;   in Loop: Header=BB253_11 Depth=1
	s_lshl_b64 s[10:11], s[66:67], 3
	v_mov_b32_e32 v2, s11
	v_add_co_u32_e32 v4, vcc, s10, v19
	v_addc_co_u32_e32 v5, vcc, v20, v2, vcc
	s_mov_b64 s[14:15], 0
	v_pk_mov_b32 v[2:3], 0, 0
	v_mov_b32_e32 v7, v0
.LBB253_15:                             ;   Parent Loop BB253_11 Depth=1
                                        ; =>  This Inner Loop Header: Depth=2
	global_load_dwordx2 v[8:9], v[4:5], off
	v_add_co_u32_e32 v4, vcc, 0x800, v4
	v_add_u32_e32 v7, 0x100, v7
	v_addc_co_u32_e32 v5, vcc, 0, v5, vcc
	v_cmp_lt_i32_e32 vcc, s62, v7
	s_or_b64 s[14:15], vcc, s[14:15]
	s_waitcnt vmcnt(0)
	v_and_b32_e32 v10, 0x7fffffff, v9
	v_cmp_lt_f64_e64 vcc, v[2:3], |v[8:9]|
	v_cndmask_b32_e32 v3, v3, v10, vcc
	v_cndmask_b32_e32 v2, v2, v8, vcc
	s_andn2_b64 exec, exec, s[14:15]
	s_cbranch_execnz .LBB253_15
; %bb.16:                               ;   in Loop: Header=BB253_11 Depth=1
	s_or_b64 exec, exec, s[14:15]
.LBB253_17:                             ;   in Loop: Header=BB253_11 Depth=1
	s_or_b64 exec, exec, s[4:5]
	s_cmp_lt_i32 s62, 1
	ds_write_b64 v18, v[2:3]
	s_waitcnt lgkmcnt(0)
	s_barrier
	s_cbranch_scc1 .LBB253_38
; %bb.18:                               ;   in Loop: Header=BB253_11 Depth=1
	s_and_saveexec_b64 s[4:5], s[0:1]
	s_cbranch_execz .LBB253_22
; %bb.19:                               ;   in Loop: Header=BB253_11 Depth=1
	ds_read_b64 v[4:5], v18 offset:1024
	s_waitcnt lgkmcnt(0)
	v_cmp_lt_f64_e32 vcc, v[2:3], v[4:5]
	s_and_saveexec_b64 s[14:15], vcc
	s_cbranch_execz .LBB253_21
; %bb.20:                               ;   in Loop: Header=BB253_11 Depth=1
	v_pk_mov_b32 v[2:3], v[4:5], v[4:5] op_sel:[0,1]
	ds_write_b64 v18, v[4:5]
.LBB253_21:                             ;   in Loop: Header=BB253_11 Depth=1
	s_or_b64 exec, exec, s[14:15]
.LBB253_22:                             ;   in Loop: Header=BB253_11 Depth=1
	s_or_b64 exec, exec, s[4:5]
	s_waitcnt lgkmcnt(0)
	s_barrier
	s_and_saveexec_b64 s[4:5], s[2:3]
	s_cbranch_execz .LBB253_37
; %bb.23:                               ;   in Loop: Header=BB253_11 Depth=1
	ds_read_b64 v[4:5], v18 offset:512
	s_waitcnt lgkmcnt(0)
	v_cmp_lt_f64_e32 vcc, v[2:3], v[4:5]
	s_and_saveexec_b64 s[14:15], vcc
	s_cbranch_execz .LBB253_25
; %bb.24:                               ;   in Loop: Header=BB253_11 Depth=1
	v_pk_mov_b32 v[2:3], v[4:5], v[4:5] op_sel:[0,1]
	ds_write_b64 v18, v[4:5]
.LBB253_25:                             ;   in Loop: Header=BB253_11 Depth=1
	s_or_b64 exec, exec, s[14:15]
	ds_read_b64 v[4:5], v18 offset:256
	s_waitcnt lgkmcnt(0)
	v_cmp_lt_f64_e32 vcc, v[2:3], v[4:5]
	s_and_saveexec_b64 s[14:15], vcc
	s_cbranch_execz .LBB253_27
; %bb.26:                               ;   in Loop: Header=BB253_11 Depth=1
	v_pk_mov_b32 v[2:3], v[4:5], v[4:5] op_sel:[0,1]
	ds_write_b64 v18, v[4:5]
.LBB253_27:                             ;   in Loop: Header=BB253_11 Depth=1
	s_or_b64 exec, exec, s[14:15]
	ds_read_b64 v[4:5], v18 offset:128
	s_waitcnt lgkmcnt(0)
	v_cmp_lt_f64_e32 vcc, v[2:3], v[4:5]
	s_and_saveexec_b64 s[14:15], vcc
	s_cbranch_execz .LBB253_29
; %bb.28:                               ;   in Loop: Header=BB253_11 Depth=1
	v_pk_mov_b32 v[2:3], v[4:5], v[4:5] op_sel:[0,1]
	ds_write_b64 v18, v[4:5]
.LBB253_29:                             ;   in Loop: Header=BB253_11 Depth=1
	s_or_b64 exec, exec, s[14:15]
	ds_read_b64 v[4:5], v18 offset:64
	s_waitcnt lgkmcnt(0)
	v_cmp_lt_f64_e32 vcc, v[2:3], v[4:5]
	s_and_saveexec_b64 s[14:15], vcc
	s_cbranch_execz .LBB253_31
; %bb.30:                               ;   in Loop: Header=BB253_11 Depth=1
	v_pk_mov_b32 v[2:3], v[4:5], v[4:5] op_sel:[0,1]
	ds_write_b64 v18, v[4:5]
.LBB253_31:                             ;   in Loop: Header=BB253_11 Depth=1
	s_or_b64 exec, exec, s[14:15]
	ds_read_b64 v[4:5], v18 offset:32
	s_waitcnt lgkmcnt(0)
	v_cmp_lt_f64_e32 vcc, v[2:3], v[4:5]
	s_and_saveexec_b64 s[14:15], vcc
	s_cbranch_execz .LBB253_33
; %bb.32:                               ;   in Loop: Header=BB253_11 Depth=1
	v_pk_mov_b32 v[2:3], v[4:5], v[4:5] op_sel:[0,1]
	ds_write_b64 v18, v[4:5]
.LBB253_33:                             ;   in Loop: Header=BB253_11 Depth=1
	s_or_b64 exec, exec, s[14:15]
	ds_read_b64 v[4:5], v18 offset:16
	s_waitcnt lgkmcnt(0)
	v_cmp_lt_f64_e32 vcc, v[2:3], v[4:5]
	s_and_saveexec_b64 s[14:15], vcc
	s_cbranch_execz .LBB253_35
; %bb.34:                               ;   in Loop: Header=BB253_11 Depth=1
	v_pk_mov_b32 v[2:3], v[4:5], v[4:5] op_sel:[0,1]
	ds_write_b64 v18, v[4:5]
.LBB253_35:                             ;   in Loop: Header=BB253_11 Depth=1
	s_or_b64 exec, exec, s[14:15]
	ds_read_b64 v[4:5], v18 offset:8
	s_waitcnt lgkmcnt(0)
	v_cmp_lt_f64_e32 vcc, v[2:3], v[4:5]
	s_and_b64 exec, exec, vcc
	s_cbranch_execz .LBB253_37
; %bb.36:                               ;   in Loop: Header=BB253_11 Depth=1
	ds_write_b64 v18, v[4:5]
.LBB253_37:                             ;   in Loop: Header=BB253_11 Depth=1
	s_or_b64 exec, exec, s[4:5]
.LBB253_38:                             ;   in Loop: Header=BB253_11 Depth=1
	v_cmp_gt_i32_e32 vcc, s62, v0
	v_pk_mov_b32 v[2:3], 0, 0
	s_waitcnt lgkmcnt(0)
	s_barrier
	s_and_saveexec_b64 s[4:5], vcc
	s_cbranch_execz .LBB253_42
; %bb.39:                               ;   in Loop: Header=BB253_11 Depth=1
	s_lshl_b64 s[10:11], s[66:67], 3
	v_mov_b32_e32 v2, s11
	v_add_co_u32_e32 v4, vcc, s10, v21
	v_addc_co_u32_e32 v5, vcc, v22, v2, vcc
	s_mov_b64 s[14:15], 0
	v_pk_mov_b32 v[2:3], 0, 0
	v_mov_b32_e32 v7, v0
.LBB253_40:                             ;   Parent Loop BB253_11 Depth=1
                                        ; =>  This Inner Loop Header: Depth=2
	global_load_dwordx2 v[8:9], v[4:5], off
	v_add_co_u32_e32 v4, vcc, 0x800, v4
	v_add_u32_e32 v7, 0x100, v7
	v_addc_co_u32_e32 v5, vcc, 0, v5, vcc
	v_cmp_le_i32_e32 vcc, s62, v7
	s_or_b64 s[14:15], vcc, s[14:15]
	s_waitcnt vmcnt(0)
	v_and_b32_e32 v10, 0x7fffffff, v9
	v_cmp_lt_f64_e64 vcc, v[2:3], |v[8:9]|
	v_cndmask_b32_e32 v3, v3, v10, vcc
	v_cndmask_b32_e32 v2, v2, v8, vcc
	s_andn2_b64 exec, exec, s[14:15]
	s_cbranch_execnz .LBB253_40
; %bb.41:                               ;   in Loop: Header=BB253_11 Depth=1
	s_or_b64 exec, exec, s[14:15]
.LBB253_42:                             ;   in Loop: Header=BB253_11 Depth=1
	s_or_b64 exec, exec, s[4:5]
	s_cmp_lt_i32 s62, 2
	ds_write_b64 v18, v[2:3] offset:8
	s_waitcnt lgkmcnt(0)
	s_barrier
	s_cbranch_scc1 .LBB253_63
; %bb.43:                               ;   in Loop: Header=BB253_11 Depth=1
	s_and_saveexec_b64 s[4:5], s[0:1]
	s_cbranch_execz .LBB253_47
; %bb.44:                               ;   in Loop: Header=BB253_11 Depth=1
	ds_read_b64 v[4:5], v18 offset:1032
	s_waitcnt lgkmcnt(0)
	v_cmp_lt_f64_e32 vcc, v[2:3], v[4:5]
	s_and_saveexec_b64 s[14:15], vcc
	s_cbranch_execz .LBB253_46
; %bb.45:                               ;   in Loop: Header=BB253_11 Depth=1
	v_pk_mov_b32 v[2:3], v[4:5], v[4:5] op_sel:[0,1]
	ds_write_b64 v18, v[4:5] offset:8
.LBB253_46:                             ;   in Loop: Header=BB253_11 Depth=1
	s_or_b64 exec, exec, s[14:15]
.LBB253_47:                             ;   in Loop: Header=BB253_11 Depth=1
	s_or_b64 exec, exec, s[4:5]
	s_waitcnt lgkmcnt(0)
	s_barrier
	s_and_saveexec_b64 s[4:5], s[2:3]
	s_cbranch_execz .LBB253_62
; %bb.48:                               ;   in Loop: Header=BB253_11 Depth=1
	ds_read_b64 v[4:5], v18 offset:520
	s_waitcnt lgkmcnt(0)
	v_cmp_lt_f64_e32 vcc, v[2:3], v[4:5]
	s_and_saveexec_b64 s[14:15], vcc
	s_cbranch_execz .LBB253_50
; %bb.49:                               ;   in Loop: Header=BB253_11 Depth=1
	v_pk_mov_b32 v[2:3], v[4:5], v[4:5] op_sel:[0,1]
	ds_write_b64 v18, v[4:5] offset:8
.LBB253_50:                             ;   in Loop: Header=BB253_11 Depth=1
	s_or_b64 exec, exec, s[14:15]
	ds_read_b64 v[4:5], v18 offset:264
	s_waitcnt lgkmcnt(0)
	v_cmp_lt_f64_e32 vcc, v[2:3], v[4:5]
	s_and_saveexec_b64 s[14:15], vcc
	s_cbranch_execz .LBB253_52
; %bb.51:                               ;   in Loop: Header=BB253_11 Depth=1
	v_pk_mov_b32 v[2:3], v[4:5], v[4:5] op_sel:[0,1]
	ds_write_b64 v18, v[4:5] offset:8
.LBB253_52:                             ;   in Loop: Header=BB253_11 Depth=1
	s_or_b64 exec, exec, s[14:15]
	;; [unrolled: 10-line block ×6, first 2 shown]
	ds_read_b64 v[4:5], v18 offset:16
	s_waitcnt lgkmcnt(0)
	v_cmp_lt_f64_e32 vcc, v[2:3], v[4:5]
	s_and_b64 exec, exec, vcc
	s_cbranch_execz .LBB253_62
; %bb.61:                               ;   in Loop: Header=BB253_11 Depth=1
	ds_write_b64 v18, v[4:5] offset:8
.LBB253_62:                             ;   in Loop: Header=BB253_11 Depth=1
	s_or_b64 exec, exec, s[4:5]
.LBB253_63:                             ;   in Loop: Header=BB253_11 Depth=1
	s_lshl_b64 s[68:69], s[66:67], 3
	s_add_u32 s10, s44, s68
	s_addc_u32 s11, s50, s69
	s_add_u32 s14, s22, s68
	s_addc_u32 s15, s33, s69
	s_waitcnt lgkmcnt(0)
	s_barrier
	s_and_saveexec_b64 s[70:71], s[16:17]
	s_cbranch_execz .LBB253_78
; %bb.64:                               ;   in Loop: Header=BB253_11 Depth=1
	s_ashr_i32 s65, s64, 31
	s_lshl_b64 s[4:5], s[64:65], 3
	s_add_u32 s4, s22, s4
	s_addc_u32 s5, s33, s5
	global_load_dwordx2 v[2:3], v6, s[14:15]
	global_load_dwordx2 v[4:5], v6, s[4:5]
	s_ashr_i32 s63, s62, 31
	s_lshl_b64 s[4:5], s[62:63], 3
	s_add_u32 s21, s14, s4
	s_addc_u32 s28, s15, s5
	s_waitcnt vmcnt(0)
	v_cmp_ge_f64_e64 s[4:5], |v[2:3]|, |v[4:5]|
	s_and_b64 s[18:19], s[4:5], exec
	s_cselect_b32 s19, s15, s28
	s_cselect_b32 s18, s14, s21
	global_load_dwordx2 v[8:9], v6, s[18:19]
	v_cndmask_b32_e64 v7, 0, 1, s[4:5]
	s_cmp_lt_i32 s62, 1
	ds_write_b32 v6, v7 offset:2064
	s_waitcnt vmcnt(0)
	v_and_b32_e32 v9, 0x7fffffff, v9
	s_cbranch_scc1 .LBB253_71
; %bb.65:                               ;   in Loop: Header=BB253_11 Depth=1
	s_not_b32 s18, s66
	s_add_i32 s18, s18, s64
	s_mov_b32 s19, 0
	v_pk_mov_b32 v[10:11], v[8:9], v[8:9] op_sel:[0,1]
	s_branch .LBB253_67
.LBB253_66:                             ;   in Loop: Header=BB253_67 Depth=2
	s_add_i32 s19, s19, 1
	s_and_b64 s[28:29], s[4:5], exec
	s_cselect_b32 s28, s19, s18
	s_ashr_i32 s29, s28, 31
	s_lshl_b64 s[28:29], s[28:29], 3
	s_add_u32 s28, s14, s28
	s_addc_u32 s29, s15, s29
	global_load_dwordx2 v[14:15], v6, s[28:29]
	v_add_f64 v[12:13], v[10:11], |v[12:13]|
	v_div_scale_f64 v[16:17], s[28:29], v[12:13], v[12:13], v[10:11]
	v_rcp_f64_e32 v[30:31], v[16:17]
	v_div_scale_f64 v[32:33], vcc, v[10:11], v[12:13], v[10:11]
	s_add_i32 s18, s18, -1
	v_fma_f64 v[34:35], -v[16:17], v[30:31], 1.0
	v_fmac_f64_e32 v[30:31], v[30:31], v[34:35]
	v_fma_f64 v[34:35], -v[16:17], v[30:31], 1.0
	v_fmac_f64_e32 v[30:31], v[30:31], v[34:35]
	v_mul_f64 v[34:35], v[32:33], v[30:31]
	v_fma_f64 v[16:17], -v[16:17], v[34:35], v[32:33]
	v_div_fmas_f64 v[16:17], v[16:17], v[30:31], v[34:35]
	v_div_fixup_f64 v[10:11], v[16:17], v[12:13], v[10:11]
	s_cmp_eq_u32 s18, -1
	s_mov_b64 s[38:39], 0
	s_cselect_b64 s[72:73], -1, 0
	s_waitcnt vmcnt(0)
	v_mul_f64 v[10:11], v[10:11], |v[14:15]|
	v_cmp_lt_f64_e32 vcc, v[10:11], v[8:9]
	v_cndmask_b32_e32 v9, v9, v11, vcc
	v_cndmask_b32_e32 v8, v8, v10, vcc
	s_andn2_b64 vcc, exec, s[72:73]
	s_cbranch_vccz .LBB253_69
.LBB253_67:                             ;   Parent Loop BB253_11 Depth=1
                                        ; =>  This Inner Loop Header: Depth=2
	s_and_b64 s[28:29], s[4:5], exec
	s_cselect_b32 s28, s19, s18
	s_ashr_i32 s29, s28, 31
	s_lshl_b64 s[28:29], s[28:29], 3
	s_add_u32 s30, s10, s28
	s_addc_u32 s31, s11, s29
	global_load_dwordx2 v[12:13], v6, s[30:31]
	v_mul_f64 v[14:15], v[10:11], s[24:25]
	s_waitcnt vmcnt(0)
	v_cmp_nle_f64_e64 s[28:29], |v[12:13]|, v[14:15]
	s_and_b64 vcc, exec, s[28:29]
	s_cbranch_vccnz .LBB253_66
; %bb.68:                               ;   in Loop: Header=BB253_11 Depth=1
	s_mov_b64 s[38:39], -1
                                        ; implicit-def: $vgpr10_vgpr11
                                        ; implicit-def: $sgpr18
                                        ; implicit-def: $sgpr19
                                        ; implicit-def: $vgpr8_vgpr9
.LBB253_69:                             ;   in Loop: Header=BB253_11 Depth=1
	s_and_b64 vcc, exec, s[38:39]
	s_cbranch_vccz .LBB253_71
; %bb.70:                               ;   in Loop: Header=BB253_11 Depth=1
	v_mov_b32_e32 v8, 0
	v_mov_b32_e32 v7, v6
	;; [unrolled: 1-line block ×3, first 2 shown]
	global_store_dwordx2 v6, v[6:7], s[30:31]
.LBB253_71:                             ;   in Loop: Header=BB253_11 Depth=1
	v_cmp_nle_f64_e32 vcc, 0, v[8:9]
	v_and_b32_e32 v3, 0x7fffffff, v3
	v_and_b32_e32 v5, 0x7fffffff, v5
	ds_write_b64 v6, v[8:9] offset:2056
	ds_write_b8 v6, v6 offset:2068
	s_cbranch_vccnz .LBB253_78
; %bb.72:                               ;   in Loop: Header=BB253_11 Depth=1
	ds_read_b128 v[10:13], v6
	s_mov_b64 s[30:31], -1
	s_waitcnt lgkmcnt(0)
	v_cmp_lt_f64_e32 vcc, v[10:11], v[12:13]
	v_cndmask_b32_e32 v11, v11, v13, vcc
	v_cndmask_b32_e32 v10, v10, v12, vcc
	v_div_scale_f64 v[12:13], s[18:19], v[10:11], v[10:11], v[8:9]
	v_rcp_f64_e32 v[14:15], v[12:13]
	v_div_scale_f64 v[16:17], vcc, v[8:9], v[10:11], v[8:9]
	v_fma_f64 v[30:31], -v[12:13], v[14:15], 1.0
	v_fmac_f64_e32 v[14:15], v[14:15], v[30:31]
	v_fma_f64 v[30:31], -v[12:13], v[14:15], 1.0
	v_fmac_f64_e32 v[14:15], v[14:15], v[30:31]
	v_mul_f64 v[30:31], v[16:17], v[14:15]
	v_fma_f64 v[12:13], -v[12:13], v[30:31], v[16:17]
	v_div_fmas_f64 v[12:13], v[12:13], v[14:15], v[30:31]
	v_div_fixup_f64 v[10:11], v[12:13], v[10:11], v[8:9]
	v_cmp_ge_f64_e32 vcc, s[26:27], v[10:11]
	s_cbranch_vccnz .LBB253_75
; %bb.73:                               ;   in Loop: Header=BB253_11 Depth=1
	v_cndmask_b32_e64 v3, v5, v3, s[4:5]
	v_cndmask_b32_e64 v2, v4, v2, s[4:5]
	v_cmp_lt_f64_e32 vcc, 0, v[2:3]
	s_mov_b64 s[30:31], 0
	s_cbranch_vccz .LBB253_75
; %bb.74:                               ;   in Loop: Header=BB253_11 Depth=1
	v_mul_f64 v[4:5], v[8:9], v[8:9]
	v_div_scale_f64 v[8:9], s[4:5], v[2:3], v[2:3], v[4:5]
	v_rcp_f64_e32 v[10:11], v[8:9]
	v_div_scale_f64 v[12:13], vcc, v[4:5], v[2:3], v[4:5]
	v_fma_f64 v[14:15], -v[8:9], v[10:11], 1.0
	v_fmac_f64_e32 v[10:11], v[10:11], v[14:15]
	v_fma_f64 v[14:15], -v[8:9], v[10:11], 1.0
	v_fmac_f64_e32 v[10:11], v[10:11], v[14:15]
	v_mul_f64 v[14:15], v[12:13], v[10:11]
	v_fma_f64 v[8:9], -v[8:9], v[14:15], v[12:13]
	v_div_fmas_f64 v[8:9], v[8:9], v[10:11], v[14:15]
	v_div_fixup_f64 v[4:5], v[8:9], v[2:3], v[4:5]
	v_div_scale_f64 v[8:9], s[4:5], v[2:3], v[2:3], v[4:5]
	v_rcp_f64_e32 v[10:11], v[8:9]
	v_readlane_b32 s4, v44, 16
	v_readlane_b32 s5, v44, 17
	v_fma_f64 v[12:13], -v[8:9], v[10:11], 1.0
	v_fmac_f64_e32 v[10:11], v[10:11], v[12:13]
	v_fma_f64 v[12:13], -v[8:9], v[10:11], 1.0
	v_fmac_f64_e32 v[10:11], v[10:11], v[12:13]
	v_div_scale_f64 v[12:13], vcc, v[4:5], v[2:3], v[4:5]
	v_mul_f64 v[14:15], v[12:13], v[10:11]
	v_fma_f64 v[8:9], -v[8:9], v[14:15], v[12:13]
	s_nop 1
	v_div_fmas_f64 v[8:9], v[8:9], v[10:11], v[14:15]
	v_div_fixup_f64 v[2:3], v[8:9], v[2:3], v[4:5]
	v_cmp_gt_f64_e64 s[30:31], s[4:5], v[2:3]
.LBB253_75:                             ;   in Loop: Header=BB253_11 Depth=1
	s_and_b64 vcc, exec, s[30:31]
	s_cbranch_vccz .LBB253_77
; %bb.76:                               ;   in Loop: Header=BB253_11 Depth=1
	v_mov_b32_e32 v7, v6
	ds_write_b64 v6, v[6:7] offset:2056
.LBB253_77:                             ;   in Loop: Header=BB253_11 Depth=1
	ds_write_b8 v6, v28 offset:2068
.LBB253_78:                             ;   in Loop: Header=BB253_11 Depth=1
	s_or_b64 exec, exec, s[70:71]
	s_waitcnt lgkmcnt(0)
	s_barrier
	ds_read_u8 v2, v6 offset:2068
	s_mov_b64 s[4:5], -1
	s_waitcnt lgkmcnt(0)
	v_cmp_eq_u32_e32 vcc, 0, v2
	s_cbranch_vccz .LBB253_82
; %bb.79:                               ;   in Loop: Header=BB253_11 Depth=1
	s_and_saveexec_b64 s[4:5], s[16:17]
	s_cbranch_execz .LBB253_81
; %bb.80:                               ;   in Loop: Header=BB253_11 Depth=1
	global_store_dword v6, v6, s[12:13]
.LBB253_81:                             ;   in Loop: Header=BB253_11 Depth=1
	s_or_b64 exec, exec, s[4:5]
	s_mov_b64 s[4:5], 0
.LBB253_82:                             ;   in Loop: Header=BB253_11 Depth=1
	s_andn2_b64 vcc, exec, s[4:5]
	s_cbranch_vccnz .LBB253_10
; %bb.83:                               ;   in Loop: Header=BB253_11 Depth=1
	ds_read_b32 v2, v6 offset:2064
	s_waitcnt lgkmcnt(0)
	v_readfirstlane_b32 s70, v2
	s_and_saveexec_b64 s[4:5], s[16:17]
	s_cbranch_execz .LBB253_85
; %bb.84:                               ;   in Loop: Header=BB253_11 Depth=1
	s_cmp_eq_u32 s70, 0
	s_cselect_b32 s18, -1, 1
	v_mov_b32_e32 v2, s18
	global_store_dword v6, v2, s[12:13]
.LBB253_85:                             ;   in Loop: Header=BB253_11 Depth=1
	s_or_b64 exec, exec, s[4:5]
	s_add_i32 s80, s62, 1
	s_mul_i32 s72, s66, s60
	s_sub_i32 s78, 1, s70
	s_ashr_i32 s73, s72, 31
	s_sub_i32 s74, s70, s78
	s_lshl_b32 s12, s80, 1
	s_and_b64 s[4:5], s[36:37], exec
	s_cselect_b32 s63, s12, 0
	s_and_saveexec_b64 s[4:5], s[16:17]
	s_cbranch_execz .LBB253_157
; %bb.86:                               ;   in Loop: Header=BB253_11 Depth=1
	s_cmp_lg_u32 s70, 0
	s_cselect_b64 s[76:77], -1, 0
	s_and_b64 s[12:13], s[76:77], exec
	s_cselect_b32 s86, 0, s62
	s_ashr_i32 s87, s86, 31
	s_lshl_b64 s[12:13], s[86:87], 3
	s_add_u32 s14, s14, s12
	s_addc_u32 s15, s15, s13
	global_load_dwordx2 v[2:3], v6, s[14:15]
	v_pk_mov_b32 v[4:5], 0, 0
	s_waitcnt vmcnt(0)
	v_cmp_eq_f64_e32 vcc, 0, v[2:3]
	s_cbranch_vccnz .LBB253_88
; %bb.87:                               ;   in Loop: Header=BB253_11 Depth=1
	ds_read_b64 v[4:5], v6 offset:2056
	v_cmp_lt_f64_e32 vcc, 0, v[2:3]
	v_cndmask_b32_e64 v7, 0, 1, vcc
	v_cmp_gt_f64_e32 vcc, 0, v[2:3]
	v_subbrev_co_u32_e32 v7, vcc, 0, v7, vcc
	s_waitcnt lgkmcnt(0)
	v_div_scale_f64 v[8:9], s[12:13], v[2:3], v[2:3], v[4:5]
	v_rcp_f64_e32 v[10:11], v[8:9]
	v_add_f64 v[12:13], |v[2:3]|, -v[4:5]
	v_cvt_f64_i32_e32 v[14:15], v7
	v_fma_f64 v[16:17], -v[8:9], v[10:11], 1.0
	v_fmac_f64_e32 v[10:11], v[10:11], v[16:17]
	v_fma_f64 v[16:17], -v[8:9], v[10:11], 1.0
	v_fmac_f64_e32 v[10:11], v[10:11], v[16:17]
	v_div_scale_f64 v[16:17], vcc, v[4:5], v[2:3], v[4:5]
	v_mul_f64 v[30:31], v[16:17], v[10:11]
	v_fma_f64 v[8:9], -v[8:9], v[30:31], v[16:17]
	s_nop 1
	v_div_fmas_f64 v[8:9], v[8:9], v[10:11], v[30:31]
	v_div_fixup_f64 v[4:5], v[8:9], v[2:3], v[4:5]
	v_add_f64 v[4:5], v[4:5], v[14:15]
	v_mul_f64 v[4:5], v[12:13], v[4:5]
.LBB253_88:                             ;   in Loop: Header=BB253_11 Depth=1
	s_cmp_gt_i32 s62, 0
	s_cbranch_scc1 .LBB253_90
; %bb.89:                               ;   in Loop: Header=BB253_11 Depth=1
	s_add_i32 s65, s62, -1
	s_cbranch_execz .LBB253_91
	s_branch .LBB253_156
.LBB253_90:                             ;   in Loop: Header=BB253_11 Depth=1
                                        ; implicit-def: $sgpr65
.LBB253_91:                             ;   in Loop: Header=BB253_11 Depth=1
	s_ashr_i32 s71, s70, 31
	s_sub_u32 s21, 0, s70
	s_subb_u32 s28, 0, s71
	s_add_u32 s82, s86, s70
	s_addc_u32 s83, s87, s71
	s_lshl_b64 s[84:85], s[82:83], 3
	s_add_u32 s88, s10, s84
	s_addc_u32 s89, s11, s85
	global_load_dwordx2 v[8:9], v6, s[88:89] offset:-8
	v_writelane_b32 v44, s90, 22
	v_writelane_b32 v44, s91, 23
	v_pk_mov_b32 v[10:11], 0, 0
	v_writelane_b32 v44, s92, 24
	v_writelane_b32 v44, s93, 25
	s_waitcnt vmcnt(0)
	v_cmp_eq_f64_e32 vcc, 0, v[8:9]
	s_cbranch_vccnz .LBB253_95
; %bb.92:                               ;   in Loop: Header=BB253_11 Depth=1
	v_cmp_eq_f64_e32 vcc, 0, v[4:5]
	v_pk_mov_b32 v[12:13], 0, 0
	s_cbranch_vccnz .LBB253_96
; %bb.93:                               ;   in Loop: Header=BB253_11 Depth=1
	v_cmp_gt_f64_e64 s[12:13], |v[8:9]|, |v[4:5]|
	s_and_b64 vcc, exec, s[12:13]
	s_cbranch_vccnz .LBB253_97
; %bb.94:                               ;   in Loop: Header=BB253_11 Depth=1
	v_div_scale_f64 v[10:11], s[12:13], v[4:5], v[4:5], -v[8:9]
	v_rcp_f64_e32 v[12:13], v[10:11]
	v_div_scale_f64 v[14:15], vcc, -v[8:9], v[4:5], -v[8:9]
	v_fma_f64 v[16:17], -v[10:11], v[12:13], 1.0
	v_fmac_f64_e32 v[12:13], v[12:13], v[16:17]
	v_fma_f64 v[16:17], -v[10:11], v[12:13], 1.0
	v_fmac_f64_e32 v[12:13], v[12:13], v[16:17]
	v_mul_f64 v[16:17], v[14:15], v[12:13]
	v_fma_f64 v[10:11], -v[10:11], v[16:17], v[14:15]
	v_div_fmas_f64 v[10:11], v[10:11], v[12:13], v[16:17]
	v_div_fixup_f64 v[10:11], v[10:11], v[4:5], -v[8:9]
	v_fma_f64 v[12:13], v[10:11], v[10:11], 1.0
	v_cmp_gt_f64_e32 vcc, s[40:41], v[12:13]
	v_cndmask_b32_e64 v7, 0, 1, vcc
	v_lshlrev_b32_e32 v7, 8, v7
	v_ldexp_f64 v[12:13], v[12:13], v7
	v_rsq_f64_e32 v[14:15], v[12:13]
	s_and_b64 s[12:13], vcc, exec
	s_cselect_b32 s12, 0xffffff80, 0
	v_cmp_class_f64_e32 vcc, v[12:13], v27
	v_mul_f64 v[16:17], v[12:13], v[14:15]
	v_mul_f64 v[14:15], v[14:15], 0.5
	v_fma_f64 v[30:31], -v[14:15], v[16:17], 0.5
	v_fmac_f64_e32 v[16:17], v[16:17], v[30:31]
	v_fmac_f64_e32 v[14:15], v[14:15], v[30:31]
	v_fma_f64 v[30:31], -v[16:17], v[16:17], v[12:13]
	v_fmac_f64_e32 v[16:17], v[30:31], v[14:15]
	v_fma_f64 v[30:31], -v[16:17], v[16:17], v[12:13]
	v_fmac_f64_e32 v[16:17], v[30:31], v[14:15]
	v_ldexp_f64 v[14:15], v[16:17], s12
	v_cndmask_b32_e32 v13, v15, v13, vcc
	v_cndmask_b32_e32 v12, v14, v12, vcc
	v_div_scale_f64 v[14:15], s[12:13], v[12:13], v[12:13], 1.0
	v_rcp_f64_e32 v[16:17], v[14:15]
	s_mov_b64 s[12:13], 0
	v_fma_f64 v[30:31], -v[14:15], v[16:17], 1.0
	v_fmac_f64_e32 v[16:17], v[16:17], v[30:31]
	v_fma_f64 v[30:31], -v[14:15], v[16:17], 1.0
	v_fmac_f64_e32 v[16:17], v[16:17], v[30:31]
	v_div_scale_f64 v[30:31], vcc, 1.0, v[12:13], 1.0
	v_mul_f64 v[32:33], v[30:31], v[16:17]
	v_fma_f64 v[14:15], -v[14:15], v[32:33], v[30:31]
	s_nop 1
	v_div_fmas_f64 v[14:15], v[14:15], v[16:17], v[32:33]
	v_div_fixup_f64 v[12:13], v[14:15], v[12:13], 1.0
	v_mul_f64 v[10:11], v[10:11], v[12:13]
	s_branch .LBB253_98
.LBB253_95:                             ;   in Loop: Header=BB253_11 Depth=1
	v_mov_b32_e32 v12, 0
	v_mov_b32_e32 v13, 0x3ff00000
	s_branch .LBB253_100
.LBB253_96:                             ;   in Loop: Header=BB253_11 Depth=1
	v_mov_b32_e32 v10, 0
	v_mov_b32_e32 v11, 0x3ff00000
	s_branch .LBB253_100
.LBB253_97:                             ;   in Loop: Header=BB253_11 Depth=1
	s_mov_b64 s[12:13], -1
                                        ; implicit-def: $vgpr12_vgpr13
                                        ; implicit-def: $vgpr10_vgpr11
.LBB253_98:                             ;   in Loop: Header=BB253_11 Depth=1
	s_andn2_b64 vcc, exec, s[12:13]
	s_cbranch_vccnz .LBB253_100
; %bb.99:                               ;   in Loop: Header=BB253_11 Depth=1
	v_div_scale_f64 v[10:11], s[12:13], v[8:9], v[8:9], -v[4:5]
	v_rcp_f64_e32 v[12:13], v[10:11]
	v_div_scale_f64 v[14:15], vcc, -v[4:5], v[8:9], -v[4:5]
	v_fma_f64 v[16:17], -v[10:11], v[12:13], 1.0
	v_fmac_f64_e32 v[12:13], v[12:13], v[16:17]
	v_fma_f64 v[16:17], -v[10:11], v[12:13], 1.0
	v_fmac_f64_e32 v[12:13], v[12:13], v[16:17]
	v_mul_f64 v[16:17], v[14:15], v[12:13]
	v_fma_f64 v[10:11], -v[10:11], v[16:17], v[14:15]
	v_div_fmas_f64 v[10:11], v[10:11], v[12:13], v[16:17]
	v_div_fixup_f64 v[4:5], v[10:11], v[8:9], -v[4:5]
	v_fma_f64 v[10:11], v[4:5], v[4:5], 1.0
	v_cmp_gt_f64_e32 vcc, s[40:41], v[10:11]
	v_cndmask_b32_e64 v7, 0, 1, vcc
	v_lshlrev_b32_e32 v7, 8, v7
	v_ldexp_f64 v[10:11], v[10:11], v7
	v_rsq_f64_e32 v[12:13], v[10:11]
	s_and_b64 s[12:13], vcc, exec
	s_cselect_b32 s12, 0xffffff80, 0
	v_cmp_class_f64_e32 vcc, v[10:11], v27
	v_mul_f64 v[14:15], v[10:11], v[12:13]
	v_mul_f64 v[12:13], v[12:13], 0.5
	v_fma_f64 v[16:17], -v[12:13], v[14:15], 0.5
	v_fmac_f64_e32 v[14:15], v[14:15], v[16:17]
	v_fmac_f64_e32 v[12:13], v[12:13], v[16:17]
	v_fma_f64 v[16:17], -v[14:15], v[14:15], v[10:11]
	v_fmac_f64_e32 v[14:15], v[16:17], v[12:13]
	v_fma_f64 v[16:17], -v[14:15], v[14:15], v[10:11]
	v_fmac_f64_e32 v[14:15], v[16:17], v[12:13]
	v_ldexp_f64 v[12:13], v[14:15], s12
	v_cndmask_b32_e32 v11, v13, v11, vcc
	v_cndmask_b32_e32 v10, v12, v10, vcc
	v_div_scale_f64 v[12:13], s[12:13], v[10:11], v[10:11], 1.0
	v_rcp_f64_e32 v[14:15], v[12:13]
	v_fma_f64 v[16:17], -v[12:13], v[14:15], 1.0
	v_fmac_f64_e32 v[14:15], v[14:15], v[16:17]
	v_fma_f64 v[16:17], -v[12:13], v[14:15], 1.0
	v_fmac_f64_e32 v[14:15], v[14:15], v[16:17]
	v_div_scale_f64 v[16:17], vcc, 1.0, v[10:11], 1.0
	v_mul_f64 v[30:31], v[16:17], v[14:15]
	v_fma_f64 v[12:13], -v[12:13], v[30:31], v[16:17]
	s_nop 1
	v_div_fmas_f64 v[12:13], v[12:13], v[14:15], v[30:31]
	v_div_fixup_f64 v[10:11], v[12:13], v[10:11], 1.0
	v_mul_f64 v[12:13], v[4:5], v[10:11]
.LBB253_100:                            ;   in Loop: Header=BB253_11 Depth=1
	s_lshl_b64 s[90:91], s[72:73], 3
	s_and_b64 s[38:39], s[36:37], s[76:77]
	s_add_u32 s12, s54, s90
	s_addc_u32 s13, s55, s91
	s_add_u32 s18, s12, 32
	s_addc_u32 s19, s13, 0
	s_sub_u32 s92, s70, s21
	s_subb_u32 s93, s71, s28
	v_mul_f64 v[4:5], v[8:9], v[12:13]
	s_lshl_b64 s[12:13], s[92:93], 3
	v_fmac_f64_e32 v[4:5], v[2:3], v[10:11]
	s_add_u32 s30, s14, s12
	global_store_dwordx2 v6, v[4:5], s[88:89] offset:-8
	s_addc_u32 s31, s15, s13
	global_load_dwordx2 v[14:15], v6, s[30:31] offset:-8
	v_cndmask_b32_e64 v4, 0, 1, s[38:39]
	v_writelane_b32 v44, s94, 26
	v_cmp_ne_u32_e64 s[12:13], 1, v4
	s_andn2_b64 vcc, exec, s[38:39]
	v_writelane_b32 v44, s95, 27
	s_waitcnt vmcnt(0)
	v_mul_f64 v[4:5], v[12:13], v[14:15]
	global_store_dwordx2 v6, v[4:5], s[30:31] offset:-8
	s_cbranch_vccnz .LBB253_102
; %bb.101:                              ;   in Loop: Header=BB253_11 Depth=1
	s_add_u32 s28, s18, s84
	s_addc_u32 s29, s19, s85
	s_ashr_i32 s81, s80, 31
	s_lshl_b64 s[38:39], s[80:81], 3
	s_add_u32 s38, s28, s38
	s_addc_u32 s39, s29, s39
	global_store_dwordx2 v6, v[12:13], s[28:29] offset:-8
	global_store_dwordx2 v6, v[10:11], s[38:39] offset:-8
.LBB253_102:                            ;   in Loop: Header=BB253_11 Depth=1
	s_cmp_lg_u32 s70, 1
	s_cselect_b64 s[38:39], -1, 0
	s_cmp_eq_u32 s70, 1
	v_readlane_b32 s42, v44, 2
	s_cselect_b64 s[28:29], -1, 0
	v_readlane_b32 s43, v44, 3
	s_or_b64 s[94:95], s[42:43], s[28:29]
	s_and_b64 vcc, exec, s[94:95]
	s_cbranch_vccnz .LBB253_104
; %bb.103:                              ;   in Loop: Header=BB253_11 Depth=1
	s_ashr_i32 s21, s63, 31
	s_add_u32 s28, s82, s63
	s_addc_u32 s29, s83, s21
	s_lshl_b64 s[28:29], s[28:29], 3
	s_add_u32 s28, s18, s28
	s_addc_u32 s29, s19, s29
	s_ashr_i32 s81, s80, 31
	s_lshl_b64 s[42:43], s[80:81], 3
	s_add_u32 s42, s28, s42
	s_addc_u32 s43, s29, s43
	global_store_dwordx2 v6, v[12:13], s[28:29] offset:-8
	global_store_dwordx2 v6, v[10:11], s[42:43] offset:-8
.LBB253_104:                            ;   in Loop: Header=BB253_11 Depth=1
	v_mul_f64 v[4:5], v[8:9], v[10:11]
	v_fma_f64 v[4:5], v[2:3], v[12:13], -v[4:5]
	v_mul_f64 v[2:3], v[14:15], -v[10:11]
	v_cmp_eq_f64_e32 vcc, 0, v[2:3]
	v_pk_mov_b32 v[10:11], 0, 0
	s_cbranch_vccnz .LBB253_108
; %bb.105:                              ;   in Loop: Header=BB253_11 Depth=1
	v_cmp_eq_f64_e32 vcc, 0, v[4:5]
	s_cbranch_vccnz .LBB253_109
; %bb.106:                              ;   in Loop: Header=BB253_11 Depth=1
	v_cmp_gt_f64_e64 s[28:29], |v[2:3]|, |v[4:5]|
	s_and_b64 vcc, exec, s[28:29]
	s_cbranch_vccnz .LBB253_110
; %bb.107:                              ;   in Loop: Header=BB253_11 Depth=1
	v_div_scale_f64 v[8:9], s[28:29], v[4:5], v[4:5], -v[2:3]
	v_rcp_f64_e32 v[10:11], v[8:9]
	v_div_scale_f64 v[12:13], vcc, -v[2:3], v[4:5], -v[2:3]
	v_fma_f64 v[14:15], -v[8:9], v[10:11], 1.0
	v_fmac_f64_e32 v[10:11], v[10:11], v[14:15]
	v_fma_f64 v[14:15], -v[8:9], v[10:11], 1.0
	v_fmac_f64_e32 v[10:11], v[10:11], v[14:15]
	v_mul_f64 v[14:15], v[12:13], v[10:11]
	v_fma_f64 v[8:9], -v[8:9], v[14:15], v[12:13]
	v_div_fmas_f64 v[8:9], v[8:9], v[10:11], v[14:15]
	v_div_fixup_f64 v[10:11], v[8:9], v[4:5], -v[2:3]
	v_fma_f64 v[8:9], v[10:11], v[10:11], 1.0
	v_cmp_gt_f64_e32 vcc, s[40:41], v[8:9]
	v_cndmask_b32_e64 v7, 0, 1, vcc
	v_lshlrev_b32_e32 v7, 8, v7
	v_ldexp_f64 v[8:9], v[8:9], v7
	v_rsq_f64_e32 v[12:13], v[8:9]
	s_and_b64 s[28:29], vcc, exec
	s_cselect_b32 s21, 0xffffff80, 0
	v_cmp_class_f64_e32 vcc, v[8:9], v27
	v_mul_f64 v[14:15], v[8:9], v[12:13]
	v_mul_f64 v[12:13], v[12:13], 0.5
	v_fma_f64 v[16:17], -v[12:13], v[14:15], 0.5
	v_fmac_f64_e32 v[14:15], v[14:15], v[16:17]
	v_fmac_f64_e32 v[12:13], v[12:13], v[16:17]
	v_fma_f64 v[16:17], -v[14:15], v[14:15], v[8:9]
	v_fmac_f64_e32 v[14:15], v[16:17], v[12:13]
	v_fma_f64 v[16:17], -v[14:15], v[14:15], v[8:9]
	v_fmac_f64_e32 v[14:15], v[16:17], v[12:13]
	v_ldexp_f64 v[12:13], v[14:15], s21
	v_cndmask_b32_e32 v9, v13, v9, vcc
	v_cndmask_b32_e32 v8, v12, v8, vcc
	v_div_scale_f64 v[12:13], s[28:29], v[8:9], v[8:9], 1.0
	v_rcp_f64_e32 v[14:15], v[12:13]
	v_fma_f64 v[16:17], -v[12:13], v[14:15], 1.0
	v_fmac_f64_e32 v[14:15], v[14:15], v[16:17]
	v_fma_f64 v[16:17], -v[12:13], v[14:15], 1.0
	v_fmac_f64_e32 v[14:15], v[14:15], v[16:17]
	v_div_scale_f64 v[16:17], vcc, 1.0, v[8:9], 1.0
	v_mul_f64 v[30:31], v[16:17], v[14:15]
	v_fma_f64 v[12:13], -v[12:13], v[30:31], v[16:17]
	s_nop 1
	v_div_fmas_f64 v[12:13], v[12:13], v[14:15], v[30:31]
	v_div_fixup_f64 v[8:9], v[12:13], v[8:9], 1.0
	v_mul_f64 v[10:11], v[10:11], v[8:9]
	s_mov_b64 vcc, 0
	s_branch .LBB253_111
.LBB253_108:                            ;   in Loop: Header=BB253_11 Depth=1
	v_mov_b32_e32 v8, 0
	v_mov_b32_e32 v9, 0x3ff00000
	s_branch .LBB253_115
.LBB253_109:                            ;   in Loop: Header=BB253_11 Depth=1
                                        ; implicit-def: $vgpr4_vgpr5
                                        ; implicit-def: $vgpr8_vgpr9
                                        ; implicit-def: $vgpr10_vgpr11
	s_cbranch_execnz .LBB253_114
	s_branch .LBB253_115
.LBB253_110:                            ;   in Loop: Header=BB253_11 Depth=1
	s_mov_b64 vcc, -1
                                        ; implicit-def: $vgpr8_vgpr9
                                        ; implicit-def: $vgpr10_vgpr11
.LBB253_111:                            ;   in Loop: Header=BB253_11 Depth=1
	s_andn2_b64 vcc, exec, vcc
	s_cbranch_vccnz .LBB253_113
; %bb.112:                              ;   in Loop: Header=BB253_11 Depth=1
	v_div_scale_f64 v[8:9], s[28:29], v[2:3], v[2:3], -v[4:5]
	v_rcp_f64_e32 v[10:11], v[8:9]
	v_div_scale_f64 v[12:13], vcc, -v[4:5], v[2:3], -v[4:5]
	v_fma_f64 v[14:15], -v[8:9], v[10:11], 1.0
	v_fmac_f64_e32 v[10:11], v[10:11], v[14:15]
	v_fma_f64 v[14:15], -v[8:9], v[10:11], 1.0
	v_fmac_f64_e32 v[10:11], v[10:11], v[14:15]
	v_mul_f64 v[14:15], v[12:13], v[10:11]
	v_fma_f64 v[8:9], -v[8:9], v[14:15], v[12:13]
	v_div_fmas_f64 v[8:9], v[8:9], v[10:11], v[14:15]
	v_div_fixup_f64 v[8:9], v[8:9], v[2:3], -v[4:5]
	v_fma_f64 v[10:11], v[8:9], v[8:9], 1.0
	v_cmp_gt_f64_e32 vcc, s[40:41], v[10:11]
	v_cndmask_b32_e64 v7, 0, 1, vcc
	v_lshlrev_b32_e32 v7, 8, v7
	v_ldexp_f64 v[10:11], v[10:11], v7
	v_rsq_f64_e32 v[12:13], v[10:11]
	s_and_b64 s[28:29], vcc, exec
	s_cselect_b32 s21, 0xffffff80, 0
	v_cmp_class_f64_e32 vcc, v[10:11], v27
	v_mul_f64 v[14:15], v[10:11], v[12:13]
	v_mul_f64 v[12:13], v[12:13], 0.5
	v_fma_f64 v[16:17], -v[12:13], v[14:15], 0.5
	v_fmac_f64_e32 v[14:15], v[14:15], v[16:17]
	v_fmac_f64_e32 v[12:13], v[12:13], v[16:17]
	v_fma_f64 v[16:17], -v[14:15], v[14:15], v[10:11]
	v_fmac_f64_e32 v[14:15], v[16:17], v[12:13]
	v_fma_f64 v[16:17], -v[14:15], v[14:15], v[10:11]
	v_fmac_f64_e32 v[14:15], v[16:17], v[12:13]
	v_ldexp_f64 v[12:13], v[14:15], s21
	v_cndmask_b32_e32 v11, v13, v11, vcc
	v_cndmask_b32_e32 v10, v12, v10, vcc
	v_div_scale_f64 v[12:13], s[28:29], v[10:11], v[10:11], 1.0
	v_rcp_f64_e32 v[14:15], v[12:13]
	v_fma_f64 v[16:17], -v[12:13], v[14:15], 1.0
	v_fmac_f64_e32 v[14:15], v[14:15], v[16:17]
	v_fma_f64 v[16:17], -v[12:13], v[14:15], 1.0
	v_fmac_f64_e32 v[14:15], v[14:15], v[16:17]
	v_div_scale_f64 v[16:17], vcc, 1.0, v[10:11], 1.0
	v_mul_f64 v[30:31], v[16:17], v[14:15]
	v_fma_f64 v[12:13], -v[12:13], v[30:31], v[16:17]
	s_nop 1
	v_div_fmas_f64 v[12:13], v[12:13], v[14:15], v[30:31]
	v_div_fixup_f64 v[10:11], v[12:13], v[10:11], 1.0
	v_mul_f64 v[8:9], v[8:9], v[10:11]
.LBB253_113:                            ;   in Loop: Header=BB253_11 Depth=1
	v_mul_f64 v[12:13], v[2:3], v[10:11]
	v_fma_f64 v[4:5], v[4:5], v[8:9], -v[12:13]
	s_branch .LBB253_115
.LBB253_114:                            ;   in Loop: Header=BB253_11 Depth=1
	v_mov_b32_e32 v10, 0
	v_xor_b32_e32 v5, 0x80000000, v3
	v_mov_b32_e32 v4, v2
	v_pk_mov_b32 v[8:9], 0, 0
	v_mov_b32_e32 v11, 0x3ff00000
.LBB253_115:                            ;   in Loop: Header=BB253_11 Depth=1
	global_store_dwordx2 v6, v[4:5], s[14:15]
	global_load_dwordx2 v[12:13], v6, s[30:31] offset:-8
	s_nop 0
	global_load_dwordx2 v[4:5], v6, s[88:89] offset:-8
	s_cmp_eq_u32 s80, 2
	s_waitcnt vmcnt(1)
	v_mul_f64 v[14:15], v[8:9], v[12:13]
	s_waitcnt vmcnt(0)
	v_fmac_f64_e32 v[14:15], v[10:11], v[4:5]
	global_store_dwordx2 v6, v[14:15], s[30:31] offset:-8
	s_cbranch_scc1 .LBB253_117
; %bb.116:                              ;   in Loop: Header=BB253_11 Depth=1
	s_ashr_i32 s75, s74, 31
	s_lshl_b64 s[14:15], s[74:75], 3
	s_add_u32 s14, s88, s14
	s_addc_u32 s15, s89, s15
	global_load_dwordx2 v[14:15], v6, s[14:15] offset:-8
	s_waitcnt vmcnt(0)
	v_mul_f64 v[2:3], v[14:15], -v[10:11]
	v_mul_f64 v[14:15], v[8:9], v[14:15]
	global_store_dwordx2 v6, v[14:15], s[14:15] offset:-8
.LBB253_117:                            ;   in Loop: Header=BB253_11 Depth=1
	s_and_b64 s[28:29], s[36:37], s[38:39]
	v_cndmask_b32_e64 v7, 0, 1, s[28:29]
	v_cmp_ne_u32_e64 s[14:15], 1, v7
	s_andn2_b64 vcc, exec, s[28:29]
	s_cbranch_vccnz .LBB253_119
; %bb.118:                              ;   in Loop: Header=BB253_11 Depth=1
	s_add_u32 s28, s18, s84
	s_addc_u32 s29, s19, s85
	s_ashr_i32 s81, s80, 31
	s_lshl_b64 s[30:31], s[80:81], 3
	s_add_u32 s30, s28, s30
	s_addc_u32 s31, s29, s31
	global_store_dwordx2 v6, v[8:9], s[28:29] offset:-8
	global_store_dwordx2 v6, v[10:11], s[30:31] offset:-8
.LBB253_119:                            ;   in Loop: Header=BB253_11 Depth=1
	v_readlane_b32 s30, v44, 2
	s_xor_b64 s[28:29], s[76:77], -1
	v_readlane_b32 s31, v44, 3
	s_or_b64 s[30:31], s[30:31], s[28:29]
	s_and_b64 vcc, exec, s[30:31]
	s_cbranch_vccnz .LBB253_121
; %bb.120:                              ;   in Loop: Header=BB253_11 Depth=1
	s_ashr_i32 s21, s63, 31
	s_add_u32 s28, s82, s63
	s_addc_u32 s29, s83, s21
	s_lshl_b64 s[28:29], s[28:29], 3
	s_add_u32 s18, s18, s28
	s_addc_u32 s19, s19, s29
	s_ashr_i32 s81, s80, 31
	s_lshl_b64 s[28:29], s[80:81], 3
	s_add_u32 s28, s18, s28
	s_addc_u32 s29, s19, s29
	global_store_dwordx2 v6, v[8:9], s[18:19] offset:-8
	global_store_dwordx2 v6, v[10:11], s[28:29] offset:-8
.LBB253_121:                            ;   in Loop: Header=BB253_11 Depth=1
	v_mul_f64 v[10:11], v[10:11], v[12:13]
	v_fma_f64 v[4:5], v[8:9], v[4:5], -v[10:11]
	s_cmp_eq_u32 s62, 1
	s_mov_b32 s65, 0
	s_cbranch_scc1 .LBB253_155
; %bb.122:                              ;   in Loop: Header=BB253_11 Depth=1
	v_writelane_b32 v44, s60, 28
	v_writelane_b32 v44, s60, 29
	s_xor_b64 s[82:83], s[94:95], -1
	s_xor_b64 s[84:85], s[30:31], -1
	s_add_i32 s18, s86, s74
	s_add_i32 s65, s62, -1
	s_sub_i32 s30, s86, s78
	s_ashr_i32 s31, s63, 31
	s_ashr_i32 s81, s80, 31
	s_lshl_b64 s[38:39], s[70:71], 4
	v_writelane_b32 v44, s61, 30
	s_add_u32 s60, s38, s68
	s_addc_u32 s61, s39, s69
	s_ashr_i32 s19, s18, 31
	s_lshl_b64 s[18:19], s[18:19], 3
	s_add_u32 s21, s60, s18
	s_addc_u32 s28, s61, s19
	v_readlane_b32 s29, v44, 6
	s_add_u32 s71, s29, s21
	v_readlane_b32 s21, v44, 7
	s_addc_u32 s75, s21, s28
	s_lshl_b32 s21, s70, 1
	s_add_i32 s28, s21, -2
	s_ashr_i32 s29, s28, 31
	s_lshl_b64 s[86:87], s[28:29], 3
	s_or_b32 s86, s86, 8
	s_add_u32 s18, s68, s18
	s_addc_u32 s19, s69, s19
	s_add_u32 s95, s22, s18
	s_addc_u32 s21, s33, s19
	;; [unrolled: 2-line block ×3, first 2 shown]
	s_ashr_i32 s31, s30, 31
	s_add_u32 s18, s18, s30
	s_addc_u32 s19, s19, s31
	s_lshl_b64 s[18:19], s[18:19], 3
	s_add_u32 s28, s18, s90
	s_addc_u32 s29, s19, s91
	s_lshl_b64 s[18:19], s[80:81], 3
	s_add_u32 s42, s28, s18
	s_addc_u32 s43, s29, s19
	v_readlane_b32 s58, v44, 9
	s_add_u32 s92, s58, s42
	v_readlane_b32 s59, v44, 11
	s_addc_u32 s93, s59, s43
	s_add_u32 s28, s58, s28
	s_addc_u32 s29, s59, s29
	s_add_u32 s42, s38, s90
	s_addc_u32 s43, s39, s91
	s_lshl_b64 s[38:39], s[30:31], 3
	s_add_u32 s42, s42, s38
	s_addc_u32 s43, s43, s39
	s_add_u32 s18, s42, s18
	s_addc_u32 s19, s43, s19
	;; [unrolled: 2-line block ×4, first 2 shown]
	v_readlane_b32 s18, v44, 0
	v_readlane_b32 s19, v44, 1
	s_add_u32 s18, s18, s66
	s_addc_u32 s19, s19, s67
	s_add_u32 s18, s18, s30
	s_addc_u32 s19, s19, s31
	s_mul_i32 s59, s70, 24
	s_lshl_b64 s[18:19], s[18:19], 3
	s_mul_hi_i32 s58, s70, 24
	s_add_u32 s30, s59, s18
	s_addc_u32 s31, s58, s19
	s_ashr_i32 s79, s78, 31
	s_lshl_b64 s[18:19], s[78:79], 3
	s_sub_u32 s18, s30, s18
	s_subb_u32 s19, s31, s19
	v_readlane_b32 s30, v44, 18
	s_add_u32 s58, s30, s18
	v_readlane_b32 s18, v44, 20
	s_addc_u32 s59, s18, s19
	s_add_u32 s18, s60, s38
	s_addc_u32 s19, s61, s39
	v_readlane_b32 s30, v44, 19
	s_add_u32 s60, s30, s18
	v_readlane_b32 s18, v44, 21
	s_addc_u32 s61, s18, s19
	s_add_u32 s18, s68, s38
	s_addc_u32 s19, s69, s39
	s_add_u32 s18, s44, s18
	s_mov_b32 s94, 1
	s_addc_u32 s19, s50, s19
	s_mov_b64 s[78:79], 0
	s_branch .LBB253_124
.LBB253_123:                            ;   in Loop: Header=BB253_124 Depth=2
	s_add_i32 s94, s94, 1
	s_add_u32 s78, s78, s86
	v_mul_f64 v[10:11], v[10:11], v[12:13]
	s_addc_u32 s79, s79, s87
	s_cmp_eq_u32 s62, s94
	v_fma_f64 v[4:5], v[8:9], v[4:5], -v[10:11]
	s_cbranch_scc1 .LBB253_154
.LBB253_124:                            ;   Parent Loop BB253_11 Depth=1
                                        ; =>  This Inner Loop Header: Depth=2
	v_cmp_eq_f64_e32 vcc, 0, v[2:3]
	v_pk_mov_b32 v[8:9], 0, 0
	s_cbranch_vccnz .LBB253_128
; %bb.125:                              ;   in Loop: Header=BB253_124 Depth=2
	v_cmp_neq_f64_e32 vcc, 0, v[4:5]
	s_cbranch_vccz .LBB253_129
; %bb.126:                              ;   in Loop: Header=BB253_124 Depth=2
	v_cmp_ngt_f64_e64 s[30:31], |v[2:3]|, |v[4:5]|
	s_and_b64 vcc, exec, s[30:31]
	s_cbranch_vccz .LBB253_130
; %bb.127:                              ;   in Loop: Header=BB253_124 Depth=2
	v_div_scale_f64 v[8:9], s[30:31], v[4:5], v[4:5], -v[2:3]
	v_rcp_f64_e32 v[10:11], v[8:9]
	v_div_scale_f64 v[12:13], vcc, -v[2:3], v[4:5], -v[2:3]
	v_fma_f64 v[14:15], -v[8:9], v[10:11], 1.0
	v_fmac_f64_e32 v[10:11], v[10:11], v[14:15]
	v_fma_f64 v[14:15], -v[8:9], v[10:11], 1.0
	v_fmac_f64_e32 v[10:11], v[10:11], v[14:15]
	v_mul_f64 v[14:15], v[12:13], v[10:11]
	v_fma_f64 v[8:9], -v[8:9], v[14:15], v[12:13]
	v_div_fmas_f64 v[8:9], v[8:9], v[10:11], v[14:15]
	v_div_fixup_f64 v[8:9], v[8:9], v[4:5], -v[2:3]
	v_fma_f64 v[10:11], v[8:9], v[8:9], 1.0
	v_cmp_gt_f64_e32 vcc, s[40:41], v[10:11]
	v_cndmask_b32_e64 v7, 0, 1, vcc
	v_lshlrev_b32_e32 v7, 8, v7
	v_ldexp_f64 v[10:11], v[10:11], v7
	v_rsq_f64_e32 v[12:13], v[10:11]
	s_and_b64 s[30:31], vcc, exec
	s_cselect_b32 s30, 0xffffff80, 0
	v_cmp_class_f64_e32 vcc, v[10:11], v27
	v_mul_f64 v[14:15], v[10:11], v[12:13]
	v_mul_f64 v[12:13], v[12:13], 0.5
	v_fma_f64 v[16:17], -v[12:13], v[14:15], 0.5
	v_fmac_f64_e32 v[14:15], v[14:15], v[16:17]
	v_fmac_f64_e32 v[12:13], v[12:13], v[16:17]
	v_fma_f64 v[16:17], -v[14:15], v[14:15], v[10:11]
	v_fmac_f64_e32 v[14:15], v[16:17], v[12:13]
	v_fma_f64 v[16:17], -v[14:15], v[14:15], v[10:11]
	v_fmac_f64_e32 v[14:15], v[16:17], v[12:13]
	v_ldexp_f64 v[12:13], v[14:15], s30
	v_cndmask_b32_e32 v11, v13, v11, vcc
	v_cndmask_b32_e32 v10, v12, v10, vcc
	v_div_scale_f64 v[12:13], s[30:31], v[10:11], v[10:11], 1.0
	v_rcp_f64_e32 v[14:15], v[12:13]
	v_fma_f64 v[16:17], -v[12:13], v[14:15], 1.0
	v_fmac_f64_e32 v[14:15], v[14:15], v[16:17]
	v_fma_f64 v[16:17], -v[12:13], v[14:15], 1.0
	v_fmac_f64_e32 v[14:15], v[14:15], v[16:17]
	v_div_scale_f64 v[16:17], vcc, 1.0, v[10:11], 1.0
	v_mul_f64 v[30:31], v[16:17], v[14:15]
	v_fma_f64 v[12:13], -v[12:13], v[30:31], v[16:17]
	s_nop 1
	v_div_fmas_f64 v[12:13], v[12:13], v[14:15], v[30:31]
	v_div_fixup_f64 v[10:11], v[12:13], v[10:11], 1.0
	v_mul_f64 v[8:9], v[8:9], v[10:11]
	s_cbranch_execz .LBB253_131
	s_branch .LBB253_132
.LBB253_128:                            ;   in Loop: Header=BB253_124 Depth=2
	v_mov_b32_e32 v10, 0
	v_mov_b32_e32 v11, 0x3ff00000
	s_branch .LBB253_134
.LBB253_129:                            ;   in Loop: Header=BB253_124 Depth=2
                                        ; implicit-def: $vgpr4_vgpr5
                                        ; implicit-def: $vgpr10_vgpr11
                                        ; implicit-def: $vgpr8_vgpr9
	s_cbranch_execnz .LBB253_133
	s_branch .LBB253_134
.LBB253_130:                            ;   in Loop: Header=BB253_124 Depth=2
                                        ; implicit-def: $vgpr10_vgpr11
                                        ; implicit-def: $vgpr8_vgpr9
.LBB253_131:                            ;   in Loop: Header=BB253_124 Depth=2
	v_div_scale_f64 v[8:9], s[30:31], v[2:3], v[2:3], -v[4:5]
	v_rcp_f64_e32 v[10:11], v[8:9]
	v_div_scale_f64 v[12:13], vcc, -v[4:5], v[2:3], -v[4:5]
	v_fma_f64 v[14:15], -v[8:9], v[10:11], 1.0
	v_fmac_f64_e32 v[10:11], v[10:11], v[14:15]
	v_fma_f64 v[14:15], -v[8:9], v[10:11], 1.0
	v_fmac_f64_e32 v[10:11], v[10:11], v[14:15]
	v_mul_f64 v[14:15], v[12:13], v[10:11]
	v_fma_f64 v[8:9], -v[8:9], v[14:15], v[12:13]
	v_div_fmas_f64 v[8:9], v[8:9], v[10:11], v[14:15]
	v_div_fixup_f64 v[10:11], v[8:9], v[2:3], -v[4:5]
	v_fma_f64 v[8:9], v[10:11], v[10:11], 1.0
	v_cmp_gt_f64_e32 vcc, s[40:41], v[8:9]
	v_cndmask_b32_e64 v7, 0, 1, vcc
	v_lshlrev_b32_e32 v7, 8, v7
	v_ldexp_f64 v[8:9], v[8:9], v7
	v_rsq_f64_e32 v[12:13], v[8:9]
	s_and_b64 s[30:31], vcc, exec
	s_cselect_b32 s30, 0xffffff80, 0
	v_cmp_class_f64_e32 vcc, v[8:9], v27
	v_mul_f64 v[14:15], v[8:9], v[12:13]
	v_mul_f64 v[12:13], v[12:13], 0.5
	v_fma_f64 v[16:17], -v[12:13], v[14:15], 0.5
	v_fmac_f64_e32 v[14:15], v[14:15], v[16:17]
	v_fmac_f64_e32 v[12:13], v[12:13], v[16:17]
	v_fma_f64 v[16:17], -v[14:15], v[14:15], v[8:9]
	v_fmac_f64_e32 v[14:15], v[16:17], v[12:13]
	v_fma_f64 v[16:17], -v[14:15], v[14:15], v[8:9]
	v_fmac_f64_e32 v[14:15], v[16:17], v[12:13]
	v_ldexp_f64 v[12:13], v[14:15], s30
	v_cndmask_b32_e32 v9, v13, v9, vcc
	v_cndmask_b32_e32 v8, v12, v8, vcc
	v_div_scale_f64 v[12:13], s[30:31], v[8:9], v[8:9], 1.0
	v_rcp_f64_e32 v[14:15], v[12:13]
	v_fma_f64 v[16:17], -v[12:13], v[14:15], 1.0
	v_fmac_f64_e32 v[14:15], v[14:15], v[16:17]
	v_fma_f64 v[16:17], -v[12:13], v[14:15], 1.0
	v_fmac_f64_e32 v[14:15], v[14:15], v[16:17]
	v_div_scale_f64 v[16:17], vcc, 1.0, v[8:9], 1.0
	v_mul_f64 v[30:31], v[16:17], v[14:15]
	v_fma_f64 v[12:13], -v[12:13], v[30:31], v[16:17]
	s_nop 1
	v_div_fmas_f64 v[12:13], v[12:13], v[14:15], v[30:31]
	v_div_fixup_f64 v[8:9], v[12:13], v[8:9], 1.0
	v_mul_f64 v[10:11], v[10:11], v[8:9]
.LBB253_132:                            ;   in Loop: Header=BB253_124 Depth=2
	v_mul_f64 v[12:13], v[2:3], v[8:9]
	v_fma_f64 v[4:5], v[4:5], v[10:11], -v[12:13]
	s_branch .LBB253_134
.LBB253_133:                            ;   in Loop: Header=BB253_124 Depth=2
	v_xor_b32_e32 v3, 0x80000000, v3
	v_mov_b32_e32 v8, 0
	v_pk_mov_b32 v[10:11], 0, 0
	v_mov_b32_e32 v9, 0x3ff00000
	v_pk_mov_b32 v[4:5], v[2:3], v[2:3] op_sel:[0,1]
.LBB253_134:                            ;   in Loop: Header=BB253_124 Depth=2
	s_add_u32 s30, s18, s78
	s_addc_u32 s31, s19, s79
	global_store_dwordx2 v6, v[4:5], s[30:31]
	s_add_u32 s30, s95, s78
	s_addc_u32 s31, s21, s79
	s_add_u32 s38, s60, s78
	s_addc_u32 s39, s61, s79
	global_load_dwordx2 v[4:5], v6, s[38:39]
	global_load_dwordx2 v[2:3], v6, s[30:31]
	s_add_u32 s80, s71, s78
	s_addc_u32 s81, s75, s79
	s_and_b64 vcc, exec, s[12:13]
	s_waitcnt vmcnt(1)
	v_mul_f64 v[12:13], v[10:11], v[4:5]
	s_waitcnt vmcnt(0)
	v_fmac_f64_e32 v[12:13], v[8:9], v[2:3]
	global_store_dwordx2 v6, v[12:13], s[38:39]
	global_load_dwordx2 v[12:13], v6, s[80:81]
	s_waitcnt vmcnt(0)
	v_mul_f64 v[14:15], v[10:11], v[12:13]
	global_store_dwordx2 v6, v[14:15], s[80:81]
	s_cbranch_vccnz .LBB253_136
; %bb.135:                              ;   in Loop: Header=BB253_124 Depth=2
	s_add_u32 s88, s42, s78
	s_addc_u32 s89, s43, s79
	s_add_u32 vcc_lo, s90, s78
	s_addc_u32 vcc_hi, s91, s79
	global_store_dwordx2 v6, v[10:11], s[88:89]
	global_store_dwordx2 v6, v[8:9], vcc
.LBB253_136:                            ;   in Loop: Header=BB253_124 Depth=2
	s_andn2_b64 vcc, exec, s[82:83]
	s_cbranch_vccnz .LBB253_138
; %bb.137:                              ;   in Loop: Header=BB253_124 Depth=2
	s_add_u32 s88, s28, s78
	s_addc_u32 s89, s29, s79
	s_add_u32 vcc_lo, s92, s78
	s_addc_u32 vcc_hi, s93, s79
	global_store_dwordx2 v6, v[10:11], s[88:89]
	global_store_dwordx2 v6, v[8:9], vcc
.LBB253_138:                            ;   in Loop: Header=BB253_124 Depth=2
	v_mul_f64 v[4:5], v[8:9], v[4:5]
	v_fma_f64 v[4:5], v[10:11], v[2:3], -v[4:5]
	v_mul_f64 v[2:3], v[12:13], -v[8:9]
	v_cmp_eq_f64_e32 vcc, 0, v[2:3]
	v_pk_mov_b32 v[10:11], 0, 0
	s_cbranch_vccnz .LBB253_142
; %bb.139:                              ;   in Loop: Header=BB253_124 Depth=2
	v_cmp_neq_f64_e32 vcc, 0, v[4:5]
	s_cbranch_vccz .LBB253_143
; %bb.140:                              ;   in Loop: Header=BB253_124 Depth=2
	v_cmp_ngt_f64_e64 s[88:89], |v[2:3]|, |v[4:5]|
	s_and_b64 vcc, exec, s[88:89]
	s_cbranch_vccz .LBB253_144
; %bb.141:                              ;   in Loop: Header=BB253_124 Depth=2
	v_div_scale_f64 v[8:9], s[88:89], v[4:5], v[4:5], -v[2:3]
	v_rcp_f64_e32 v[10:11], v[8:9]
	v_div_scale_f64 v[12:13], vcc, -v[2:3], v[4:5], -v[2:3]
	v_fma_f64 v[14:15], -v[8:9], v[10:11], 1.0
	v_fmac_f64_e32 v[10:11], v[10:11], v[14:15]
	v_fma_f64 v[14:15], -v[8:9], v[10:11], 1.0
	v_fmac_f64_e32 v[10:11], v[10:11], v[14:15]
	v_mul_f64 v[14:15], v[12:13], v[10:11]
	v_fma_f64 v[8:9], -v[8:9], v[14:15], v[12:13]
	v_div_fmas_f64 v[8:9], v[8:9], v[10:11], v[14:15]
	v_div_fixup_f64 v[10:11], v[8:9], v[4:5], -v[2:3]
	v_fma_f64 v[8:9], v[10:11], v[10:11], 1.0
	v_cmp_gt_f64_e32 vcc, s[40:41], v[8:9]
	v_cndmask_b32_e64 v7, 0, 1, vcc
	v_lshlrev_b32_e32 v7, 8, v7
	v_ldexp_f64 v[8:9], v[8:9], v7
	v_rsq_f64_e32 v[12:13], v[8:9]
	s_and_b64 s[88:89], vcc, exec
	s_cselect_b32 s88, 0xffffff80, 0
	v_cmp_class_f64_e32 vcc, v[8:9], v27
	v_mul_f64 v[14:15], v[8:9], v[12:13]
	v_mul_f64 v[12:13], v[12:13], 0.5
	v_fma_f64 v[16:17], -v[12:13], v[14:15], 0.5
	v_fmac_f64_e32 v[14:15], v[14:15], v[16:17]
	v_fmac_f64_e32 v[12:13], v[12:13], v[16:17]
	v_fma_f64 v[16:17], -v[14:15], v[14:15], v[8:9]
	v_fmac_f64_e32 v[14:15], v[16:17], v[12:13]
	v_fma_f64 v[16:17], -v[14:15], v[14:15], v[8:9]
	v_fmac_f64_e32 v[14:15], v[16:17], v[12:13]
	v_ldexp_f64 v[12:13], v[14:15], s88
	v_cndmask_b32_e32 v9, v13, v9, vcc
	v_cndmask_b32_e32 v8, v12, v8, vcc
	v_div_scale_f64 v[12:13], s[88:89], v[8:9], v[8:9], 1.0
	v_rcp_f64_e32 v[14:15], v[12:13]
	v_fma_f64 v[16:17], -v[12:13], v[14:15], 1.0
	v_fmac_f64_e32 v[14:15], v[14:15], v[16:17]
	v_fma_f64 v[16:17], -v[12:13], v[14:15], 1.0
	v_fmac_f64_e32 v[14:15], v[14:15], v[16:17]
	v_div_scale_f64 v[16:17], vcc, 1.0, v[8:9], 1.0
	v_mul_f64 v[30:31], v[16:17], v[14:15]
	v_fma_f64 v[12:13], -v[12:13], v[30:31], v[16:17]
	s_nop 1
	v_div_fmas_f64 v[12:13], v[12:13], v[14:15], v[30:31]
	v_div_fixup_f64 v[8:9], v[12:13], v[8:9], 1.0
	v_mul_f64 v[10:11], v[10:11], v[8:9]
	s_cbranch_execz .LBB253_145
	s_branch .LBB253_146
.LBB253_142:                            ;   in Loop: Header=BB253_124 Depth=2
	v_mov_b32_e32 v8, 0
	v_mov_b32_e32 v9, 0x3ff00000
	s_branch .LBB253_148
.LBB253_143:                            ;   in Loop: Header=BB253_124 Depth=2
                                        ; implicit-def: $vgpr4_vgpr5
                                        ; implicit-def: $vgpr8_vgpr9
                                        ; implicit-def: $vgpr10_vgpr11
	s_cbranch_execnz .LBB253_147
	s_branch .LBB253_148
.LBB253_144:                            ;   in Loop: Header=BB253_124 Depth=2
                                        ; implicit-def: $vgpr8_vgpr9
                                        ; implicit-def: $vgpr10_vgpr11
.LBB253_145:                            ;   in Loop: Header=BB253_124 Depth=2
	v_div_scale_f64 v[8:9], s[88:89], v[2:3], v[2:3], -v[4:5]
	v_rcp_f64_e32 v[10:11], v[8:9]
	v_div_scale_f64 v[12:13], vcc, -v[4:5], v[2:3], -v[4:5]
	v_fma_f64 v[14:15], -v[8:9], v[10:11], 1.0
	v_fmac_f64_e32 v[10:11], v[10:11], v[14:15]
	v_fma_f64 v[14:15], -v[8:9], v[10:11], 1.0
	v_fmac_f64_e32 v[10:11], v[10:11], v[14:15]
	v_mul_f64 v[14:15], v[12:13], v[10:11]
	v_fma_f64 v[8:9], -v[8:9], v[14:15], v[12:13]
	v_div_fmas_f64 v[8:9], v[8:9], v[10:11], v[14:15]
	v_div_fixup_f64 v[8:9], v[8:9], v[2:3], -v[4:5]
	v_fma_f64 v[10:11], v[8:9], v[8:9], 1.0
	v_cmp_gt_f64_e32 vcc, s[40:41], v[10:11]
	v_cndmask_b32_e64 v7, 0, 1, vcc
	v_lshlrev_b32_e32 v7, 8, v7
	v_ldexp_f64 v[10:11], v[10:11], v7
	v_rsq_f64_e32 v[12:13], v[10:11]
	s_and_b64 s[88:89], vcc, exec
	s_cselect_b32 s88, 0xffffff80, 0
	v_cmp_class_f64_e32 vcc, v[10:11], v27
	v_mul_f64 v[14:15], v[10:11], v[12:13]
	v_mul_f64 v[12:13], v[12:13], 0.5
	v_fma_f64 v[16:17], -v[12:13], v[14:15], 0.5
	v_fmac_f64_e32 v[14:15], v[14:15], v[16:17]
	v_fmac_f64_e32 v[12:13], v[12:13], v[16:17]
	v_fma_f64 v[16:17], -v[14:15], v[14:15], v[10:11]
	v_fmac_f64_e32 v[14:15], v[16:17], v[12:13]
	v_fma_f64 v[16:17], -v[14:15], v[14:15], v[10:11]
	v_fmac_f64_e32 v[14:15], v[16:17], v[12:13]
	v_ldexp_f64 v[12:13], v[14:15], s88
	v_cndmask_b32_e32 v11, v13, v11, vcc
	v_cndmask_b32_e32 v10, v12, v10, vcc
	v_div_scale_f64 v[12:13], s[88:89], v[10:11], v[10:11], 1.0
	v_rcp_f64_e32 v[14:15], v[12:13]
	v_fma_f64 v[16:17], -v[12:13], v[14:15], 1.0
	v_fmac_f64_e32 v[14:15], v[14:15], v[16:17]
	v_fma_f64 v[16:17], -v[12:13], v[14:15], 1.0
	v_fmac_f64_e32 v[14:15], v[14:15], v[16:17]
	v_div_scale_f64 v[16:17], vcc, 1.0, v[10:11], 1.0
	v_mul_f64 v[30:31], v[16:17], v[14:15]
	v_fma_f64 v[12:13], -v[12:13], v[30:31], v[16:17]
	s_nop 1
	v_div_fmas_f64 v[12:13], v[12:13], v[14:15], v[30:31]
	v_div_fixup_f64 v[10:11], v[12:13], v[10:11], 1.0
	v_mul_f64 v[8:9], v[8:9], v[10:11]
.LBB253_146:                            ;   in Loop: Header=BB253_124 Depth=2
	v_mul_f64 v[12:13], v[2:3], v[10:11]
	v_fma_f64 v[4:5], v[4:5], v[8:9], -v[12:13]
	s_branch .LBB253_148
.LBB253_147:                            ;   in Loop: Header=BB253_124 Depth=2
	v_mov_b32_e32 v10, 0
	v_xor_b32_e32 v5, 0x80000000, v3
	v_mov_b32_e32 v4, v2
	v_pk_mov_b32 v[8:9], 0, 0
	v_mov_b32_e32 v11, 0x3ff00000
.LBB253_148:                            ;   in Loop: Header=BB253_124 Depth=2
	global_store_dwordx2 v6, v[4:5], s[30:31]
	global_load_dwordx2 v[12:13], v6, s[80:81]
	s_nop 0
	global_load_dwordx2 v[4:5], v6, s[38:39]
	s_cmp_ge_i32 s94, s65
	s_waitcnt vmcnt(1)
	v_mul_f64 v[14:15], v[8:9], v[12:13]
	s_waitcnt vmcnt(0)
	v_fmac_f64_e32 v[14:15], v[10:11], v[4:5]
	global_store_dwordx2 v6, v[14:15], s[80:81]
	s_cbranch_scc0 .LBB253_151
; %bb.149:                              ;   in Loop: Header=BB253_124 Depth=2
	s_and_b64 vcc, exec, s[14:15]
	s_cbranch_vccz .LBB253_152
.LBB253_150:                            ;   in Loop: Header=BB253_124 Depth=2
	s_andn2_b64 vcc, exec, s[84:85]
	s_cbranch_vccnz .LBB253_123
	s_branch .LBB253_153
.LBB253_151:                            ;   in Loop: Header=BB253_124 Depth=2
	s_add_u32 s30, s58, s78
	s_addc_u32 s31, s59, s79
	global_load_dwordx2 v[14:15], v6, s[30:31]
	s_waitcnt vmcnt(0)
	v_mul_f64 v[2:3], v[14:15], -v[10:11]
	v_mul_f64 v[14:15], v[8:9], v[14:15]
	global_store_dwordx2 v6, v[14:15], s[30:31]
	s_and_b64 vcc, exec, s[14:15]
	s_cbranch_vccnz .LBB253_150
.LBB253_152:                            ;   in Loop: Header=BB253_124 Depth=2
	s_add_u32 s30, s42, s78
	s_addc_u32 s31, s43, s79
	s_add_u32 s38, s90, s78
	s_addc_u32 s39, s91, s79
	global_store_dwordx2 v6, v[8:9], s[30:31]
	global_store_dwordx2 v6, v[10:11], s[38:39]
	s_andn2_b64 vcc, exec, s[84:85]
	s_cbranch_vccnz .LBB253_123
.LBB253_153:                            ;   in Loop: Header=BB253_124 Depth=2
	s_add_u32 s30, s28, s78
	s_addc_u32 s31, s29, s79
	s_add_u32 s38, s92, s78
	s_addc_u32 s39, s93, s79
	global_store_dwordx2 v6, v[8:9], s[30:31]
	global_store_dwordx2 v6, v[10:11], s[38:39]
	s_branch .LBB253_123
.LBB253_154:                            ;   in Loop: Header=BB253_11 Depth=1
	v_readlane_b32 s60, v44, 29
	v_readlane_b32 s61, v44, 30
	;; [unrolled: 1-line block ×3, first 2 shown]
.LBB253_155:                            ;   in Loop: Header=BB253_11 Depth=1
	v_readlane_b32 s90, v44, 22
	v_readlane_b32 s92, v44, 24
	;; [unrolled: 1-line block ×6, first 2 shown]
.LBB253_156:                            ;   in Loop: Header=BB253_11 Depth=1
	s_and_b64 s[12:13], s[76:77], exec
	s_cselect_b32 s12, s65, 0
	s_ashr_i32 s13, s12, 31
	s_lshl_b64 s[12:13], s[12:13], 3
	s_add_u32 s10, s10, s12
	s_addc_u32 s11, s11, s13
	global_store_dwordx2 v6, v[4:5], s[10:11]
.LBB253_157:                            ;   in Loop: Header=BB253_11 Depth=1
	s_or_b64 exec, exec, s[4:5]
	s_andn2_b64 vcc, exec, s[90:91]
	s_barrier
	s_cbranch_vccnz .LBB253_165
; %bb.158:                              ;   in Loop: Header=BB253_11 Depth=1
	s_and_saveexec_b64 s[12:13], s[92:93]
	s_cbranch_execz .LBB253_164
; %bb.159:                              ;   in Loop: Header=BB253_11 Depth=1
	s_lshl_b64 s[4:5], s[66:67], 4
	s_add_u32 s14, s48, s4
	s_addc_u32 s15, s49, s5
	s_load_dword s5, s[56:57], 0xc
	s_add_i32 s4, s62, -1
	s_cmp_eq_u32 s70, 0
	s_cselect_b32 s10, s62, 0
	s_cselect_b32 s4, s4, 0
	s_cmp_gt_i32 s62, 0
	s_cselect_b64 s[30:31], -1, 0
	s_waitcnt lgkmcnt(0)
	s_and_b32 s11, s5, 0xffff
	s_lshl_b32 s5, s70, 1
	s_add_i32 s42, s5, -2
	s_ashr_i32 s43, s42, 31
	s_lshl_b64 s[38:39], s[42:43], 4
	s_ashr_i32 s65, s64, 31
	s_or_b32 s38, s38, 16
	s_not_b64 s[76:77], s[42:43]
	s_add_i32 s5, s5, s10
	s_or_b32 s19, s42, 1
	s_lshl_b64 s[28:29], s[64:65], 3
	v_add_u32_e32 v10, s5, v24
	s_sub_u32 s5, s28, s68
	s_subb_u32 s29, s29, s69
	s_add_u32 s28, s5, 40
	s_addc_u32 s29, s29, 0
	s_ashr_i32 s5, s4, 31
	s_lshl_b64 s[4:5], s[4:5], 3
	s_lshl_b64 s[58:59], s[72:73], 3
	s_add_u32 s4, s4, s58
	s_addc_u32 s5, s5, s59
	v_readlane_b32 s58, v44, 8
	s_add_u32 s78, s58, s4
	v_readlane_b32 s4, v44, 10
	s_addc_u32 s79, s4, s5
	s_lshl_b64 s[80:81], s[42:43], 3
	v_add_u32_e32 v8, s10, v23
	s_mul_i32 s18, s23, s11
	s_mov_b32 s21, s43
	s_or_b32 s80, s80, 8
	s_mov_b64 s[82:83], 0
	v_mov_b32_e32 v7, v0
	s_branch .LBB253_161
.LBB253_160:                            ;   in Loop: Header=BB253_161 Depth=2
	v_lshlrev_b64 v[12:13], 4, v[12:13]
	v_mov_b32_e32 v9, s15
	v_add_co_u32_e32 v12, vcc, s14, v12
	v_addc_co_u32_e32 v13, vcc, v9, v13, vcc
	v_add_u32_e32 v7, s11, v7
	v_cmp_le_i32_e32 vcc, s45, v7
	v_add_u32_e32 v8, s18, v8
	s_or_b64 s[82:83], vcc, s[82:83]
	v_add_u32_e32 v10, s18, v10
	s_waitcnt vmcnt(0) lgkmcnt(0)
	flat_store_dwordx4 v[12:13], v[2:5]
	s_andn2_b64 exec, exec, s[82:83]
	s_cbranch_execz .LBB253_164
.LBB253_161:                            ;   Parent Loop BB253_11 Depth=1
                                        ; =>  This Loop Header: Depth=2
                                        ;       Child Loop BB253_163 Depth 3
	v_mul_lo_u32 v2, v7, s23
	v_add_u32_e32 v12, s10, v2
	v_ashrrev_i32_e32 v13, 31, v12
	v_lshlrev_b64 v[2:3], 4, v[12:13]
	v_mov_b32_e32 v4, s15
	v_add_co_u32_e32 v2, vcc, s14, v2
	v_addc_co_u32_e32 v3, vcc, v4, v3, vcc
	flat_load_dwordx4 v[2:5], v[2:3]
	s_andn2_b64 vcc, exec, s[30:31]
	s_cbranch_vccnz .LBB253_160
; %bb.162:                              ;   in Loop: Header=BB253_161 Depth=2
	v_ashrrev_i32_e32 v9, 31, v8
	v_lshlrev_b64 v[14:15], 4, v[8:9]
	v_ashrrev_i32_e32 v11, 31, v10
	v_mov_b32_e32 v9, s77
	v_add_co_u32_e32 v12, vcc, s76, v10
	v_addc_co_u32_e32 v13, vcc, v9, v11, vcc
	v_lshlrev_b64 v[16:17], 4, v[10:11]
	s_mov_b64 s[84:85], s[78:79]
	s_mov_b64 s[86:87], s[14:15]
	s_mov_b32 s42, s62
.LBB253_163:                            ;   Parent Loop BB253_11 Depth=1
                                        ;     Parent Loop BB253_161 Depth=2
                                        ; =>    This Inner Loop Header: Depth=3
	v_mov_b32_e32 v9, s87
	v_add_co_u32_e32 v30, vcc, s86, v16
	s_add_u32 s4, s84, s28
	v_addc_co_u32_e32 v31, vcc, v9, v17, vcc
	s_addc_u32 s5, s85, s29
	flat_load_dwordx4 v[30:33], v[30:31]
	s_nop 0
	global_load_dwordx2 v[38:39], v6, s[4:5]
	global_load_dwordx2 v[40:41], v6, s[84:85] offset:32
	s_add_i32 s42, s42, -1
	v_add_co_u32_e64 v42, s[4:5], s86, v14
	s_add_u32 s86, s86, s38
	s_addc_u32 s87, s87, s39
	s_add_u32 s84, s84, s80
	v_mov_b32_e32 v11, s21
	v_add_co_u32_e32 v12, vcc, s19, v12
	s_addc_u32 s85, s85, s81
	v_addc_co_u32_e64 v43, s[4:5], v9, v15, s[4:5]
	v_addc_co_u32_e32 v13, vcc, v13, v11, vcc
	s_cmp_eq_u32 s42, 0
	s_waitcnt vmcnt(0) lgkmcnt(0)
	v_mul_f64 v[34:35], v[30:31], v[38:39]
	v_mul_f64 v[36:37], v[32:33], v[38:39]
	v_fma_f64 v[34:35], v[2:3], v[40:41], -v[34:35]
	v_fma_f64 v[36:37], v[4:5], v[40:41], -v[36:37]
	v_mul_f64 v[2:3], v[2:3], v[38:39]
	v_mul_f64 v[4:5], v[4:5], v[38:39]
	v_fmac_f64_e32 v[2:3], v[30:31], v[40:41]
	v_fmac_f64_e32 v[4:5], v[32:33], v[40:41]
	flat_store_dwordx4 v[42:43], v[34:37]
	s_cbranch_scc0 .LBB253_163
	s_branch .LBB253_160
.LBB253_164:                            ;   in Loop: Header=BB253_11 Depth=1
	s_or_b64 exec, exec, s[12:13]
.LBB253_165:                            ;   in Loop: Header=BB253_11 Depth=1
	s_andn2_b64 vcc, exec, s[94:95]
	s_cbranch_vccnz .LBB253_173
; %bb.166:                              ;   in Loop: Header=BB253_11 Depth=1
	s_mov_b64 s[4:5], exec
	v_readlane_b32 s10, v44, 12
	v_readlane_b32 s11, v44, 13
	s_and_b64 s[10:11], s[4:5], s[10:11]
	s_mov_b64 exec, s[10:11]
	s_cbranch_execz .LBB253_172
; %bb.167:                              ;   in Loop: Header=BB253_11 Depth=1
	s_mul_i32 s10, s66, s61
	s_ashr_i32 s11, s10, 31
	s_lshl_b64 s[10:11], s[10:11], 4
	s_add_u32 s10, s34, s10
	s_addc_u32 s11, s35, s11
	s_add_i32 s12, s62, -1
	s_load_dword s15, s[56:57], 0xc
	s_cmp_eq_u32 s70, 0
	s_cselect_b32 s12, s12, 0
	s_cselect_b32 s38, s62, 0
	s_add_i32 s14, s12, s63
	s_cmp_gt_i32 s62, 0
	s_cselect_b64 s[12:13], -1, 0
	s_waitcnt lgkmcnt(0)
	s_and_b32 s19, s15, 0xffff
	s_ashr_i32 s15, s14, 31
	s_lshl_b64 s[28:29], s[72:73], 3
	s_lshl_b64 s[14:15], s[14:15], 3
	s_add_u32 s14, s28, s14
	s_addc_u32 s15, s29, s15
	v_readlane_b32 s21, v44, 8
	s_add_u32 s14, s21, s14
	v_readlane_b32 s21, v44, 10
	s_addc_u32 s15, s21, s15
	s_lshl_b32 s39, s70, 1
	s_add_i32 s28, s39, -2
	s_ashr_i32 s29, s28, 31
	s_lshl_b64 s[30:31], s[28:29], 3
	s_ashr_i32 s65, s64, 31
	s_or_b32 s30, s30, 8
	s_lshl_b64 s[28:29], s[64:65], 3
	s_sub_u32 s21, s28, s68
	s_subb_u32 s28, s29, s69
	s_add_u32 s21, s21, 40
	s_mul_i32 s18, s38, s61
	s_addc_u32 s28, s28, 0
	s_add_i32 s38, s38, s39
	s_add_i32 s38, s38, -1
	s_mul_i32 s38, s61, s38
	v_add_u32_e32 v7, s18, v0
	s_mul_i32 s29, s61, s74
	v_add_u32_e32 v10, s38, v0
	s_mov_b64 s[38:39], 0
	v_mov_b32_e32 v11, v0
	s_branch .LBB253_169
.LBB253_168:                            ;   in Loop: Header=BB253_169 Depth=2
	v_lshlrev_b64 v[8:9], 4, v[8:9]
	v_mov_b32_e32 v12, s11
	v_add_co_u32_e32 v8, vcc, s10, v8
	v_addc_co_u32_e32 v9, vcc, v12, v9, vcc
	v_add_u32_e32 v11, s19, v11
	v_cmp_le_i32_e32 vcc, s46, v11
	v_add_u32_e32 v7, s19, v7
	s_or_b64 s[38:39], vcc, s[38:39]
	v_add_u32_e32 v10, s19, v10
	s_waitcnt vmcnt(0) lgkmcnt(0)
	flat_store_dwordx4 v[8:9], v[2:5]
	s_andn2_b64 exec, exec, s[38:39]
	s_cbranch_execz .LBB253_172
.LBB253_169:                            ;   Parent Loop BB253_11 Depth=1
                                        ; =>  This Loop Header: Depth=2
                                        ;       Child Loop BB253_171 Depth 3
	v_add_u32_e32 v8, s18, v11
	v_ashrrev_i32_e32 v9, 31, v8
	v_lshlrev_b64 v[2:3], 4, v[8:9]
	v_mov_b32_e32 v4, s11
	v_add_co_u32_e32 v2, vcc, s10, v2
	v_addc_co_u32_e32 v3, vcc, v4, v3, vcc
	flat_load_dwordx4 v[2:5], v[2:3]
	s_andn2_b64 vcc, exec, s[12:13]
	s_cbranch_vccnz .LBB253_168
; %bb.170:                              ;   in Loop: Header=BB253_169 Depth=2
	s_mov_b32 s42, 0
	s_mov_b64 s[74:75], s[14:15]
	s_mov_b32 s43, s62
.LBB253_171:                            ;   Parent Loop BB253_11 Depth=1
                                        ;     Parent Loop BB253_169 Depth=2
                                        ; =>    This Inner Loop Header: Depth=3
	v_add_u32_e32 v8, s42, v10
	v_ashrrev_i32_e32 v9, 31, v8
	s_add_u32 s58, s74, s21
	v_lshlrev_b64 v[12:13], 4, v[8:9]
	v_mov_b32_e32 v29, s11
	s_addc_u32 s59, s75, s28
	v_add_co_u32_e32 v12, vcc, s10, v12
	global_load_dwordx2 v[16:17], v6, s[58:59]
	v_addc_co_u32_e32 v13, vcc, v29, v13, vcc
	flat_load_dwordx4 v[12:15], v[12:13]
	s_nop 0
	global_load_dwordx2 v[34:35], v6, s[74:75] offset:32
	v_add_u32_e32 v30, s42, v7
	v_ashrrev_i32_e32 v31, 31, v30
	v_lshlrev_b64 v[30:31], 4, v[30:31]
	s_add_i32 s43, s43, -1
	v_add_co_u32_e32 v36, vcc, s10, v30
	s_add_u32 s74, s74, s30
	v_addc_co_u32_e32 v37, vcc, v29, v31, vcc
	s_addc_u32 s75, s75, s31
	s_add_i32 s42, s42, s29
	s_cmp_eq_u32 s43, 0
	s_waitcnt vmcnt(0) lgkmcnt(0)
	v_mul_f64 v[30:31], v[12:13], v[16:17]
	v_mul_f64 v[32:33], v[14:15], v[16:17]
	v_fma_f64 v[30:31], v[2:3], v[34:35], -v[30:31]
	v_fma_f64 v[32:33], v[4:5], v[34:35], -v[32:33]
	v_mul_f64 v[2:3], v[2:3], v[16:17]
	v_mul_f64 v[4:5], v[4:5], v[16:17]
	v_fmac_f64_e32 v[2:3], v[12:13], v[34:35]
	v_fmac_f64_e32 v[4:5], v[14:15], v[34:35]
	flat_store_dwordx4 v[36:37], v[30:33]
	s_cbranch_scc0 .LBB253_171
	s_branch .LBB253_168
.LBB253_172:                            ;   in Loop: Header=BB253_11 Depth=1
	s_or_b64 exec, exec, s[4:5]
.LBB253_173:                            ;   in Loop: Header=BB253_11 Depth=1
	v_readlane_b32 s4, v44, 4
	v_readlane_b32 s5, v44, 5
	s_andn2_b64 vcc, exec, s[4:5]
	s_cbranch_vccnz .LBB253_10
; %bb.174:                              ;   in Loop: Header=BB253_11 Depth=1
	s_mov_b64 s[12:13], exec
	v_readlane_b32 s4, v44, 14
	v_readlane_b32 s5, v44, 15
	s_and_b64 s[4:5], s[12:13], s[4:5]
	s_mov_b64 exec, s[4:5]
	s_cbranch_execz .LBB253_9
; %bb.175:                              ;   in Loop: Header=BB253_11 Depth=1
	s_lshl_b64 s[4:5], s[66:67], 4
	s_add_u32 s14, s52, s4
	s_addc_u32 s15, s53, s5
	s_add_i32 s4, s62, -1
	s_load_dword s5, s[56:57], 0xc
	s_cmp_eq_u32 s70, 0
	s_cselect_b32 s4, s4, 0
	s_cselect_b32 s10, s62, 0
	s_add_i32 s4, s4, s63
	s_cmp_gt_i32 s62, 0
	s_cselect_b64 s[30:31], -1, 0
	s_waitcnt lgkmcnt(0)
	s_and_b32 s11, s5, 0xffff
	s_ashr_i32 s5, s4, 31
	s_lshl_b64 s[18:19], s[72:73], 3
	s_lshl_b64 s[4:5], s[4:5], 3
	s_add_u32 s4, s18, s4
	s_addc_u32 s5, s19, s5
	v_readlane_b32 s18, v44, 8
	s_add_u32 s38, s18, s4
	v_readlane_b32 s4, v44, 10
	s_addc_u32 s39, s4, s5
	s_lshl_b32 s21, s70, 1
	s_add_i32 s66, s21, -2
	s_ashr_i32 s67, s66, 31
	s_lshl_b64 s[70:71], s[66:67], 3
	s_ashr_i32 s65, s64, 31
	s_or_b32 s70, s70, 8
	s_lshl_b64 s[4:5], s[64:65], 3
	s_sub_u32 s4, s4, s68
	s_subb_u32 s5, s5, s69
	s_add_u32 s18, s4, 40
	s_addc_u32 s19, s5, 0
	s_add_i32 s21, s21, s10
	s_lshl_b64 s[64:65], s[66:67], 4
	v_add_u32_e32 v8, s21, v26
	s_mul_i32 s21, s51, s11
	s_or_b32 s64, s64, 16
	v_add_u32_e32 v10, s10, v25
	s_not_b64 s[68:69], s[66:67]
	s_or_b32 s66, s66, 1
	s_mov_b64 s[72:73], 0
	v_mov_b32_e32 v7, v0
	s_branch .LBB253_177
.LBB253_176:                            ;   in Loop: Header=BB253_177 Depth=2
	v_lshlrev_b64 v[12:13], 4, v[12:13]
	v_mov_b32_e32 v9, s15
	v_add_co_u32_e32 v12, vcc, s14, v12
	v_addc_co_u32_e32 v13, vcc, v9, v13, vcc
	v_add_u32_e32 v7, s11, v7
	v_cmp_le_i32_e32 vcc, s47, v7
	v_add_u32_e32 v8, s21, v8
	s_or_b64 s[72:73], vcc, s[72:73]
	v_add_u32_e32 v10, s21, v10
	s_waitcnt vmcnt(0) lgkmcnt(0)
	flat_store_dwordx4 v[12:13], v[2:5]
	s_andn2_b64 exec, exec, s[72:73]
	s_cbranch_execz .LBB253_9
.LBB253_177:                            ;   Parent Loop BB253_11 Depth=1
                                        ; =>  This Loop Header: Depth=2
                                        ;       Child Loop BB253_179 Depth 3
	v_mul_lo_u32 v2, v7, s51
	v_add_u32_e32 v12, s10, v2
	v_ashrrev_i32_e32 v13, 31, v12
	v_lshlrev_b64 v[2:3], 4, v[12:13]
	v_mov_b32_e32 v4, s15
	v_add_co_u32_e32 v2, vcc, s14, v2
	v_addc_co_u32_e32 v3, vcc, v4, v3, vcc
	flat_load_dwordx4 v[2:5], v[2:3]
	s_andn2_b64 vcc, exec, s[30:31]
	s_cbranch_vccnz .LBB253_176
; %bb.178:                              ;   in Loop: Header=BB253_177 Depth=2
	v_ashrrev_i32_e32 v11, 31, v10
	v_ashrrev_i32_e32 v9, 31, v8
	v_lshlrev_b64 v[16:17], 4, v[10:11]
	v_mov_b32_e32 v11, s69
	v_add_co_u32_e32 v12, vcc, s68, v8
	v_lshlrev_b64 v[14:15], 4, v[8:9]
	v_addc_co_u32_e32 v13, vcc, v11, v9, vcc
	s_mov_b64 s[74:75], s[14:15]
	s_mov_b64 s[76:77], s[38:39]
	s_mov_b32 s28, s62
.LBB253_179:                            ;   Parent Loop BB253_11 Depth=1
                                        ;     Parent Loop BB253_177 Depth=2
                                        ; =>    This Inner Loop Header: Depth=3
	v_mov_b32_e32 v9, s75
	v_add_co_u32_e32 v30, vcc, s74, v14
	s_add_u32 s4, s76, s18
	v_addc_co_u32_e32 v31, vcc, v9, v15, vcc
	s_addc_u32 s5, s77, s19
	flat_load_dwordx4 v[30:33], v[30:31]
	s_nop 0
	global_load_dwordx2 v[38:39], v6, s[4:5]
	global_load_dwordx2 v[40:41], v6, s[76:77] offset:32
	s_add_i32 s28, s28, -1
	s_add_u32 s76, s76, s70
	s_addc_u32 s77, s77, s71
	v_add_co_u32_e64 v42, s[4:5], s74, v16
	s_add_u32 s74, s74, s64
	v_mov_b32_e32 v11, s67
	v_add_co_u32_e32 v12, vcc, s66, v12
	s_addc_u32 s75, s75, s65
	v_addc_co_u32_e64 v43, s[4:5], v9, v17, s[4:5]
	v_addc_co_u32_e32 v13, vcc, v13, v11, vcc
	s_cmp_eq_u32 s28, 0
	s_waitcnt vmcnt(0) lgkmcnt(0)
	v_mul_f64 v[34:35], v[30:31], v[38:39]
	v_mul_f64 v[36:37], v[32:33], v[38:39]
	v_fma_f64 v[34:35], v[2:3], v[40:41], -v[34:35]
	v_fma_f64 v[36:37], v[4:5], v[40:41], -v[36:37]
	v_mul_f64 v[2:3], v[2:3], v[38:39]
	v_mul_f64 v[4:5], v[4:5], v[38:39]
	v_fmac_f64_e32 v[2:3], v[30:31], v[40:41]
	v_fmac_f64_e32 v[4:5], v[32:33], v[40:41]
	flat_store_dwordx4 v[42:43], v[34:37]
	s_cbranch_scc0 .LBB253_179
	s_branch .LBB253_176
.LBB253_180:
	s_endpgm
	.section	.rodata,"a",@progbits
	.p2align	6, 0x0
	.amdhsa_kernel _ZN9rocsolver6v33100L13bdsqr_computeILi256E19rocblas_complex_numIdEdPS3_S4_S4_EEviiiiPT1_lS6_lT2_iilT3_iilT4_iiliS5_S5_S5_S5_PiS6_ilSA_
		.amdhsa_group_segment_fixed_size 2072
		.amdhsa_private_segment_fixed_size 0
		.amdhsa_kernarg_size 456
		.amdhsa_user_sgpr_count 6
		.amdhsa_user_sgpr_private_segment_buffer 1
		.amdhsa_user_sgpr_dispatch_ptr 0
		.amdhsa_user_sgpr_queue_ptr 0
		.amdhsa_user_sgpr_kernarg_segment_ptr 1
		.amdhsa_user_sgpr_dispatch_id 0
		.amdhsa_user_sgpr_flat_scratch_init 0
		.amdhsa_user_sgpr_kernarg_preload_length 0
		.amdhsa_user_sgpr_kernarg_preload_offset 0
		.amdhsa_user_sgpr_private_segment_size 0
		.amdhsa_uses_dynamic_stack 0
		.amdhsa_system_sgpr_private_segment_wavefront_offset 0
		.amdhsa_system_sgpr_workgroup_id_x 1
		.amdhsa_system_sgpr_workgroup_id_y 1
		.amdhsa_system_sgpr_workgroup_id_z 1
		.amdhsa_system_sgpr_workgroup_info 0
		.amdhsa_system_vgpr_workitem_id 0
		.amdhsa_next_free_vgpr 45
		.amdhsa_next_free_sgpr 96
		.amdhsa_accum_offset 48
		.amdhsa_reserve_vcc 1
		.amdhsa_reserve_flat_scratch 0
		.amdhsa_float_round_mode_32 0
		.amdhsa_float_round_mode_16_64 0
		.amdhsa_float_denorm_mode_32 3
		.amdhsa_float_denorm_mode_16_64 3
		.amdhsa_dx10_clamp 1
		.amdhsa_ieee_mode 1
		.amdhsa_fp16_overflow 0
		.amdhsa_tg_split 0
		.amdhsa_exception_fp_ieee_invalid_op 0
		.amdhsa_exception_fp_denorm_src 0
		.amdhsa_exception_fp_ieee_div_zero 0
		.amdhsa_exception_fp_ieee_overflow 0
		.amdhsa_exception_fp_ieee_underflow 0
		.amdhsa_exception_fp_ieee_inexact 0
		.amdhsa_exception_int_div_zero 0
	.end_amdhsa_kernel
	.section	.text._ZN9rocsolver6v33100L13bdsqr_computeILi256E19rocblas_complex_numIdEdPS3_S4_S4_EEviiiiPT1_lS6_lT2_iilT3_iilT4_iiliS5_S5_S5_S5_PiS6_ilSA_,"axG",@progbits,_ZN9rocsolver6v33100L13bdsqr_computeILi256E19rocblas_complex_numIdEdPS3_S4_S4_EEviiiiPT1_lS6_lT2_iilT3_iilT4_iiliS5_S5_S5_S5_PiS6_ilSA_,comdat
.Lfunc_end253:
	.size	_ZN9rocsolver6v33100L13bdsqr_computeILi256E19rocblas_complex_numIdEdPS3_S4_S4_EEviiiiPT1_lS6_lT2_iilT3_iilT4_iiliS5_S5_S5_S5_PiS6_ilSA_, .Lfunc_end253-_ZN9rocsolver6v33100L13bdsqr_computeILi256E19rocblas_complex_numIdEdPS3_S4_S4_EEviiiiPT1_lS6_lT2_iilT3_iilT4_iiliS5_S5_S5_S5_PiS6_ilSA_
                                        ; -- End function
	.section	.AMDGPU.csdata,"",@progbits
; Kernel info:
; codeLenInByte = 9460
; NumSgprs: 100
; NumVgprs: 45
; NumAgprs: 0
; TotalNumVgprs: 45
; ScratchSize: 0
; MemoryBound: 0
; FloatMode: 240
; IeeeMode: 1
; LDSByteSize: 2072 bytes/workgroup (compile time only)
; SGPRBlocks: 12
; VGPRBlocks: 5
; NumSGPRsForWavesPerEU: 100
; NumVGPRsForWavesPerEU: 45
; AccumOffset: 48
; Occupancy: 8
; WaveLimiterHint : 1
; COMPUTE_PGM_RSRC2:SCRATCH_EN: 0
; COMPUTE_PGM_RSRC2:USER_SGPR: 6
; COMPUTE_PGM_RSRC2:TRAP_HANDLER: 0
; COMPUTE_PGM_RSRC2:TGID_X_EN: 1
; COMPUTE_PGM_RSRC2:TGID_Y_EN: 1
; COMPUTE_PGM_RSRC2:TGID_Z_EN: 1
; COMPUTE_PGM_RSRC2:TIDIG_COMP_CNT: 0
; COMPUTE_PGM_RSRC3_GFX90A:ACCUM_OFFSET: 11
; COMPUTE_PGM_RSRC3_GFX90A:TG_SPLIT: 0
	.section	.text._ZN9rocsolver6v33100L12bdsqr_rotateI19rocblas_complex_numIdEdPS3_S4_S4_EEviiiiT1_iilT2_iilT3_iiliPiPT0_ilS8_,"axG",@progbits,_ZN9rocsolver6v33100L12bdsqr_rotateI19rocblas_complex_numIdEdPS3_S4_S4_EEviiiiT1_iilT2_iilT3_iiliPiPT0_ilS8_,comdat
	.globl	_ZN9rocsolver6v33100L12bdsqr_rotateI19rocblas_complex_numIdEdPS3_S4_S4_EEviiiiT1_iilT2_iilT3_iiliPiPT0_ilS8_ ; -- Begin function _ZN9rocsolver6v33100L12bdsqr_rotateI19rocblas_complex_numIdEdPS3_S4_S4_EEviiiiT1_iilT2_iilT3_iiliPiPT0_ilS8_
	.p2align	8
	.type	_ZN9rocsolver6v33100L12bdsqr_rotateI19rocblas_complex_numIdEdPS3_S4_S4_EEviiiiT1_iilT2_iilT3_iiliPiPT0_ilS8_,@function
_ZN9rocsolver6v33100L12bdsqr_rotateI19rocblas_complex_numIdEdPS3_S4_S4_EEviiiiT1_iilT2_iilT3_iiliPiPT0_ilS8_: ; @_ZN9rocsolver6v33100L12bdsqr_rotateI19rocblas_complex_numIdEdPS3_S4_S4_EEviiiiT1_iilT2_iilT3_iiliPiPT0_ilS8_
; %bb.0:
	s_load_dwordx4 s[0:3], s[4:5], 0x78
	s_ashr_i32 s9, s8, 31
	s_lshl_b64 s[10:11], s[8:9], 2
	s_waitcnt lgkmcnt(0)
	s_add_u32 s2, s2, s10
	s_addc_u32 s3, s3, s11
	s_load_dword s2, s[2:3], 0x8
	s_waitcnt lgkmcnt(0)
	s_cmp_lg_u32 s2, 0
	s_cbranch_scc1 .LBB254_25
; %bb.1:
	s_load_dwordx8 s[12:19], s[4:5], 0x10
	s_add_u32 s24, s4, 0x88
	s_addc_u32 s25, s5, 0
	s_mov_b64 s[2:3], 0
	s_mov_b64 s[10:11], 0
	s_waitcnt lgkmcnt(0)
	s_cmp_eq_u64 s[12:13], 0
	s_cbranch_scc1 .LBB254_3
; %bb.2:
	s_ashr_i32 s11, s14, 31
	s_mov_b32 s10, s14
	s_mul_i32 s14, s8, s17
	s_mul_hi_u32 s17, s8, s16
	s_add_i32 s14, s17, s14
	s_mul_i32 s17, s9, s16
	s_add_i32 s17, s14, s17
	s_mul_i32 s16, s8, s16
	s_lshl_b64 s[16:17], s[16:17], 4
	s_add_u32 s12, s12, s16
	s_addc_u32 s13, s13, s17
	s_lshl_b64 s[10:11], s[10:11], 4
	s_add_u32 s10, s12, s10
	s_addc_u32 s11, s13, s11
.LBB254_3:
	s_load_dwordx2 s[12:13], s[4:5], 0x30
	s_load_dwordx4 s[20:23], s[4:5], 0x38
	s_cmp_eq_u64 s[18:19], 0
	s_cbranch_scc1 .LBB254_5
; %bb.4:
	s_waitcnt lgkmcnt(0)
	s_ashr_i32 s3, s12, 31
	s_mov_b32 s2, s12
	s_mul_i32 s12, s8, s21
	s_mul_hi_u32 s14, s8, s20
	s_add_i32 s12, s14, s12
	s_mul_i32 s14, s9, s20
	s_add_i32 s17, s12, s14
	s_mul_i32 s16, s8, s20
	s_lshl_b64 s[16:17], s[16:17], 4
	s_add_u32 s12, s18, s16
	s_addc_u32 s14, s19, s17
	s_lshl_b64 s[2:3], s[2:3], 4
	s_add_u32 s2, s12, s2
	s_addc_u32 s3, s14, s3
.LBB254_5:
	s_load_dwordx2 s[26:27], s[4:5], 0x48
	s_waitcnt lgkmcnt(0)
	s_cmp_eq_u64 s[22:23], 0
	s_mov_b64 s[20:21], 0
	s_cbranch_scc1 .LBB254_7
; %bb.6:
	s_load_dwordx2 s[16:17], s[4:5], 0x50
	s_ashr_i32 s19, s26, 31
	s_mov_b32 s18, s26
	s_waitcnt lgkmcnt(0)
	s_mul_i32 s12, s8, s17
	s_mul_hi_u32 s14, s8, s16
	s_mul_i32 s17, s9, s16
	s_add_i32 s12, s14, s12
	s_add_i32 s17, s12, s17
	s_mul_i32 s16, s8, s16
	s_lshl_b64 s[16:17], s[16:17], 4
	s_add_u32 s12, s22, s16
	s_addc_u32 s14, s23, s17
	s_lshl_b64 s[16:17], s[18:19], 4
	s_add_u32 s20, s12, s16
	s_addc_u32 s21, s14, s17
.LBB254_7:
	s_load_dwordx4 s[16:19], s[4:5], 0x60
	s_mul_i32 s1, s8, s1
	s_mul_hi_u32 s12, s8, s0
	s_add_i32 s1, s12, s1
	s_mul_i32 s9, s9, s0
	s_add_i32 s1, s1, s9
	s_mul_i32 s0, s8, s0
	s_lshl_b64 s[22:23], s[0:1], 3
	s_waitcnt lgkmcnt(0)
	s_add_u32 s0, s18, s22
	s_addc_u32 s1, s19, s23
	s_load_dwordx2 s[0:1], s[0:1], 0x10
	s_waitcnt lgkmcnt(0)
	v_cvt_i32_f64_e32 v8, s[0:1]
	v_cmp_ge_i32_e32 vcc, s7, v8
	s_cbranch_vccnz .LBB254_25
; %bb.8:
	s_load_dwordx4 s[28:31], s[4:5], 0x0
	s_load_dword s12, s[4:5], 0x58
	s_load_dword s9, s[4:5], 0x94
	;; [unrolled: 1-line block ×3, first 2 shown]
	v_mov_b32_e32 v12, 0
	s_waitcnt lgkmcnt(0)
	s_mul_i32 s0, s8, s28
	s_lshl_b32 s0, s0, 1
	s_ashr_i32 s1, s0, 31
	s_lshl_b64 s[0:1], s[0:1], 2
	s_add_u32 s40, s16, s0
	s_addc_u32 s41, s17, s1
	s_and_b32 s0, 0xffff, s9
	s_mul_i32 s6, s6, s0
	s_cmp_eq_u32 s29, 0
	v_add_u32_e32 v9, s6, v0
	s_cselect_b64 s[0:1], -1, 0
	s_cmp_lg_u64 s[10:11], 0
	s_cselect_b64 s[4:5], -1, 0
	v_cmp_gt_i32_e32 vcc, s29, v9
	s_and_b64 s[4:5], vcc, s[4:5]
	s_cmp_lg_u64 s[2:3], 0
	s_cselect_b64 s[8:9], -1, 0
	v_cmp_gt_i32_e32 vcc, s30, v9
	s_and_b64 s[8:9], vcc, s[8:9]
	s_cmp_lg_u64 s[20:21], 0
	s_load_dword s6, s[24:25], 0x4
	v_mul_lo_u32 v10, v9, s15
	s_cselect_b64 s[14:15], -1, 0
	v_cmp_gt_i32_e32 vcc, s31, v9
	s_and_b64 s[14:15], vcc, s[14:15]
	s_add_u32 s42, s18, s22
	v_mul_lo_u32 v11, v9, s27
	s_addc_u32 s43, s19, s23
	s_branch .LBB254_12
.LBB254_9:                              ;   in Loop: Header=BB254_12 Depth=1
	v_mov_b32_e32 v4, s27
	v_subrev_co_u32_e32 v5, vcc, s26, v6
	v_subb_co_u32_e32 v6, vcc, v7, v4, vcc
	v_mov_b32_e32 v7, s19
	v_add_co_u32_e32 v4, vcc, s18, v5
	v_addc_co_u32_e32 v5, vcc, v7, v6, vcc
	flat_store_dwordx4 v[4:5], v[0:3]
.LBB254_10:                             ;   in Loop: Header=BB254_12 Depth=1
	s_or_b64 exec, exec, s[28:29]
.LBB254_11:                             ;   in Loop: Header=BB254_12 Depth=1
	s_add_i32 s7, s6, s7
	v_cmp_lt_i32_e32 vcc, s7, v8
	s_cbranch_vccz .LBB254_25
.LBB254_12:                             ; =>This Loop Header: Depth=1
                                        ;     Child Loop BB254_16 Depth 2
                                        ;     Child Loop BB254_20 Depth 2
	;; [unrolled: 1-line block ×3, first 2 shown]
	s_lshl_b32 s16, s7, 2
	s_ashr_i32 s17, s16, 31
	s_lshl_b64 s[16:17], s[16:17], 2
	s_add_u32 s16, s40, s16
	s_addc_u32 s17, s41, s17
	s_load_dwordx2 s[18:19], s[16:17], 0x0
	s_load_dword s26, s[16:17], 0x8
	s_waitcnt lgkmcnt(0)
	s_cmp_le_i32 s26, s19
	s_cbranch_scc1 .LBB254_11
; %bb.13:                               ;   in Loop: Header=BB254_12 Depth=1
	s_load_dword s16, s[16:17], 0xc
	s_waitcnt lgkmcnt(0)
	s_cmp_lt_i32 s16, s12
	s_cselect_b64 s[16:17], -1, 0
	s_cmp_lg_u32 s18, 0
	s_cselect_b64 s[22:23], -1, 0
	s_and_b64 s[16:17], s[16:17], s[22:23]
	s_andn2_b64 vcc, exec, s[16:17]
	s_cbranch_vccnz .LBB254_11
; %bb.14:                               ;   in Loop: Header=BB254_12 Depth=1
	s_mul_i32 s22, s19, s33
	s_ashr_i32 s23, s22, 31
	s_cmp_gt_i32 s18, 0
	s_cselect_b64 s[24:25], -1, 0
	s_sub_i32 s16, s26, s19
	s_and_saveexec_b64 s[28:29], s[4:5]
	s_cbranch_execz .LBB254_18
; %bb.15:                               ;   in Loop: Header=BB254_12 Depth=1
	s_and_b64 s[30:31], s[24:25], exec
	s_cselect_b32 s17, s19, s26
	v_add_u32_e32 v6, s17, v10
	v_ashrrev_i32_e32 v7, 31, v6
	v_lshlrev_b64 v[4:5], 4, v[6:7]
	v_mov_b32_e32 v1, s11
	v_add_co_u32_e32 v0, vcc, s10, v4
	v_addc_co_u32_e32 v1, vcc, v1, v5, vcc
	flat_load_dwordx4 v[0:3], v[0:1]
	s_add_i32 s17, s16, -1
	s_and_b64 s[30:31], s[24:25], exec
	s_cselect_b32 s34, 0, s17
	s_ashr_i32 s37, s18, 31
	s_mov_b32 s36, s18
	s_ashr_i32 s35, s34, 31
	s_lshl_b64 s[30:31], s[36:37], 4
	s_lshl_b64 s[34:35], s[34:35], 3
	s_lshl_b64 s[38:39], s[22:23], 3
	s_add_u32 s17, s34, s38
	s_addc_u32 s27, s35, s39
	s_add_u32 s34, s42, s17
	s_addc_u32 s35, s43, s27
	s_ashr_i32 s27, s26, 31
	s_ashr_i32 s45, s19, 31
	s_mov_b32 s44, s19
	s_lshl_b64 s[36:37], s[36:37], 3
	s_lshl_b64 s[38:39], s[26:27], 3
	;; [unrolled: 1-line block ×3, first 2 shown]
	s_sub_u32 s17, s38, s44
	v_add_u32_e32 v6, s18, v6
	s_subb_u32 s27, s39, s45
	v_ashrrev_i32_e32 v7, 31, v6
	s_add_u32 s17, s17, 40
	v_lshlrev_b64 v[6:7], 4, v[6:7]
	s_addc_u32 s27, s27, 0
	s_mov_b32 s44, s16
	s_mov_b64 s[38:39], s[10:11]
.LBB254_16:                             ;   Parent Loop BB254_12 Depth=1
                                        ; =>  This Inner Loop Header: Depth=2
	v_mov_b32_e32 v13, s39
	v_add_co_u32_e32 v14, vcc, s38, v6
	s_add_u32 s46, s34, s17
	v_addc_co_u32_e32 v15, vcc, v13, v7, vcc
	global_load_dwordx2 v[22:23], v12, s[34:35] offset:32
	s_addc_u32 s47, s35, s27
	flat_load_dwordx4 v[14:17], v[14:15]
	s_nop 0
	global_load_dwordx2 v[24:25], v12, s[46:47]
	v_add_co_u32_e32 v26, vcc, s38, v4
	s_add_u32 s38, s38, s30
	s_addc_u32 s39, s39, s31
	s_add_u32 s34, s34, s36
	s_addc_u32 s35, s35, s37
	s_add_i32 s44, s44, -1
	v_addc_co_u32_e32 v27, vcc, v13, v5, vcc
	s_cmp_eq_u32 s44, 0
	s_waitcnt vmcnt(0) lgkmcnt(0)
	v_mul_f64 v[18:19], v[14:15], v[24:25]
	v_mul_f64 v[20:21], v[16:17], v[24:25]
	v_fma_f64 v[18:19], v[0:1], v[22:23], -v[18:19]
	v_fma_f64 v[20:21], v[2:3], v[22:23], -v[20:21]
	v_mul_f64 v[0:1], v[0:1], v[24:25]
	v_mul_f64 v[2:3], v[2:3], v[24:25]
	v_fmac_f64_e32 v[0:1], v[14:15], v[22:23]
	v_fmac_f64_e32 v[2:3], v[16:17], v[22:23]
	flat_store_dwordx4 v[26:27], v[18:21]
	s_cbranch_scc0 .LBB254_16
; %bb.17:                               ;   in Loop: Header=BB254_12 Depth=1
	v_mov_b32_e32 v4, s31
	v_subrev_co_u32_e32 v5, vcc, s30, v6
	v_subb_co_u32_e32 v6, vcc, v7, v4, vcc
	v_mov_b32_e32 v7, s39
	v_add_co_u32_e32 v4, vcc, s38, v5
	v_addc_co_u32_e32 v5, vcc, v7, v6, vcc
	flat_store_dwordx4 v[4:5], v[0:3]
.LBB254_18:                             ;   in Loop: Header=BB254_12 Depth=1
	s_or_b64 exec, exec, s[28:29]
	s_lshl_b32 s17, s16, 1
	s_add_i32 s17, s17, 2
	s_and_b64 s[28:29], s[0:1], exec
	s_cselect_b32 s27, 0, s17
	s_and_saveexec_b64 s[28:29], s[8:9]
	s_cbranch_execz .LBB254_22
; %bb.19:                               ;   in Loop: Header=BB254_12 Depth=1
	s_and_b64 s[30:31], s[24:25], exec
	s_cselect_b32 s34, s19, s26
	s_mul_i32 s36, s34, s13
	v_add_u32_e32 v0, s36, v9
	v_ashrrev_i32_e32 v1, 31, v0
	v_lshlrev_b64 v[0:1], 4, v[0:1]
	v_mov_b32_e32 v2, s3
	v_add_co_u32_e32 v0, vcc, s2, v0
	v_addc_co_u32_e32 v1, vcc, v2, v1, vcc
	flat_load_dwordx4 v[0:3], v[0:1]
	s_add_i32 s17, s16, -1
	s_and_b64 s[30:31], s[24:25], exec
	s_cselect_b32 s17, 0, s17
	s_add_i32 s30, s27, s17
	s_add_i32 s34, s34, s18
	s_ashr_i32 s31, s30, 31
	s_ashr_i32 s17, s16, 31
	s_mul_i32 s37, s13, s34
	s_lshl_b64 s[34:35], s[22:23], 3
	s_lshl_b64 s[30:31], s[30:31], 3
	s_add_u32 s30, s34, s30
	s_addc_u32 s31, s35, s31
	s_add_u32 s30, s42, s30
	s_addc_u32 s31, s43, s31
	s_ashr_i32 s35, s18, 31
	s_mov_b32 s34, s18
	s_lshl_b64 s[34:35], s[34:35], 3
	s_lshl_b64 s[44:45], s[16:17], 3
	s_add_u32 s17, s44, 40
	s_mul_i32 s38, s13, s18
	s_addc_u32 s39, s45, 0
	s_mov_b32 s44, s16
	v_mov_b32_e32 v6, v9
.LBB254_20:                             ;   Parent Loop BB254_12 Depth=1
                                        ; =>  This Inner Loop Header: Depth=2
	v_add_u32_e32 v4, s37, v6
	v_ashrrev_i32_e32 v5, 31, v4
	v_lshlrev_b64 v[4:5], 4, v[4:5]
	v_mov_b32_e32 v7, s3
	s_add_u32 s46, s30, s17
	v_add_co_u32_e32 v4, vcc, s2, v4
	s_addc_u32 s47, s31, s39
	v_addc_co_u32_e32 v5, vcc, v7, v5, vcc
	global_load_dwordx2 v[22:23], v12, s[30:31] offset:32
	global_load_dwordx2 v[24:25], v12, s[46:47]
	flat_load_dwordx4 v[14:17], v[4:5]
	v_add_u32_e32 v18, s36, v6
	v_ashrrev_i32_e32 v19, 31, v18
	v_lshlrev_b64 v[18:19], 4, v[18:19]
	v_add_co_u32_e32 v26, vcc, s2, v18
	s_add_u32 s30, s30, s34
	v_addc_co_u32_e32 v27, vcc, v7, v19, vcc
	s_addc_u32 s31, s31, s35
	s_add_i32 s44, s44, -1
	v_add_u32_e32 v6, s38, v6
	s_cmp_eq_u32 s44, 0
	s_waitcnt vmcnt(0) lgkmcnt(0)
	v_mul_f64 v[18:19], v[14:15], v[24:25]
	v_mul_f64 v[20:21], v[16:17], v[24:25]
	v_fma_f64 v[18:19], v[0:1], v[22:23], -v[18:19]
	v_fma_f64 v[20:21], v[2:3], v[22:23], -v[20:21]
	v_mul_f64 v[0:1], v[0:1], v[24:25]
	v_mul_f64 v[2:3], v[2:3], v[24:25]
	v_fmac_f64_e32 v[0:1], v[14:15], v[22:23]
	v_fmac_f64_e32 v[2:3], v[16:17], v[22:23]
	flat_store_dwordx4 v[26:27], v[18:21]
	s_cbranch_scc0 .LBB254_20
; %bb.21:                               ;   in Loop: Header=BB254_12 Depth=1
	flat_store_dwordx4 v[4:5], v[0:3]
.LBB254_22:                             ;   in Loop: Header=BB254_12 Depth=1
	s_or_b64 exec, exec, s[28:29]
	s_and_saveexec_b64 s[28:29], s[14:15]
	s_cbranch_execz .LBB254_10
; %bb.23:                               ;   in Loop: Header=BB254_12 Depth=1
	s_and_b64 s[30:31], s[24:25], exec
	s_cselect_b32 s17, s19, s26
	v_add_u32_e32 v6, s17, v11
	v_ashrrev_i32_e32 v7, 31, v6
	v_lshlrev_b64 v[4:5], 4, v[6:7]
	v_mov_b32_e32 v1, s21
	v_add_co_u32_e32 v0, vcc, s20, v4
	v_addc_co_u32_e32 v1, vcc, v1, v5, vcc
	flat_load_dwordx4 v[0:3], v[0:1]
	s_add_i32 s17, s16, -1
	s_and_b64 s[24:25], s[24:25], exec
	s_cselect_b32 s17, 0, s17
	s_add_i32 s24, s27, s17
	s_ashr_i32 s25, s24, 31
	s_ashr_i32 s17, s16, 31
	s_lshl_b64 s[22:23], s[22:23], 3
	s_lshl_b64 s[24:25], s[24:25], 3
	s_add_u32 s19, s22, s24
	s_addc_u32 s23, s23, s25
	s_add_u32 s22, s42, s19
	s_addc_u32 s23, s43, s23
	s_ashr_i32 s19, s18, 31
	s_lshl_b64 s[24:25], s[18:19], 3
	s_lshl_b64 s[26:27], s[16:17], 3
	v_add_u32_e32 v6, s18, v6
	s_add_u32 s17, s26, 40
	v_ashrrev_i32_e32 v7, 31, v6
	s_addc_u32 s30, s27, 0
	v_lshlrev_b64 v[6:7], 4, v[6:7]
	s_lshl_b64 s[26:27], s[18:19], 4
	s_mov_b64 s[18:19], s[20:21]
.LBB254_24:                             ;   Parent Loop BB254_12 Depth=1
                                        ; =>  This Inner Loop Header: Depth=2
	v_mov_b32_e32 v13, s19
	v_add_co_u32_e32 v18, vcc, s18, v6
	s_add_u32 s34, s22, s17
	v_addc_co_u32_e32 v19, vcc, v13, v7, vcc
	global_load_dwordx2 v[22:23], v12, s[22:23] offset:32
	s_addc_u32 s35, s23, s30
	flat_load_dwordx4 v[14:17], v[18:19]
	global_load_dwordx2 v[24:25], v12, s[34:35]
	s_add_i32 s16, s16, -1
	s_add_u32 s22, s22, s24
	s_addc_u32 s23, s23, s25
	v_add_co_u32_e32 v26, vcc, s18, v4
	s_add_u32 s18, s18, s26
	s_addc_u32 s19, s19, s27
	v_addc_co_u32_e32 v27, vcc, v13, v5, vcc
	s_cmp_eq_u32 s16, 0
	s_waitcnt vmcnt(0) lgkmcnt(0)
	v_mul_f64 v[18:19], v[14:15], v[24:25]
	v_mul_f64 v[20:21], v[16:17], v[24:25]
	v_fma_f64 v[18:19], v[0:1], v[22:23], -v[18:19]
	v_fma_f64 v[20:21], v[2:3], v[22:23], -v[20:21]
	v_mul_f64 v[0:1], v[0:1], v[24:25]
	v_mul_f64 v[2:3], v[2:3], v[24:25]
	v_fmac_f64_e32 v[0:1], v[14:15], v[22:23]
	v_fmac_f64_e32 v[2:3], v[16:17], v[22:23]
	flat_store_dwordx4 v[26:27], v[18:21]
	s_cbranch_scc0 .LBB254_24
	s_branch .LBB254_9
.LBB254_25:
	s_endpgm
	.section	.rodata,"a",@progbits
	.p2align	6, 0x0
	.amdhsa_kernel _ZN9rocsolver6v33100L12bdsqr_rotateI19rocblas_complex_numIdEdPS3_S4_S4_EEviiiiT1_iilT2_iilT3_iiliPiPT0_ilS8_
		.amdhsa_group_segment_fixed_size 0
		.amdhsa_private_segment_fixed_size 0
		.amdhsa_kernarg_size 392
		.amdhsa_user_sgpr_count 6
		.amdhsa_user_sgpr_private_segment_buffer 1
		.amdhsa_user_sgpr_dispatch_ptr 0
		.amdhsa_user_sgpr_queue_ptr 0
		.amdhsa_user_sgpr_kernarg_segment_ptr 1
		.amdhsa_user_sgpr_dispatch_id 0
		.amdhsa_user_sgpr_flat_scratch_init 0
		.amdhsa_user_sgpr_kernarg_preload_length 0
		.amdhsa_user_sgpr_kernarg_preload_offset 0
		.amdhsa_user_sgpr_private_segment_size 0
		.amdhsa_uses_dynamic_stack 0
		.amdhsa_system_sgpr_private_segment_wavefront_offset 0
		.amdhsa_system_sgpr_workgroup_id_x 1
		.amdhsa_system_sgpr_workgroup_id_y 1
		.amdhsa_system_sgpr_workgroup_id_z 1
		.amdhsa_system_sgpr_workgroup_info 0
		.amdhsa_system_vgpr_workitem_id 0
		.amdhsa_next_free_vgpr 28
		.amdhsa_next_free_sgpr 48
		.amdhsa_accum_offset 28
		.amdhsa_reserve_vcc 1
		.amdhsa_reserve_flat_scratch 0
		.amdhsa_float_round_mode_32 0
		.amdhsa_float_round_mode_16_64 0
		.amdhsa_float_denorm_mode_32 3
		.amdhsa_float_denorm_mode_16_64 3
		.amdhsa_dx10_clamp 1
		.amdhsa_ieee_mode 1
		.amdhsa_fp16_overflow 0
		.amdhsa_tg_split 0
		.amdhsa_exception_fp_ieee_invalid_op 0
		.amdhsa_exception_fp_denorm_src 0
		.amdhsa_exception_fp_ieee_div_zero 0
		.amdhsa_exception_fp_ieee_overflow 0
		.amdhsa_exception_fp_ieee_underflow 0
		.amdhsa_exception_fp_ieee_inexact 0
		.amdhsa_exception_int_div_zero 0
	.end_amdhsa_kernel
	.section	.text._ZN9rocsolver6v33100L12bdsqr_rotateI19rocblas_complex_numIdEdPS3_S4_S4_EEviiiiT1_iilT2_iilT3_iiliPiPT0_ilS8_,"axG",@progbits,_ZN9rocsolver6v33100L12bdsqr_rotateI19rocblas_complex_numIdEdPS3_S4_S4_EEviiiiT1_iilT2_iilT3_iiliPiPT0_ilS8_,comdat
.Lfunc_end254:
	.size	_ZN9rocsolver6v33100L12bdsqr_rotateI19rocblas_complex_numIdEdPS3_S4_S4_EEviiiiT1_iilT2_iilT3_iiliPiPT0_ilS8_, .Lfunc_end254-_ZN9rocsolver6v33100L12bdsqr_rotateI19rocblas_complex_numIdEdPS3_S4_S4_EEviiiiT1_iilT2_iilT3_iiliPiPT0_ilS8_
                                        ; -- End function
	.section	.AMDGPU.csdata,"",@progbits
; Kernel info:
; codeLenInByte = 1728
; NumSgprs: 52
; NumVgprs: 28
; NumAgprs: 0
; TotalNumVgprs: 28
; ScratchSize: 0
; MemoryBound: 0
; FloatMode: 240
; IeeeMode: 1
; LDSByteSize: 0 bytes/workgroup (compile time only)
; SGPRBlocks: 6
; VGPRBlocks: 3
; NumSGPRsForWavesPerEU: 52
; NumVGPRsForWavesPerEU: 28
; AccumOffset: 28
; Occupancy: 8
; WaveLimiterHint : 1
; COMPUTE_PGM_RSRC2:SCRATCH_EN: 0
; COMPUTE_PGM_RSRC2:USER_SGPR: 6
; COMPUTE_PGM_RSRC2:TRAP_HANDLER: 0
; COMPUTE_PGM_RSRC2:TGID_X_EN: 1
; COMPUTE_PGM_RSRC2:TGID_Y_EN: 1
; COMPUTE_PGM_RSRC2:TGID_Z_EN: 1
; COMPUTE_PGM_RSRC2:TIDIG_COMP_CNT: 0
; COMPUTE_PGM_RSRC3_GFX90A:ACCUM_OFFSET: 6
; COMPUTE_PGM_RSRC3_GFX90A:TG_SPLIT: 0
	.section	.text._ZN9rocsolver6v33100L14bdsqr_finalizeI19rocblas_complex_numIdEdPS3_S4_S4_EEviiiiPT0_lS6_lT1_iilT2_iilT3_iilPiSA_SA_,"axG",@progbits,_ZN9rocsolver6v33100L14bdsqr_finalizeI19rocblas_complex_numIdEdPS3_S4_S4_EEviiiiPT0_lS6_lT1_iilT2_iilT3_iilPiSA_SA_,comdat
	.globl	_ZN9rocsolver6v33100L14bdsqr_finalizeI19rocblas_complex_numIdEdPS3_S4_S4_EEviiiiPT0_lS6_lT1_iilT2_iilT3_iilPiSA_SA_ ; -- Begin function _ZN9rocsolver6v33100L14bdsqr_finalizeI19rocblas_complex_numIdEdPS3_S4_S4_EEviiiiPT0_lS6_lT1_iilT2_iilT3_iilPiSA_SA_
	.p2align	8
	.type	_ZN9rocsolver6v33100L14bdsqr_finalizeI19rocblas_complex_numIdEdPS3_S4_S4_EEviiiiPT0_lS6_lT1_iilT2_iilT3_iilPiSA_SA_,@function
_ZN9rocsolver6v33100L14bdsqr_finalizeI19rocblas_complex_numIdEdPS3_S4_S4_EEviiiiPT0_lS6_lT1_iilT2_iilT3_iilPiSA_SA_: ; @_ZN9rocsolver6v33100L14bdsqr_finalizeI19rocblas_complex_numIdEdPS3_S4_S4_EEviiiiPT0_lS6_lT1_iilT2_iilT3_iilPiSA_SA_
; %bb.0:
	s_add_u32 flat_scratch_lo, s8, s12
	s_load_dwordx8 s[36:43], s[6:7], 0x70
	s_addc_u32 flat_scratch_hi, s9, 0
	s_add_u32 s0, s0, s12
	s_addc_u32 s1, s1, 0
	s_mov_b32 s14, s11
	s_ashr_i32 s15, s11, 31
	s_lshl_b64 s[26:27], s[14:15], 2
	s_waitcnt lgkmcnt(0)
	s_add_u32 s8, s42, s26
	s_addc_u32 s9, s43, s27
	s_load_dword s8, s[8:9], 0x8
	s_movk_i32 s32, 0x1400
	s_waitcnt lgkmcnt(0)
	s_cmp_gt_i32 s8, 1
	s_cbranch_scc1 .LBB255_260
; %bb.1:
	s_load_dwordx2 s[12:13], s[6:7], 0x9c
	s_load_dwordx8 s[44:51], s[6:7], 0x30
	s_load_dwordx8 s[52:59], s[6:7], 0x10
	s_mov_b64 s[28:29], 0
	s_mov_b64 s[34:35], 0
	s_waitcnt lgkmcnt(0)
	s_and_b32 s13, s13, 0xffff
	s_cmp_eq_u64 s[44:45], 0
	s_cbranch_scc1 .LBB255_3
; %bb.2:
	s_mul_i32 s10, s14, s49
	s_mul_hi_u32 s11, s14, s48
	s_add_i32 s10, s11, s10
	s_mul_i32 s11, s15, s48
	s_add_i32 s11, s10, s11
	s_mul_i32 s10, s14, s48
	s_ashr_i32 s9, s46, 31
	s_lshl_b64 s[10:11], s[10:11], 4
	s_mov_b32 s8, s46
	s_add_u32 s10, s44, s10
	s_addc_u32 s11, s45, s11
	s_lshl_b64 s[8:9], s[8:9], 4
	s_add_u32 s34, s10, s8
	s_addc_u32 s35, s11, s9
.LBB255_3:
	s_load_dwordx2 s[42:43], s[6:7], 0x50
	s_load_dwordx4 s[8:11], s[6:7], 0x58
	s_cmp_eq_u64 s[50:51], 0
	s_cbranch_scc1 .LBB255_5
; %bb.4:
	s_waitcnt lgkmcnt(0)
	s_mul_i32 s9, s14, s9
	s_mul_hi_u32 s18, s14, s8
	s_add_i32 s9, s18, s9
	s_mul_i32 s18, s15, s8
	s_add_i32 s9, s9, s18
	s_mul_i32 s8, s14, s8
	s_ashr_i32 s17, s42, 31
	s_lshl_b64 s[8:9], s[8:9], 4
	s_mov_b32 s16, s42
	s_add_u32 s18, s50, s8
	s_addc_u32 s19, s51, s9
	s_lshl_b64 s[8:9], s[16:17], 4
	s_add_u32 s28, s18, s8
	s_addc_u32 s29, s19, s9
.LBB255_5:
	s_load_dwordx2 s[60:61], s[6:7], 0x68
	s_waitcnt lgkmcnt(0)
	s_cmp_eq_u64 s[10:11], 0
	s_mov_b64 s[44:45], 0
	s_cbranch_scc1 .LBB255_7
; %bb.6:
	s_mul_i32 s16, s14, s37
	s_mul_hi_u32 s17, s14, s36
	s_add_i32 s16, s17, s16
	s_mul_i32 s17, s15, s36
	s_add_i32 s17, s16, s17
	s_mul_i32 s16, s14, s36
	s_ashr_i32 s9, s60, 31
	s_lshl_b64 s[16:17], s[16:17], 4
	s_mov_b32 s8, s60
	s_add_u32 s10, s10, s16
	s_addc_u32 s11, s11, s17
	s_lshl_b64 s[8:9], s[8:9], 4
	s_add_u32 s44, s10, s8
	s_addc_u32 s45, s11, s9
.LBB255_7:
	s_mul_i32 s8, s14, s55
	s_mul_hi_u32 s9, s14, s54
	s_add_i32 s8, s9, s8
	s_mul_i32 s9, s15, s54
	s_add_i32 s9, s8, s9
	s_mul_i32 s8, s14, s54
	s_lshl_b64 s[54:55], s[8:9], 3
	s_add_u32 s36, s52, s54
	s_load_dwordx4 s[48:51], s[6:7], 0x0
	s_addc_u32 s37, s53, s55
	s_lshr_b32 s8, s12, 16
	s_and_b32 s42, s12, 0xffff
	v_bfe_u32 v43, v0, 10, 10
	v_bfe_u32 v44, v0, 20, 10
	s_mul_i32 s60, s8, s42
	v_and_b32_e32 v42, 0x3ff, v0
	v_mul_u32_u24_e32 v0, s42, v43
	v_mul_lo_u32 v1, s60, v44
	v_add3_u32 v41, v0, v42, v1
	s_and_b32 s8, s13, 0xffff
	s_mul_i32 s60, s60, s8
	s_waitcnt lgkmcnt(0)
	s_cmp_lt_i32 s48, 1
	v_cmp_eq_u32_e64 s[8:9], 0, v41
	s_cbranch_scc1 .LBB255_22
; %bb.8:
	s_mul_i32 s10, s14, s59
	s_mul_hi_u32 s11, s14, s58
	s_add_i32 s10, s11, s10
	s_mul_i32 s11, s15, s58
	s_add_i32 s11, s10, s11
	s_mul_i32 s10, s14, s58
	s_lshl_b64 s[10:11], s[10:11], 3
	s_add_u32 s15, s56, s10
	s_addc_u32 s24, s57, s11
	s_add_i32 s25, s48, -1
	s_cmp_lg_u32 s49, 0
	s_cselect_b64 s[12:13], -1, 0
	s_mov_b32 s17, 0
	v_cndmask_b32_e64 v0, 0, 1, s[12:13]
	v_cmp_gt_u32_e64 s[10:11], s49, v41
	s_ashr_i32 s30, s47, 31
	s_mov_b32 s31, s47
	v_mov_b32_e32 v2, 0
	v_cmp_ne_u32_e64 s[12:13], 1, v0
	v_mov_b32_e32 v3, s35
	s_mov_b32 s16, s17
	s_mov_b32 s46, s17
	s_branch .LBB255_11
.LBB255_9:                              ;   in Loop: Header=BB255_11 Depth=1
	s_or_b64 exec, exec, s[20:21]
.LBB255_10:                             ;   in Loop: Header=BB255_11 Depth=1
	s_add_i32 s16, s16, 1
	s_cmp_eq_u32 s16, s48
	s_cbranch_scc1 .LBB255_23
.LBB255_11:                             ; =>This Loop Header: Depth=1
                                        ;     Child Loop BB255_18 Depth 2
	s_cmp_ge_i32 s16, s25
	s_cbranch_scc1 .LBB255_14
; %bb.12:                               ;   in Loop: Header=BB255_11 Depth=1
	s_lshl_b64 s[18:19], s[16:17], 3
	s_add_u32 s18, s15, s18
	s_addc_u32 s19, s24, s19
	global_load_dwordx2 v[0:1], v2, s[18:19]
	s_waitcnt vmcnt(0)
	v_cmp_eq_f64_e32 vcc, 0, v[0:1]
	s_cbranch_vccnz .LBB255_14
; %bb.13:                               ;   in Loop: Header=BB255_11 Depth=1
	s_add_i32 s46, s46, 1
.LBB255_14:                             ;   in Loop: Header=BB255_11 Depth=1
	s_lshl_b64 s[18:19], s[16:17], 3
	s_add_u32 s18, s36, s18
	s_addc_u32 s19, s37, s19
	global_load_dwordx2 v[0:1], v2, s[18:19]
	s_waitcnt vmcnt(0)
	v_cmp_ngt_f64_e32 vcc, 0, v[0:1]
	s_cbranch_vccnz .LBB255_10
; %bb.15:                               ;   in Loop: Header=BB255_11 Depth=1
	s_and_b64 vcc, exec, s[12:13]
	s_cbranch_vccnz .LBB255_20
; %bb.16:                               ;   in Loop: Header=BB255_11 Depth=1
	s_and_saveexec_b64 s[20:21], s[10:11]
	s_cbranch_execz .LBB255_19
; %bb.17:                               ;   in Loop: Header=BB255_11 Depth=1
	s_mov_b64 s[22:23], 0
	v_pk_mov_b32 v[0:1], s[16:17], s[16:17] op_sel:[0,1]
	v_mov_b32_e32 v4, v41
.LBB255_18:                             ;   Parent Loop BB255_11 Depth=1
                                        ; =>  This Inner Loop Header: Depth=2
	v_mad_u64_u32 v[6:7], s[56:57], v4, s31, v[0:1]
	v_mov_b32_e32 v8, v7
	v_mad_u64_u32 v[8:9], s[56:57], v4, s30, v[8:9]
	v_mov_b32_e32 v7, v8
	v_lshlrev_b64 v[6:7], 4, v[6:7]
	v_add_co_u32_e32 v10, vcc, s34, v6
	v_addc_co_u32_e32 v11, vcc, v3, v7, vcc
	flat_load_dwordx4 v[6:9], v[10:11]
	v_add_u32_e32 v4, s60, v4
	v_cmp_le_u32_e32 vcc, s49, v4
	s_or_b64 s[22:23], vcc, s[22:23]
	s_waitcnt vmcnt(0) lgkmcnt(0)
	v_xor_b32_e32 v7, 0x80000000, v7
	v_xor_b32_e32 v9, 0x80000000, v9
	flat_store_dwordx4 v[10:11], v[6:9]
	s_andn2_b64 exec, exec, s[22:23]
	s_cbranch_execnz .LBB255_18
.LBB255_19:                             ;   in Loop: Header=BB255_11 Depth=1
	s_or_b64 exec, exec, s[20:21]
	s_waitcnt lgkmcnt(0)
	s_barrier
.LBB255_20:                             ;   in Loop: Header=BB255_11 Depth=1
	s_and_saveexec_b64 s[20:21], s[8:9]
	s_cbranch_execz .LBB255_9
; %bb.21:                               ;   in Loop: Header=BB255_11 Depth=1
	global_load_dwordx2 v[0:1], v2, s[18:19]
	s_waitcnt vmcnt(0)
	v_xor_b32_e32 v1, 0x80000000, v1
	global_store_dwordx2 v2, v[0:1], s[18:19]
	s_branch .LBB255_9
.LBB255_22:
	s_mov_b32 s46, 0
.LBB255_23:
	s_cmp_lt_i32 s46, 1
	s_mov_b64 s[8:9], -1
	s_cbranch_scc0 .LBB255_257
; %bb.24:
	s_mul_i32 s8, s14, s48
	s_lshl_b32 s8, s8, 1
	s_ashr_i32 s9, s8, 31
	s_lshl_b64 s[8:9], s[8:9], 2
	s_add_u32 s8, s40, s8
	s_addc_u32 s9, s41, s9
	s_cmp_lg_u64 s[40:41], 0
	s_cselect_b32 s57, s9, 0
	s_cselect_b32 s56, s8, 0
	s_mov_b64 s[62:63], 0
	s_cmp_lg_u64 s[56:57], 0
	s_barrier
	s_cbranch_scc0 .LBB255_38
; %bb.25:
	s_or_b32 s8, s50, s49
	s_or_b32 s10, s8, s51
	s_cmp_gt_i32 s48, 0
	s_cselect_b64 s[64:65], -1, 0
	s_cmp_lg_u64 s[52:53], 0
	s_cselect_b64 s[8:9], -1, 0
	s_and_b64 s[40:41], s[64:65], s[8:9]
	s_cmp_eq_u32 s10, 0
	s_cbranch_scc1 .LBB255_39
; %bb.26:
	s_mov_b64 s[66:67], -1
	s_mov_b64 s[58:59], 0
	s_and_b64 vcc, exec, s[40:41]
	s_cbranch_vccz .LBB255_117
; %bb.27:
	v_cmp_gt_u32_e32 vcc, s48, v41
	s_barrier
	s_and_saveexec_b64 s[8:9], vcc
	s_cbranch_execz .LBB255_30
; %bb.28:
	s_mov_b64 s[10:11], 0
	v_mov_b32_e32 v1, 0
	v_mov_b32_e32 v2, s57
	;; [unrolled: 1-line block ×3, first 2 shown]
.LBB255_29:                             ; =>This Inner Loop Header: Depth=1
	v_lshlrev_b64 v[4:5], 2, v[0:1]
	v_add_co_u32_e32 v4, vcc, s56, v4
	v_addc_co_u32_e32 v5, vcc, v2, v5, vcc
	global_store_dword v[4:5], v0, off
	v_add_u32_e32 v0, s60, v0
	v_cmp_le_u32_e32 vcc, s48, v0
	s_or_b64 s[10:11], vcc, s[10:11]
	s_andn2_b64 exec, exec, s[10:11]
	s_cbranch_execnz .LBB255_29
.LBB255_30:
	s_or_b64 exec, exec, s[8:9]
	v_or3_b32 v0, v43, v44, v42
	v_cmp_eq_u32_e32 vcc, 0, v0
	s_barrier
	s_and_saveexec_b64 s[8:9], vcc
	s_cbranch_execz .LBB255_101
; %bb.31:
	s_cmpk_lt_i32 s48, 0x2be
	s_cbranch_scc1 .LBB255_40
; %bb.32:
	s_add_u32 s10, s56, 0xaf4
	s_addc_u32 s11, s57, 0
	s_mov_b64 s[12:13], 0x2bd
	s_mov_b32 s15, 0
	v_mov_b32_e32 v4, 0
	v_mov_b32_e32 v5, 0x1000
	s_mov_b64 s[16:17], s[36:37]
	s_branch .LBB255_34
.LBB255_33:                             ;   in Loop: Header=BB255_34 Depth=1
	s_lshl_b64 s[18:19], s[24:25], 3
	s_add_u32 s18, s36, s18
	s_addc_u32 s19, s37, s19
	global_store_dwordx2 v4, v[0:1], s[18:19]
	s_lshl_b64 s[18:19], s[24:25], 2
	s_add_u32 s18, s56, s18
	s_addc_u32 s19, s57, s19
	s_add_u32 s12, s12, 1
	s_addc_u32 s13, s13, 0
	;; [unrolled: 2-line block ×4, first 2 shown]
	s_cmp_eq_u32 s12, s48
	global_store_dword v4, v6, s[18:19]
	s_cbranch_scc1 .LBB255_40
.LBB255_34:                             ; =>This Loop Header: Depth=1
                                        ;     Child Loop BB255_36 Depth 2
	s_mov_b32 s14, s12
	s_lshl_b64 s[18:19], s[14:15], 3
	s_add_u32 s18, s36, s18
	s_addc_u32 s19, s37, s19
	s_lshl_b64 s[20:21], s[14:15], 2
	s_add_u32 s20, s56, s20
	s_addc_u32 s21, s57, s21
	global_load_dwordx2 v[0:1], v4, s[18:19]
	global_load_dword v6, v4, s[20:21]
	s_mov_b64 s[22:23], s[10:11]
	s_mov_b64 s[18:19], s[16:17]
	;; [unrolled: 1-line block ×3, first 2 shown]
	s_branch .LBB255_36
.LBB255_35:                             ;   in Loop: Header=BB255_36 Depth=2
	global_load_dword v7, v4, s[22:23] offset:-2804
	s_add_u32 s62, s22, 0xfffff50c
	s_addc_u32 s63, s23, -1
	s_add_u32 s24, s20, 0xfffffd43
	s_addc_u32 s25, s21, -1
	global_store_dwordx2 v5, v[2:3], s[18:19] offset:1512
	s_add_u32 s18, s18, 0xffffea18
	s_addc_u32 s19, s19, -1
	s_cmpk_lt_i32 s20, 0x57a
	s_mov_b64 s[20:21], s[24:25]
	s_cselect_b64 s[30:31], -1, 0
	s_waitcnt vmcnt(1)
	global_store_dword v4, v7, s[22:23]
	s_mov_b64 s[22:23], s[62:63]
	s_andn2_b64 vcc, exec, s[30:31]
	s_cbranch_vccz .LBB255_33
.LBB255_36:                             ;   Parent Loop BB255_34 Depth=1
                                        ; =>  This Inner Loop Header: Depth=2
	global_load_dwordx2 v[2:3], v4, s[18:19]
	s_mov_b64 s[30:31], -1
	s_waitcnt vmcnt(0)
	v_cmp_nlt_f64_e32 vcc, v[2:3], v[0:1]
	s_cbranch_vccz .LBB255_35
; %bb.37:                               ;   in Loop: Header=BB255_36 Depth=2
                                        ; implicit-def: $sgpr18_sgpr19
                                        ; implicit-def: $sgpr22_sgpr23
	s_mov_b64 s[24:25], s[20:21]
	s_andn2_b64 vcc, exec, s[30:31]
	s_cbranch_vccnz .LBB255_36
	s_branch .LBB255_33
.LBB255_38:
	s_branch .LBB255_233
.LBB255_39:
	s_mov_b64 s[58:59], 0
	s_cbranch_execnz .LBB255_142
	s_branch .LBB255_228
.LBB255_40:
	s_cmpk_lt_i32 s48, 0x12e
	s_cbranch_scc1 .LBB255_49
; %bb.41:
	s_add_u32 s10, s56, 0x4b4
	s_addc_u32 s11, s57, 0
	s_mov_b64 s[12:13], 0x12d
	s_mov_b32 s15, 0
	v_mov_b32_e32 v4, 0
	s_mov_b64 s[16:17], s[36:37]
	s_branch .LBB255_43
.LBB255_42:                             ;   in Loop: Header=BB255_43 Depth=1
	s_lshl_b64 s[20:21], s[18:19], 3
	s_add_u32 s20, s36, s20
	s_addc_u32 s21, s37, s21
	s_lshl_b64 s[18:19], s[18:19], 2
	s_add_u32 s18, s56, s18
	s_addc_u32 s19, s57, s19
	s_add_u32 s12, s12, 1
	s_addc_u32 s13, s13, 0
	;; [unrolled: 2-line block ×4, first 2 shown]
	s_cmp_lg_u32 s12, s48
	global_store_dwordx2 v4, v[0:1], s[20:21]
	global_store_dword v4, v5, s[18:19]
	s_cbranch_scc0 .LBB255_49
.LBB255_43:                             ; =>This Loop Header: Depth=1
                                        ;     Child Loop BB255_45 Depth 2
	s_mov_b32 s14, s12
	s_lshl_b64 s[18:19], s[14:15], 3
	s_add_u32 s18, s36, s18
	s_addc_u32 s19, s37, s19
	s_lshl_b64 s[20:21], s[14:15], 2
	s_add_u32 s20, s56, s20
	s_addc_u32 s21, s57, s21
	global_load_dwordx2 v[0:1], v4, s[18:19]
	global_load_dword v5, v4, s[20:21]
	s_mov_b64 s[20:21], s[16:17]
	s_mov_b64 s[22:23], s[10:11]
	;; [unrolled: 1-line block ×3, first 2 shown]
	s_branch .LBB255_45
.LBB255_44:                             ;   in Loop: Header=BB255_45 Depth=2
	global_load_dword v6, v4, s[22:23] offset:-1204
	s_add_u32 s66, s22, 0xfffffb4c
	s_addc_u32 s67, s23, -1
	s_add_u32 s30, s18, 0xfffffed3
	s_addc_u32 s31, s19, -1
	global_store_dwordx2 v4, v[2:3], s[20:21] offset:2408
	s_add_u32 s20, s20, 0xfffff698
	s_addc_u32 s21, s21, -1
	s_cmpk_lt_i32 s18, 0x25a
	s_mov_b64 s[24:25], 0
	s_mov_b64 s[18:19], s[30:31]
	s_cselect_b64 s[62:63], -1, 0
	s_waitcnt vmcnt(1)
	global_store_dword v4, v6, s[22:23]
	s_mov_b64 s[22:23], s[66:67]
	s_andn2_b64 vcc, exec, s[62:63]
	s_cbranch_vccz .LBB255_47
.LBB255_45:                             ;   Parent Loop BB255_43 Depth=1
                                        ; =>  This Inner Loop Header: Depth=2
	global_load_dwordx2 v[2:3], v4, s[20:21]
	s_mov_b64 s[24:25], -1
	s_waitcnt vmcnt(0)
	v_cmp_nlt_f64_e32 vcc, v[2:3], v[0:1]
	s_cbranch_vccz .LBB255_44
; %bb.46:                               ;   in Loop: Header=BB255_43 Depth=1
                                        ; implicit-def: $sgpr22_sgpr23
                                        ; implicit-def: $sgpr20_sgpr21
                                        ; implicit-def: $sgpr30_sgpr31
.LBB255_47:                             ;   in Loop: Header=BB255_43 Depth=1
	s_andn2_b64 vcc, exec, s[24:25]
	s_cbranch_vccz .LBB255_42
; %bb.48:                               ;   in Loop: Header=BB255_43 Depth=1
	s_bfe_i64 s[18:19], s[30:31], 0x200000
	s_branch .LBB255_42
.LBB255_49:
	s_cmpk_lt_i32 s48, 0x85
	s_cbranch_scc1 .LBB255_58
; %bb.50:
	s_add_u32 s10, s56, 0x210
	s_addc_u32 s11, s57, 0
	s_mov_b64 s[12:13], 0x84
	s_mov_b32 s15, 0
	v_mov_b32_e32 v4, 0
	s_mov_b64 s[16:17], s[36:37]
	s_branch .LBB255_52
.LBB255_51:                             ;   in Loop: Header=BB255_52 Depth=1
	s_lshl_b64 s[20:21], s[18:19], 3
	s_add_u32 s20, s36, s20
	s_addc_u32 s21, s37, s21
	s_lshl_b64 s[18:19], s[18:19], 2
	s_add_u32 s18, s56, s18
	s_addc_u32 s19, s57, s19
	s_add_u32 s12, s12, 1
	s_addc_u32 s13, s13, 0
	;; [unrolled: 2-line block ×4, first 2 shown]
	s_cmp_lg_u32 s12, s48
	global_store_dwordx2 v4, v[0:1], s[20:21]
	global_store_dword v4, v5, s[18:19]
	s_cbranch_scc0 .LBB255_58
.LBB255_52:                             ; =>This Loop Header: Depth=1
                                        ;     Child Loop BB255_54 Depth 2
	s_mov_b32 s14, s12
	s_lshl_b64 s[18:19], s[14:15], 3
	s_add_u32 s18, s36, s18
	s_addc_u32 s19, s37, s19
	s_lshl_b64 s[20:21], s[14:15], 2
	s_add_u32 s20, s56, s20
	s_addc_u32 s21, s57, s21
	global_load_dwordx2 v[0:1], v4, s[18:19]
	global_load_dword v5, v4, s[20:21]
	s_mov_b64 s[20:21], s[16:17]
	s_mov_b64 s[22:23], s[10:11]
	;; [unrolled: 1-line block ×3, first 2 shown]
	s_branch .LBB255_54
.LBB255_53:                             ;   in Loop: Header=BB255_54 Depth=2
	global_load_dword v6, v4, s[22:23] offset:-528
	s_add_u32 s66, s22, 0xfffffdf0
	s_addc_u32 s67, s23, -1
	s_add_u32 s30, s18, 0xffffff7c
	s_addc_u32 s31, s19, -1
	global_store_dwordx2 v4, v[2:3], s[20:21] offset:1056
	s_add_u32 s20, s20, 0xfffffbe0
	s_addc_u32 s21, s21, -1
	s_cmpk_lt_i32 s18, 0x108
	s_mov_b64 s[24:25], 0
	s_mov_b64 s[18:19], s[30:31]
	s_cselect_b64 s[62:63], -1, 0
	s_waitcnt vmcnt(1)
	global_store_dword v4, v6, s[22:23]
	s_mov_b64 s[22:23], s[66:67]
	s_andn2_b64 vcc, exec, s[62:63]
	s_cbranch_vccz .LBB255_56
.LBB255_54:                             ;   Parent Loop BB255_52 Depth=1
                                        ; =>  This Inner Loop Header: Depth=2
	global_load_dwordx2 v[2:3], v4, s[20:21]
	s_mov_b64 s[24:25], -1
	s_waitcnt vmcnt(0)
	v_cmp_nlt_f64_e32 vcc, v[2:3], v[0:1]
	s_cbranch_vccz .LBB255_53
; %bb.55:                               ;   in Loop: Header=BB255_52 Depth=1
                                        ; implicit-def: $sgpr22_sgpr23
                                        ; implicit-def: $sgpr20_sgpr21
                                        ; implicit-def: $sgpr30_sgpr31
.LBB255_56:                             ;   in Loop: Header=BB255_52 Depth=1
	s_andn2_b64 vcc, exec, s[24:25]
	s_cbranch_vccz .LBB255_51
; %bb.57:                               ;   in Loop: Header=BB255_52 Depth=1
	s_bfe_i64 s[18:19], s[30:31], 0x200000
	s_branch .LBB255_51
.LBB255_58:
	s_cmp_lt_i32 s48, 58
	s_cbranch_scc1 .LBB255_67
; %bb.59:
	s_add_u32 s10, s56, 0xe4
	s_addc_u32 s11, s57, 0
	s_mov_b64 s[12:13], 57
	s_mov_b32 s15, 0
	v_mov_b32_e32 v4, 0
	s_mov_b64 s[16:17], s[36:37]
	s_branch .LBB255_61
.LBB255_60:                             ;   in Loop: Header=BB255_61 Depth=1
	s_lshl_b64 s[20:21], s[18:19], 3
	s_add_u32 s20, s36, s20
	s_addc_u32 s21, s37, s21
	s_lshl_b64 s[18:19], s[18:19], 2
	s_add_u32 s18, s56, s18
	s_addc_u32 s19, s57, s19
	s_add_u32 s12, s12, 1
	s_addc_u32 s13, s13, 0
	;; [unrolled: 2-line block ×4, first 2 shown]
	s_cmp_lg_u32 s12, s48
	global_store_dwordx2 v4, v[0:1], s[20:21]
	global_store_dword v4, v5, s[18:19]
	s_cbranch_scc0 .LBB255_67
.LBB255_61:                             ; =>This Loop Header: Depth=1
                                        ;     Child Loop BB255_63 Depth 2
	s_mov_b32 s14, s12
	s_lshl_b64 s[18:19], s[14:15], 3
	s_add_u32 s18, s36, s18
	s_addc_u32 s19, s37, s19
	s_lshl_b64 s[20:21], s[14:15], 2
	s_add_u32 s20, s56, s20
	s_addc_u32 s21, s57, s21
	global_load_dwordx2 v[0:1], v4, s[18:19]
	global_load_dword v5, v4, s[20:21]
	s_mov_b64 s[20:21], s[16:17]
	s_mov_b64 s[22:23], s[10:11]
	;; [unrolled: 1-line block ×3, first 2 shown]
	s_branch .LBB255_63
.LBB255_62:                             ;   in Loop: Header=BB255_63 Depth=2
	global_load_dword v6, v4, s[22:23] offset:-228
	s_add_u32 s66, s22, 0xffffff1c
	s_addc_u32 s67, s23, -1
	s_add_u32 s30, s18, 0xffffffc7
	s_addc_u32 s31, s19, -1
	global_store_dwordx2 v4, v[2:3], s[20:21] offset:456
	s_add_u32 s20, s20, 0xfffffe38
	s_addc_u32 s21, s21, -1
	s_cmpk_lt_i32 s18, 0x72
	s_mov_b64 s[24:25], 0
	s_mov_b64 s[18:19], s[30:31]
	s_cselect_b64 s[62:63], -1, 0
	s_waitcnt vmcnt(1)
	global_store_dword v4, v6, s[22:23]
	s_mov_b64 s[22:23], s[66:67]
	s_andn2_b64 vcc, exec, s[62:63]
	s_cbranch_vccz .LBB255_65
.LBB255_63:                             ;   Parent Loop BB255_61 Depth=1
                                        ; =>  This Inner Loop Header: Depth=2
	global_load_dwordx2 v[2:3], v4, s[20:21]
	s_mov_b64 s[24:25], -1
	s_waitcnt vmcnt(0)
	v_cmp_nlt_f64_e32 vcc, v[2:3], v[0:1]
	s_cbranch_vccz .LBB255_62
; %bb.64:                               ;   in Loop: Header=BB255_61 Depth=1
                                        ; implicit-def: $sgpr22_sgpr23
                                        ; implicit-def: $sgpr20_sgpr21
                                        ; implicit-def: $sgpr30_sgpr31
.LBB255_65:                             ;   in Loop: Header=BB255_61 Depth=1
	s_andn2_b64 vcc, exec, s[24:25]
	s_cbranch_vccz .LBB255_60
; %bb.66:                               ;   in Loop: Header=BB255_61 Depth=1
	s_bfe_i64 s[18:19], s[30:31], 0x200000
	s_branch .LBB255_60
.LBB255_67:
	s_cmp_lt_i32 s48, 24
	s_cbranch_scc1 .LBB255_76
; %bb.68:
	s_add_u32 s10, s56, 0x5c
	s_addc_u32 s11, s57, 0
	s_mov_b64 s[12:13], 23
	s_mov_b32 s15, 0
	v_mov_b32_e32 v4, 0
	s_mov_b64 s[16:17], s[36:37]
	s_branch .LBB255_70
.LBB255_69:                             ;   in Loop: Header=BB255_70 Depth=1
	s_lshl_b64 s[20:21], s[18:19], 3
	s_add_u32 s20, s36, s20
	s_addc_u32 s21, s37, s21
	s_lshl_b64 s[18:19], s[18:19], 2
	s_add_u32 s18, s56, s18
	s_addc_u32 s19, s57, s19
	s_add_u32 s12, s12, 1
	s_addc_u32 s13, s13, 0
	;; [unrolled: 2-line block ×4, first 2 shown]
	s_cmp_lg_u32 s12, s48
	global_store_dwordx2 v4, v[0:1], s[20:21]
	global_store_dword v4, v5, s[18:19]
	s_cbranch_scc0 .LBB255_76
.LBB255_70:                             ; =>This Loop Header: Depth=1
                                        ;     Child Loop BB255_72 Depth 2
	s_mov_b32 s14, s12
	s_lshl_b64 s[18:19], s[14:15], 3
	s_add_u32 s18, s36, s18
	s_addc_u32 s19, s37, s19
	s_lshl_b64 s[20:21], s[14:15], 2
	s_add_u32 s20, s56, s20
	s_addc_u32 s21, s57, s21
	global_load_dwordx2 v[0:1], v4, s[18:19]
	global_load_dword v5, v4, s[20:21]
	s_mov_b64 s[20:21], s[16:17]
	s_mov_b64 s[22:23], s[10:11]
	;; [unrolled: 1-line block ×3, first 2 shown]
	s_branch .LBB255_72
.LBB255_71:                             ;   in Loop: Header=BB255_72 Depth=2
	global_load_dword v6, v4, s[22:23] offset:-92
	s_add_u32 s66, s22, 0xffffffa4
	s_addc_u32 s67, s23, -1
	s_add_u32 s30, s18, 0xffffffe9
	s_addc_u32 s31, s19, -1
	global_store_dwordx2 v4, v[2:3], s[20:21] offset:184
	s_add_u32 s20, s20, 0xffffff48
	s_addc_u32 s21, s21, -1
	s_cmp_lt_i32 s18, 46
	s_mov_b64 s[24:25], 0
	s_mov_b64 s[18:19], s[30:31]
	s_cselect_b64 s[62:63], -1, 0
	s_waitcnt vmcnt(1)
	global_store_dword v4, v6, s[22:23]
	s_mov_b64 s[22:23], s[66:67]
	s_andn2_b64 vcc, exec, s[62:63]
	s_cbranch_vccz .LBB255_74
.LBB255_72:                             ;   Parent Loop BB255_70 Depth=1
                                        ; =>  This Inner Loop Header: Depth=2
	global_load_dwordx2 v[2:3], v4, s[20:21]
	s_mov_b64 s[24:25], -1
	s_waitcnt vmcnt(0)
	v_cmp_nlt_f64_e32 vcc, v[2:3], v[0:1]
	s_cbranch_vccz .LBB255_71
; %bb.73:                               ;   in Loop: Header=BB255_70 Depth=1
                                        ; implicit-def: $sgpr22_sgpr23
                                        ; implicit-def: $sgpr20_sgpr21
                                        ; implicit-def: $sgpr30_sgpr31
.LBB255_74:                             ;   in Loop: Header=BB255_70 Depth=1
	s_andn2_b64 vcc, exec, s[24:25]
	s_cbranch_vccz .LBB255_69
; %bb.75:                               ;   in Loop: Header=BB255_70 Depth=1
	s_bfe_i64 s[18:19], s[30:31], 0x200000
	s_branch .LBB255_69
.LBB255_76:
	s_cmp_lt_i32 s48, 11
	s_cbranch_scc1 .LBB255_85
; %bb.77:
	s_add_u32 s10, s56, 40
	s_addc_u32 s11, s57, 0
	s_mov_b64 s[12:13], 10
	s_mov_b32 s15, 0
	v_mov_b32_e32 v4, 0
	s_mov_b64 s[16:17], s[36:37]
	s_branch .LBB255_79
.LBB255_78:                             ;   in Loop: Header=BB255_79 Depth=1
	s_lshl_b64 s[20:21], s[18:19], 3
	s_add_u32 s20, s36, s20
	s_addc_u32 s21, s37, s21
	s_lshl_b64 s[18:19], s[18:19], 2
	s_add_u32 s18, s56, s18
	s_addc_u32 s19, s57, s19
	s_add_u32 s12, s12, 1
	s_addc_u32 s13, s13, 0
	;; [unrolled: 2-line block ×4, first 2 shown]
	s_cmp_lg_u32 s12, s48
	global_store_dwordx2 v4, v[0:1], s[20:21]
	global_store_dword v4, v5, s[18:19]
	s_cbranch_scc0 .LBB255_85
.LBB255_79:                             ; =>This Loop Header: Depth=1
                                        ;     Child Loop BB255_81 Depth 2
	s_mov_b32 s14, s12
	s_lshl_b64 s[18:19], s[14:15], 3
	s_add_u32 s18, s36, s18
	s_addc_u32 s19, s37, s19
	s_lshl_b64 s[20:21], s[14:15], 2
	s_add_u32 s20, s56, s20
	s_addc_u32 s21, s57, s21
	global_load_dwordx2 v[0:1], v4, s[18:19]
	global_load_dword v5, v4, s[20:21]
	s_mov_b64 s[20:21], s[16:17]
	s_mov_b64 s[22:23], s[10:11]
	;; [unrolled: 1-line block ×3, first 2 shown]
	s_branch .LBB255_81
.LBB255_80:                             ;   in Loop: Header=BB255_81 Depth=2
	global_load_dword v6, v4, s[22:23] offset:-40
	s_add_u32 s66, s22, 0xffffffd8
	s_addc_u32 s67, s23, -1
	s_add_u32 s30, s18, -10
	s_addc_u32 s31, s19, -1
	global_store_dwordx2 v4, v[2:3], s[20:21] offset:80
	s_add_u32 s20, s20, 0xffffffb0
	s_addc_u32 s21, s21, -1
	s_cmp_lt_i32 s18, 20
	s_mov_b64 s[24:25], 0
	s_mov_b64 s[18:19], s[30:31]
	s_cselect_b64 s[62:63], -1, 0
	s_waitcnt vmcnt(1)
	global_store_dword v4, v6, s[22:23]
	s_mov_b64 s[22:23], s[66:67]
	s_andn2_b64 vcc, exec, s[62:63]
	s_cbranch_vccz .LBB255_83
.LBB255_81:                             ;   Parent Loop BB255_79 Depth=1
                                        ; =>  This Inner Loop Header: Depth=2
	global_load_dwordx2 v[2:3], v4, s[20:21]
	s_mov_b64 s[24:25], -1
	s_waitcnt vmcnt(0)
	v_cmp_nlt_f64_e32 vcc, v[2:3], v[0:1]
	s_cbranch_vccz .LBB255_80
; %bb.82:                               ;   in Loop: Header=BB255_79 Depth=1
                                        ; implicit-def: $sgpr22_sgpr23
                                        ; implicit-def: $sgpr20_sgpr21
                                        ; implicit-def: $sgpr30_sgpr31
.LBB255_83:                             ;   in Loop: Header=BB255_79 Depth=1
	s_andn2_b64 vcc, exec, s[24:25]
	s_cbranch_vccz .LBB255_78
; %bb.84:                               ;   in Loop: Header=BB255_79 Depth=1
	s_bfe_i64 s[18:19], s[30:31], 0x200000
	s_branch .LBB255_78
.LBB255_85:
	s_cmp_lt_i32 s48, 5
	s_cbranch_scc1 .LBB255_94
; %bb.86:
	s_add_u32 s10, s56, 16
	s_addc_u32 s11, s57, 0
	s_add_u32 s12, s54, s52
	s_addc_u32 s13, s55, s53
	;; [unrolled: 2-line block ×3, first 2 shown]
	s_mov_b64 s[14:15], 4
	s_mov_b32 s17, 0
	v_mov_b32_e32 v4, 0
	s_branch .LBB255_88
.LBB255_87:                             ;   in Loop: Header=BB255_88 Depth=1
	s_lshl_b64 s[20:21], s[18:19], 3
	s_add_u32 s20, s36, s20
	s_addc_u32 s21, s37, s21
	s_lshl_b64 s[18:19], s[18:19], 2
	s_add_u32 s18, s56, s18
	s_addc_u32 s19, s57, s19
	s_add_u32 s14, s14, 1
	s_addc_u32 s15, s15, 0
	;; [unrolled: 2-line block ×4, first 2 shown]
	s_cmp_lg_u32 s14, s48
	global_store_dwordx2 v4, v[0:1], s[20:21]
	global_store_dword v4, v5, s[18:19]
	s_cbranch_scc0 .LBB255_94
.LBB255_88:                             ; =>This Loop Header: Depth=1
                                        ;     Child Loop BB255_90 Depth 2
	s_mov_b32 s16, s14
	s_lshl_b64 s[18:19], s[16:17], 3
	s_add_u32 s18, s36, s18
	s_addc_u32 s19, s37, s19
	s_lshl_b64 s[20:21], s[16:17], 2
	s_add_u32 s20, s56, s20
	s_addc_u32 s21, s57, s21
	global_load_dwordx2 v[0:1], v4, s[18:19]
	global_load_dword v5, v4, s[20:21]
	s_mov_b64 s[22:23], s[12:13]
	s_mov_b64 s[20:21], s[10:11]
	;; [unrolled: 1-line block ×3, first 2 shown]
	s_branch .LBB255_90
.LBB255_89:                             ;   in Loop: Header=BB255_90 Depth=2
	global_load_dword v6, v4, s[20:21] offset:-16
	s_mov_b64 s[24:25], 0
	global_store_dwordx2 v4, v[2:3], s[22:23]
	s_add_u32 s22, s20, -16
	s_addc_u32 s23, s21, -1
	s_add_u32 s30, s18, -4
	s_addc_u32 s31, s19, -1
	s_cmp_lt_i32 s18, 8
	s_mov_b64 s[18:19], s[30:31]
	s_cselect_b64 s[66:67], -1, 0
	s_waitcnt vmcnt(1)
	global_store_dword v4, v6, s[20:21]
	s_mov_b64 s[20:21], s[22:23]
	s_mov_b64 s[22:23], s[62:63]
	s_andn2_b64 vcc, exec, s[66:67]
	s_cbranch_vccz .LBB255_92
.LBB255_90:                             ;   Parent Loop BB255_88 Depth=1
                                        ; =>  This Inner Loop Header: Depth=2
	global_load_dwordx2 v[2:3], v4, s[22:23] offset:-32
	s_add_u32 s62, s22, 0xffffffe0
	s_addc_u32 s63, s23, -1
	s_mov_b64 s[24:25], -1
	s_waitcnt vmcnt(0)
	v_cmp_nlt_f64_e32 vcc, v[2:3], v[0:1]
	s_cbranch_vccz .LBB255_89
; %bb.91:                               ;   in Loop: Header=BB255_88 Depth=1
                                        ; implicit-def: $sgpr20_sgpr21
                                        ; implicit-def: $sgpr22_sgpr23
                                        ; implicit-def: $sgpr30_sgpr31
.LBB255_92:                             ;   in Loop: Header=BB255_88 Depth=1
	s_andn2_b64 vcc, exec, s[24:25]
	s_cbranch_vccz .LBB255_87
; %bb.93:                               ;   in Loop: Header=BB255_88 Depth=1
	s_bfe_i64 s[18:19], s[30:31], 0x200000
	s_branch .LBB255_87
.LBB255_94:
	s_cmp_lt_i32 s48, 2
	s_cbranch_scc1 .LBB255_101
; %bb.95:
	s_add_u32 s10, s56, 4
	s_addc_u32 s11, s57, 0
	s_add_u32 s12, s54, s52
	s_addc_u32 s13, s55, s53
	;; [unrolled: 2-line block ×3, first 2 shown]
	s_mov_b64 s[14:15], 1
	s_mov_b32 s17, 0
	v_mov_b32_e32 v4, 0
	s_branch .LBB255_97
.LBB255_96:                             ;   in Loop: Header=BB255_97 Depth=1
	s_lshl_b64 s[18:19], s[24:25], 3
	s_add_u32 s18, s36, s18
	s_addc_u32 s19, s37, s19
	global_store_dwordx2 v4, v[0:1], s[18:19]
	s_lshl_b64 s[18:19], s[24:25], 2
	s_add_u32 s18, s56, s18
	s_addc_u32 s19, s57, s19
	s_add_u32 s14, s14, 1
	s_addc_u32 s15, s15, 0
	;; [unrolled: 2-line block ×4, first 2 shown]
	s_cmp_eq_u32 s14, s48
	global_store_dword v4, v5, s[18:19]
	s_cbranch_scc1 .LBB255_101
.LBB255_97:                             ; =>This Loop Header: Depth=1
                                        ;     Child Loop BB255_99 Depth 2
	s_mov_b32 s16, s14
	s_lshl_b64 s[18:19], s[16:17], 3
	s_add_u32 s18, s36, s18
	s_addc_u32 s19, s37, s19
	s_lshl_b64 s[20:21], s[16:17], 2
	s_add_u32 s20, s56, s20
	s_addc_u32 s21, s57, s21
	global_load_dwordx2 v[0:1], v4, s[18:19]
	global_load_dword v5, v4, s[20:21]
	s_mov_b64 s[22:23], s[12:13]
	s_mov_b64 s[18:19], s[10:11]
	;; [unrolled: 1-line block ×3, first 2 shown]
	s_branch .LBB255_99
.LBB255_98:                             ;   in Loop: Header=BB255_99 Depth=2
	global_load_dword v6, v4, s[18:19] offset:-4
	s_mov_b64 s[24:25], 0
	global_store_dwordx2 v4, v[2:3], s[22:23]
	s_add_u32 s22, s18, -4
	s_addc_u32 s23, s19, -1
	s_add_u32 s62, s20, -1
	s_addc_u32 s63, s21, -1
	s_cmp_lt_i32 s20, 2
	s_mov_b64 s[20:21], s[62:63]
	s_cselect_b64 s[62:63], -1, 0
	s_waitcnt vmcnt(1)
	global_store_dword v4, v6, s[18:19]
	s_mov_b64 s[18:19], s[22:23]
	s_mov_b64 s[22:23], s[30:31]
	s_andn2_b64 vcc, exec, s[62:63]
	s_cbranch_vccz .LBB255_96
.LBB255_99:                             ;   Parent Loop BB255_97 Depth=1
                                        ; =>  This Inner Loop Header: Depth=2
	global_load_dwordx2 v[2:3], v4, s[22:23] offset:-8
	s_add_u32 s30, s22, -8
	s_addc_u32 s31, s23, -1
	s_mov_b64 s[62:63], -1
	s_waitcnt vmcnt(0)
	v_cmp_nlt_f64_e32 vcc, v[2:3], v[0:1]
	s_cbranch_vccz .LBB255_98
; %bb.100:                              ;   in Loop: Header=BB255_99 Depth=2
                                        ; implicit-def: $sgpr18_sgpr19
                                        ; implicit-def: $sgpr22_sgpr23
	s_mov_b64 s[24:25], s[20:21]
	s_andn2_b64 vcc, exec, s[62:63]
	s_cbranch_vccnz .LBB255_99
	s_branch .LBB255_96
.LBB255_101:
	s_or_b64 exec, exec, s[8:9]
	s_cmp_lt_i32 s48, 2
	s_cselect_b64 s[12:13], -1, 0
	s_mov_b64 s[66:67], 0
	s_and_b64 vcc, exec, s[12:13]
	s_barrier
	s_cbranch_vccnz .LBB255_109
; %bb.102:
	s_add_i32 s22, s48, -1
	v_cmp_gt_u32_e32 vcc, s22, v41
	s_mov_b64 s[12:13], -1
	s_mov_b64 s[8:9], 0
	s_and_saveexec_b64 s[10:11], vcc
	s_cbranch_execz .LBB255_111
; %bb.103:
	s_add_u32 s23, s36, 8
	s_addc_u32 s24, s37, 0
	s_mov_b64 s[12:13], 0
	v_mov_b32_e32 v1, 0
	v_mov_b32_e32 v4, s37
	;; [unrolled: 1-line block ×3, first 2 shown]
                                        ; implicit-def: $sgpr14_sgpr15
	s_branch .LBB255_105
.LBB255_104:                            ;   in Loop: Header=BB255_105 Depth=1
	s_or_b64 exec, exec, s[20:21]
	s_xor_b64 s[16:17], s[16:17], -1
	s_and_b64 s[8:9], exec, s[8:9]
	s_or_b64 s[12:13], s[8:9], s[12:13]
	s_andn2_b64 s[8:9], s[14:15], exec
	s_and_b64 s[14:15], s[16:17], exec
	s_or_b64 s[14:15], s[8:9], s[14:15]
	s_andn2_b64 exec, exec, s[12:13]
	s_cbranch_execz .LBB255_110
.LBB255_105:                            ; =>This Inner Loop Header: Depth=1
	v_lshlrev_b64 v[2:3], 3, v[0:1]
	v_add_co_u32_e32 v2, vcc, s36, v2
	v_addc_co_u32_e32 v3, vcc, v4, v3, vcc
	global_load_dwordx2 v[2:3], v[2:3], off
                                        ; implicit-def: $sgpr16_sgpr17
	s_waitcnt vmcnt(0)
	v_cmp_u_f64_e64 s[18:19], v[2:3], v[2:3]
	v_cmp_o_f64_e32 vcc, v[2:3], v[2:3]
	s_and_saveexec_b64 s[20:21], vcc
	s_cbranch_execz .LBB255_107
; %bb.106:                              ;   in Loop: Header=BB255_105 Depth=1
	v_ashrrev_i32_e32 v7, 31, v0
	v_mov_b32_e32 v6, v0
	v_lshlrev_b64 v[6:7], 3, v[6:7]
	v_mov_b32_e32 v5, s24
	v_add_co_u32_e32 v6, vcc, s23, v6
	v_addc_co_u32_e32 v7, vcc, v5, v7, vcc
	global_load_dwordx2 v[6:7], v[6:7], off
	s_andn2_b64 s[18:19], s[18:19], exec
	s_mov_b64 s[16:17], -1
	s_waitcnt vmcnt(0)
	v_cmp_u_f64_e32 vcc, v[6:7], v[6:7]
	v_cmp_ge_f64_e64 s[8:9], v[2:3], v[6:7]
	s_or_b64 s[8:9], vcc, s[8:9]
	s_and_b64 s[8:9], s[8:9], exec
	s_or_b64 s[18:19], s[18:19], s[8:9]
.LBB255_107:                            ;   in Loop: Header=BB255_105 Depth=1
	s_or_b64 exec, exec, s[20:21]
	s_mov_b64 s[8:9], -1
	s_and_saveexec_b64 s[20:21], s[18:19]
	s_cbranch_execz .LBB255_104
; %bb.108:                              ;   in Loop: Header=BB255_105 Depth=1
	v_add_u32_e32 v0, s60, v0
	v_cmp_le_u32_e32 vcc, s22, v0
	s_andn2_b64 s[16:17], s[16:17], exec
	s_orn2_b64 s[8:9], vcc, exec
	s_branch .LBB255_104
.LBB255_109:
	s_mov_b64 s[8:9], 0
	s_branch .LBB255_112
.LBB255_110:
	s_or_b64 exec, exec, s[12:13]
	s_mov_b64 s[8:9], exec
	s_orn2_b64 s[12:13], s[14:15], exec
.LBB255_111:
	s_or_b64 exec, exec, s[10:11]
.LBB255_112:
	s_and_saveexec_b64 s[10:11], s[12:13]
	s_cbranch_execz .LBB255_114
; %bb.113:
	s_mov_b64 s[66:67], exec
	s_barrier
	s_andn2_b64 s[8:9], s[8:9], exec
.LBB255_114:
	s_or_b64 exec, exec, s[10:11]
	s_mov_b64 s[62:63], 0
	s_and_saveexec_b64 s[68:69], s[8:9]
	s_cbranch_execz .LBB255_116
; %bb.115:
	s_add_u32 s8, s6, 0x90
	s_addc_u32 s9, s7, 0
	s_getpc_b64 s[10:11]
	s_add_u32 s10, s10, __PRETTY_FUNCTION__._ZN9rocsolver6v33100L21shell_sort_descendingIdiEEvT0_PT_PS2_@rel32@lo+4
	s_addc_u32 s11, s11, __PRETTY_FUNCTION__._ZN9rocsolver6v33100L21shell_sort_descendingIdiEEvT0_PT_PS2_@rel32@hi+12
	v_mov_b32_e32 v0, s10
	v_mov_b32_e32 v1, s11
	s_getpc_b64 s[12:13]
	s_add_u32 s12, s12, __assert_fail@rel32@lo+4
	s_addc_u32 s13, s13, __assert_fail@rel32@hi+12
	s_mov_b64 s[62:63], s[6:7]
	s_mov_b64 s[70:71], s[4:5]
	s_swappc_b64 s[30:31], s[12:13]
	s_mov_b64 s[4:5], s[70:71]
	s_mov_b64 s[6:7], s[62:63]
	s_mov_b64 s[62:63], exec
.LBB255_116:
	s_or_b64 exec, exec, s[68:69]
.LBB255_117:
	s_and_saveexec_b64 s[18:19], s[66:67]
	s_cbranch_execz .LBB255_141
; %bb.118:
	s_andn2_b64 vcc, exec, s[64:65]
	s_barrier
	s_cbranch_vccnz .LBB255_140
; %bb.119:
	s_load_dwordx2 s[10:11], s[4:5], 0x4
	s_mov_b32 s21, 0
	v_cmp_eq_u32_e64 s[4:5], 0, v41
	v_cmp_gt_u32_e64 s[8:9], s49, v41
	s_mov_b32 s72, s47
	s_waitcnt lgkmcnt(0)
	s_lshr_b32 s10, s10, 16
	s_mul_i32 s10, s10, s11
	s_cmp_gt_i32 s49, 0
	v_mul_lo_u32 v0, s10, v42
	s_cselect_b64 s[14:15], -1, 0
	s_ashr_i32 s33, s47, 31
	v_mad_u32_u24 v0, v43, s11, v0
	s_cmp_gt_i32 s50, 0
	v_add_lshl_u32 v2, v0, v44, 4
	s_cselect_b64 s[16:17], -1, 0
	v_cndmask_b32_e64 v0, 0, 1, s[14:15]
	s_cmp_gt_i32 s51, 0
	v_cmp_ne_u32_e64 s[14:15], 1, v0
	v_cndmask_b32_e64 v0, 0, 1, s[16:17]
	v_add_u32_e32 v3, 0x4000, v2
	v_cmp_gt_u32_e64 s[10:11], s50, v41
	s_mov_b32 s73, s43
	s_cselect_b64 s[22:23], -1, 0
	v_cmp_gt_u32_e64 s[12:13], s51, v41
	s_ashr_i32 s74, s61, 31
	s_mov_b32 s75, s61
	v_mov_b32_e32 v1, 0
	v_cmp_ne_u32_e64 s[16:17], 1, v0
	s_mov_b32 s20, s21
	s_branch .LBB255_121
.LBB255_120:                            ;   in Loop: Header=BB255_121 Depth=1
	s_add_i32 s20, s20, 1
	s_cmp_eq_u32 s20, s48
	s_cbranch_scc1 .LBB255_140
.LBB255_121:                            ; =>This Loop Header: Depth=1
                                        ;     Child Loop BB255_124 Depth 2
                                        ;       Child Loop BB255_129 Depth 3
                                        ;       Child Loop BB255_134 Depth 3
                                        ;       Child Loop BB255_139 Depth 3
	s_lshl_b64 s[24:25], s[20:21], 2
	s_add_u32 s24, s56, s24
	s_addc_u32 s25, s57, s25
	global_load_dword v0, v1, s[24:25]
	s_waitcnt vmcnt(0)
	v_cmp_eq_u32_e32 vcc, s20, v0
	v_readfirstlane_b32 s30, v0
	s_cbranch_vccz .LBB255_124
	s_branch .LBB255_120
.LBB255_122:                            ;   in Loop: Header=BB255_124 Depth=2
	s_or_b64 exec, exec, s[64:65]
	s_waitcnt lgkmcnt(0)
	s_barrier
.LBB255_123:                            ;   in Loop: Header=BB255_124 Depth=2
	global_load_dword v0, v1, s[24:25]
	s_waitcnt vmcnt(0)
	v_cmp_ne_u32_e32 vcc, s20, v0
	v_readfirstlane_b32 s30, v0
	s_cbranch_vccz .LBB255_120
.LBB255_124:                            ;   Parent Loop BB255_121 Depth=1
                                        ; =>  This Loop Header: Depth=2
                                        ;       Child Loop BB255_129 Depth 3
                                        ;       Child Loop BB255_134 Depth 3
	;; [unrolled: 1-line block ×3, first 2 shown]
	s_ashr_i32 s31, s30, 31
	s_lshl_b64 s[58:59], s[30:31], 2
	s_add_u32 s64, s56, s58
	s_addc_u32 s65, s57, s59
	global_load_dword v0, v1, s[64:65]
	s_barrier
	s_waitcnt vmcnt(0)
	v_readfirstlane_b32 s58, v0
	s_and_saveexec_b64 s[66:67], s[4:5]
	s_cbranch_execz .LBB255_126
; %bb.125:                              ;   in Loop: Header=BB255_124 Depth=2
	v_mov_b32_e32 v0, s30
	global_store_dword v1, v0, s[64:65]
	v_mov_b32_e32 v0, s58
	global_store_dword v1, v0, s[24:25]
.LBB255_126:                            ;   in Loop: Header=BB255_124 Depth=2
	s_or_b64 exec, exec, s[66:67]
	s_and_b64 vcc, exec, s[14:15]
	s_barrier
	s_cbranch_vccnz .LBB255_131
; %bb.127:                              ;   in Loop: Header=BB255_124 Depth=2
	s_and_saveexec_b64 s[64:65], s[8:9]
	s_cbranch_execz .LBB255_130
; %bb.128:                              ;   in Loop: Header=BB255_124 Depth=2
	s_ashr_i32 s59, s58, 31
	s_mov_b64 s[66:67], 0
	s_lshl_b64 s[68:69], s[30:31], 4
	s_lshl_b64 s[70:71], s[58:59], 4
	v_mov_b32_e32 v0, v41
.LBB255_129:                            ;   Parent Loop BB255_121 Depth=1
                                        ;     Parent Loop BB255_124 Depth=2
                                        ; =>    This Inner Loop Header: Depth=3
	v_mad_u64_u32 v[4:5], s[76:77], v0, s72, 0
	v_mov_b32_e32 v6, v5
	v_mad_u64_u32 v[6:7], s[76:77], v0, s33, v[6:7]
	v_mov_b32_e32 v5, v6
	v_lshlrev_b64 v[4:5], 4, v[4:5]
	v_mov_b32_e32 v8, s35
	v_add_co_u32_e32 v4, vcc, s34, v4
	v_addc_co_u32_e32 v5, vcc, v8, v5, vcc
	v_mov_b32_e32 v9, s69
	v_add_co_u32_e32 v12, vcc, s68, v4
	v_addc_co_u32_e32 v13, vcc, v5, v9, vcc
	;; [unrolled: 3-line block ×3, first 2 shown]
	flat_load_dwordx4 v[4:7], v[14:15]
	flat_load_dwordx4 v[8:11], v[12:13]
	v_add_u32_e32 v0, s60, v0
	v_cmp_le_u32_e32 vcc, s49, v0
	s_or_b64 s[66:67], vcc, s[66:67]
	s_waitcnt vmcnt(0) lgkmcnt(0)
	flat_store_dwordx4 v[12:13], v[4:7]
	flat_store_dwordx4 v[14:15], v[8:11]
	s_andn2_b64 exec, exec, s[66:67]
	s_cbranch_execnz .LBB255_129
.LBB255_130:                            ;   in Loop: Header=BB255_124 Depth=2
	s_or_b64 exec, exec, s[64:65]
	s_waitcnt lgkmcnt(0)
	s_barrier
.LBB255_131:                            ;   in Loop: Header=BB255_124 Depth=2
	s_and_b64 vcc, exec, s[16:17]
	s_cbranch_vccnz .LBB255_136
; %bb.132:                              ;   in Loop: Header=BB255_124 Depth=2
	s_and_saveexec_b64 s[64:65], s[10:11]
	s_cbranch_execz .LBB255_135
; %bb.133:                              ;   in Loop: Header=BB255_124 Depth=2
	s_mul_hi_i32 s67, s30, s73
	s_mul_i32 s66, s30, s73
	s_lshl_b64 s[66:67], s[66:67], 4
	s_add_u32 s59, s28, s66
	s_addc_u32 s69, s29, s67
	s_mul_hi_i32 s67, s58, s73
	s_mul_i32 s66, s58, s73
	s_lshl_b64 s[66:67], s[66:67], 4
	s_add_u32 s68, s28, s66
	s_addc_u32 s70, s29, s67
	s_mov_b64 s[66:67], 0
	v_mov_b32_e32 v4, s69
	v_mov_b32_e32 v5, s70
	;; [unrolled: 1-line block ×3, first 2 shown]
.LBB255_134:                            ;   Parent Loop BB255_121 Depth=1
                                        ;     Parent Loop BB255_124 Depth=2
                                        ; =>    This Inner Loop Header: Depth=3
	v_lshlrev_b64 v[10:11], 4, v[0:1]
	v_add_co_u32_e32 v12, vcc, s59, v10
	v_addc_co_u32_e32 v13, vcc, v4, v11, vcc
	flat_load_dwordx4 v[6:9], v[12:13]
	v_add_co_u32_e32 v10, vcc, s68, v10
	v_addc_co_u32_e32 v11, vcc, v5, v11, vcc
	v_add_u32_e32 v0, s60, v0
	v_cmp_le_u32_e32 vcc, s50, v0
	s_or_b64 s[66:67], vcc, s[66:67]
	s_waitcnt vmcnt(0) lgkmcnt(0)
	ds_write2_b64 v2, v[6:7], v[8:9] offset1:1
	flat_load_dwordx4 v[6:9], v[10:11]
	s_waitcnt vmcnt(0) lgkmcnt(0)
	flat_store_dwordx4 v[12:13], v[6:9]
	ds_read2_b64 v[6:9], v2 offset1:1
	s_waitcnt lgkmcnt(0)
	flat_store_dwordx4 v[10:11], v[6:9]
	s_andn2_b64 exec, exec, s[66:67]
	s_cbranch_execnz .LBB255_134
.LBB255_135:                            ;   in Loop: Header=BB255_124 Depth=2
	s_or_b64 exec, exec, s[64:65]
	s_waitcnt lgkmcnt(0)
	s_barrier
.LBB255_136:                            ;   in Loop: Header=BB255_124 Depth=2
	s_andn2_b64 vcc, exec, s[22:23]
	s_cbranch_vccnz .LBB255_123
; %bb.137:                              ;   in Loop: Header=BB255_124 Depth=2
	s_and_saveexec_b64 s[64:65], s[12:13]
	s_cbranch_execz .LBB255_122
; %bb.138:                              ;   in Loop: Header=BB255_124 Depth=2
	s_ashr_i32 s59, s58, 31
	s_mov_b64 s[66:67], 0
	s_lshl_b64 s[58:59], s[58:59], 4
	v_mov_b32_e32 v0, v41
.LBB255_139:                            ;   Parent Loop BB255_121 Depth=1
                                        ;     Parent Loop BB255_124 Depth=2
                                        ; =>    This Inner Loop Header: Depth=3
	v_mad_u64_u32 v[4:5], s[68:69], v0, s75, 0
	v_mov_b32_e32 v6, v5
	v_mad_u64_u32 v[6:7], s[70:71], v0, s74, v[6:7]
	v_mov_b32_e32 v5, v6
	v_lshlrev_b64 v[4:5], 4, v[4:5]
	v_mov_b32_e32 v8, s45
	v_add_co_u32_e32 v10, vcc, s44, v4
	s_lshl_b64 s[68:69], s[30:31], 4
	v_addc_co_u32_e32 v11, vcc, v8, v5, vcc
	v_mov_b32_e32 v9, s69
	v_add_co_u32_e32 v8, vcc, s68, v10
	v_addc_co_u32_e32 v9, vcc, v11, v9, vcc
	flat_load_dwordx4 v[4:7], v[8:9]
	v_mov_b32_e32 v12, s59
	v_add_co_u32_e32 v10, vcc, s58, v10
	v_addc_co_u32_e32 v11, vcc, v11, v12, vcc
	v_add_u32_e32 v0, s60, v0
	v_cmp_le_u32_e32 vcc, s51, v0
	s_or_b64 s[66:67], vcc, s[66:67]
	s_waitcnt vmcnt(0) lgkmcnt(0)
	ds_write2_b64 v3, v[4:5], v[6:7] offset1:1
	flat_load_dwordx4 v[4:7], v[10:11]
	s_waitcnt vmcnt(0) lgkmcnt(0)
	flat_store_dwordx4 v[8:9], v[4:7]
	ds_read2_b64 v[4:7], v3 offset1:1
	s_waitcnt lgkmcnt(0)
	flat_store_dwordx4 v[10:11], v[4:7]
	s_andn2_b64 exec, exec, s[66:67]
	s_cbranch_execnz .LBB255_139
	s_branch .LBB255_122
.LBB255_140:
	s_mov_b64 s[58:59], exec
.LBB255_141:
	s_or_b64 exec, exec, s[18:19]
	s_branch .LBB255_228
.LBB255_142:
	s_mov_b64 s[58:59], -1
	s_and_b64 vcc, exec, s[40:41]
	s_cbranch_vccz .LBB255_228
; %bb.143:
	v_or3_b32 v0, v43, v44, v42
	v_cmp_eq_u32_e32 vcc, 0, v0
	s_barrier
	s_barrier
	s_and_saveexec_b64 s[4:5], vcc
	s_cbranch_execz .LBB255_212
; %bb.144:
	s_cmpk_lt_u32 s48, 0x2be
	s_cbranch_scc1 .LBB255_151
; %bb.145:
	s_mov_b64 s[8:9], 0x2bd
	s_mov_b32 s11, 0
	v_mov_b32_e32 v4, 0
	v_mov_b32_e32 v5, 0x1000
	s_mov_b64 s[12:13], s[36:37]
	s_branch .LBB255_147
.LBB255_146:                            ;   in Loop: Header=BB255_147 Depth=1
	s_lshl_b64 s[14:15], s[18:19], 3
	s_add_u32 s14, s36, s14
	s_addc_u32 s15, s37, s15
	s_add_u32 s8, s8, 1
	s_addc_u32 s9, s9, 0
	;; [unrolled: 2-line block ×3, first 2 shown]
	s_cmp_eq_u32 s8, s48
	global_store_dwordx2 v4, v[0:1], s[14:15]
	s_cbranch_scc1 .LBB255_151
.LBB255_147:                            ; =>This Loop Header: Depth=1
                                        ;     Child Loop BB255_149 Depth 2
	s_mov_b32 s10, s8
	s_lshl_b64 s[14:15], s[10:11], 3
	s_add_u32 s14, s36, s14
	s_addc_u32 s15, s37, s15
	global_load_dwordx2 v[0:1], v4, s[14:15]
	s_mov_b64 s[14:15], s[12:13]
	s_mov_b64 s[16:17], s[8:9]
	s_branch .LBB255_149
.LBB255_148:                            ;   in Loop: Header=BB255_149 Depth=2
	s_add_u32 s18, s16, 0xfffffd43
	s_addc_u32 s19, s17, -1
	global_store_dwordx2 v5, v[2:3], s[14:15] offset:1512
	s_add_u32 s14, s14, 0xffffea18
	s_addc_u32 s15, s15, -1
	s_cmpk_lt_i32 s16, 0x57a
	s_cselect_b64 s[20:21], -1, 0
	s_mov_b64 s[16:17], s[18:19]
	s_andn2_b64 vcc, exec, s[20:21]
	s_cbranch_vccz .LBB255_146
.LBB255_149:                            ;   Parent Loop BB255_147 Depth=1
                                        ; =>  This Inner Loop Header: Depth=2
	global_load_dwordx2 v[2:3], v4, s[14:15]
	s_mov_b64 s[20:21], -1
	s_waitcnt vmcnt(0)
	v_cmp_nlt_f64_e32 vcc, v[2:3], v[0:1]
	s_cbranch_vccz .LBB255_148
; %bb.150:                              ;   in Loop: Header=BB255_149 Depth=2
                                        ; implicit-def: $sgpr14_sgpr15
	s_mov_b64 s[18:19], s[16:17]
	s_andn2_b64 vcc, exec, s[20:21]
	s_cbranch_vccnz .LBB255_149
	s_branch .LBB255_146
.LBB255_151:
	s_cmpk_lt_i32 s48, 0x12e
	s_cbranch_scc1 .LBB255_160
; %bb.152:
	s_mov_b64 s[8:9], 0x12d
	s_mov_b32 s11, 0
	v_mov_b32_e32 v4, 0
	s_mov_b64 s[12:13], s[36:37]
	s_branch .LBB255_154
.LBB255_153:                            ;   in Loop: Header=BB255_154 Depth=1
	s_lshl_b64 s[14:15], s[14:15], 3
	s_add_u32 s14, s36, s14
	s_addc_u32 s15, s37, s15
	s_add_u32 s8, s8, 1
	s_addc_u32 s9, s9, 0
	;; [unrolled: 2-line block ×3, first 2 shown]
	s_cmp_lg_u32 s8, s48
	global_store_dwordx2 v4, v[0:1], s[14:15]
	s_cbranch_scc0 .LBB255_160
.LBB255_154:                            ; =>This Loop Header: Depth=1
                                        ;     Child Loop BB255_156 Depth 2
	s_mov_b32 s10, s8
	s_lshl_b64 s[14:15], s[10:11], 3
	s_add_u32 s14, s36, s14
	s_addc_u32 s15, s37, s15
	global_load_dwordx2 v[0:1], v4, s[14:15]
	s_mov_b64 s[16:17], s[12:13]
	s_mov_b64 s[14:15], s[8:9]
	s_branch .LBB255_156
.LBB255_155:                            ;   in Loop: Header=BB255_156 Depth=2
	s_add_u32 s18, s14, 0xfffffed3
	s_addc_u32 s19, s15, -1
	global_store_dwordx2 v4, v[2:3], s[16:17] offset:2408
	s_add_u32 s16, s16, 0xfffff698
	s_addc_u32 s17, s17, -1
	s_cmpk_lt_i32 s14, 0x25a
	s_mov_b64 s[20:21], 0
	s_cselect_b64 s[22:23], -1, 0
	s_mov_b64 s[14:15], s[18:19]
	s_andn2_b64 vcc, exec, s[22:23]
	s_cbranch_vccz .LBB255_158
.LBB255_156:                            ;   Parent Loop BB255_154 Depth=1
                                        ; =>  This Inner Loop Header: Depth=2
	global_load_dwordx2 v[2:3], v4, s[16:17]
	s_mov_b64 s[20:21], -1
	s_waitcnt vmcnt(0)
	v_cmp_nlt_f64_e32 vcc, v[2:3], v[0:1]
	s_cbranch_vccz .LBB255_155
; %bb.157:                              ;   in Loop: Header=BB255_154 Depth=1
                                        ; implicit-def: $sgpr16_sgpr17
                                        ; implicit-def: $sgpr18_sgpr19
.LBB255_158:                            ;   in Loop: Header=BB255_154 Depth=1
	s_andn2_b64 vcc, exec, s[20:21]
	s_cbranch_vccz .LBB255_153
; %bb.159:                              ;   in Loop: Header=BB255_154 Depth=1
	s_bfe_i64 s[14:15], s[18:19], 0x200000
	s_branch .LBB255_153
.LBB255_160:
	s_cmpk_lt_i32 s48, 0x85
	s_cbranch_scc1 .LBB255_169
; %bb.161:
	s_mov_b64 s[8:9], 0x84
	s_mov_b32 s11, 0
	v_mov_b32_e32 v4, 0
	s_mov_b64 s[12:13], s[36:37]
	s_branch .LBB255_163
.LBB255_162:                            ;   in Loop: Header=BB255_163 Depth=1
	s_lshl_b64 s[14:15], s[14:15], 3
	s_add_u32 s14, s36, s14
	s_addc_u32 s15, s37, s15
	s_add_u32 s8, s8, 1
	s_addc_u32 s9, s9, 0
	;; [unrolled: 2-line block ×3, first 2 shown]
	s_cmp_lg_u32 s8, s48
	global_store_dwordx2 v4, v[0:1], s[14:15]
	s_cbranch_scc0 .LBB255_169
.LBB255_163:                            ; =>This Loop Header: Depth=1
                                        ;     Child Loop BB255_165 Depth 2
	s_mov_b32 s10, s8
	s_lshl_b64 s[14:15], s[10:11], 3
	s_add_u32 s14, s36, s14
	s_addc_u32 s15, s37, s15
	global_load_dwordx2 v[0:1], v4, s[14:15]
	s_mov_b64 s[16:17], s[12:13]
	s_mov_b64 s[14:15], s[8:9]
	s_branch .LBB255_165
.LBB255_164:                            ;   in Loop: Header=BB255_165 Depth=2
	s_add_u32 s18, s14, 0xffffff7c
	s_addc_u32 s19, s15, -1
	global_store_dwordx2 v4, v[2:3], s[16:17] offset:1056
	s_add_u32 s16, s16, 0xfffffbe0
	s_addc_u32 s17, s17, -1
	s_cmpk_lt_i32 s14, 0x108
	s_mov_b64 s[20:21], 0
	s_cselect_b64 s[22:23], -1, 0
	s_mov_b64 s[14:15], s[18:19]
	s_andn2_b64 vcc, exec, s[22:23]
	s_cbranch_vccz .LBB255_167
.LBB255_165:                            ;   Parent Loop BB255_163 Depth=1
                                        ; =>  This Inner Loop Header: Depth=2
	global_load_dwordx2 v[2:3], v4, s[16:17]
	s_mov_b64 s[20:21], -1
	s_waitcnt vmcnt(0)
	v_cmp_nlt_f64_e32 vcc, v[2:3], v[0:1]
	s_cbranch_vccz .LBB255_164
; %bb.166:                              ;   in Loop: Header=BB255_163 Depth=1
                                        ; implicit-def: $sgpr16_sgpr17
                                        ; implicit-def: $sgpr18_sgpr19
.LBB255_167:                            ;   in Loop: Header=BB255_163 Depth=1
	s_andn2_b64 vcc, exec, s[20:21]
	s_cbranch_vccz .LBB255_162
; %bb.168:                              ;   in Loop: Header=BB255_163 Depth=1
	s_bfe_i64 s[14:15], s[18:19], 0x200000
	s_branch .LBB255_162
.LBB255_169:
	s_cmp_lt_i32 s48, 58
	s_cbranch_scc1 .LBB255_178
; %bb.170:
	s_mov_b64 s[8:9], 57
	s_mov_b32 s11, 0
	v_mov_b32_e32 v4, 0
	s_mov_b64 s[12:13], s[36:37]
	s_branch .LBB255_172
.LBB255_171:                            ;   in Loop: Header=BB255_172 Depth=1
	s_lshl_b64 s[14:15], s[14:15], 3
	s_add_u32 s14, s36, s14
	s_addc_u32 s15, s37, s15
	s_add_u32 s8, s8, 1
	s_addc_u32 s9, s9, 0
	;; [unrolled: 2-line block ×3, first 2 shown]
	s_cmp_lg_u32 s8, s48
	global_store_dwordx2 v4, v[0:1], s[14:15]
	s_cbranch_scc0 .LBB255_178
.LBB255_172:                            ; =>This Loop Header: Depth=1
                                        ;     Child Loop BB255_174 Depth 2
	s_mov_b32 s10, s8
	s_lshl_b64 s[14:15], s[10:11], 3
	s_add_u32 s14, s36, s14
	s_addc_u32 s15, s37, s15
	global_load_dwordx2 v[0:1], v4, s[14:15]
	s_mov_b64 s[16:17], s[12:13]
	s_mov_b64 s[14:15], s[8:9]
	s_branch .LBB255_174
.LBB255_173:                            ;   in Loop: Header=BB255_174 Depth=2
	s_add_u32 s18, s14, 0xffffffc7
	s_addc_u32 s19, s15, -1
	global_store_dwordx2 v4, v[2:3], s[16:17] offset:456
	s_add_u32 s16, s16, 0xfffffe38
	s_addc_u32 s17, s17, -1
	s_cmpk_lt_i32 s14, 0x72
	s_mov_b64 s[20:21], 0
	s_cselect_b64 s[22:23], -1, 0
	s_mov_b64 s[14:15], s[18:19]
	s_andn2_b64 vcc, exec, s[22:23]
	s_cbranch_vccz .LBB255_176
.LBB255_174:                            ;   Parent Loop BB255_172 Depth=1
                                        ; =>  This Inner Loop Header: Depth=2
	global_load_dwordx2 v[2:3], v4, s[16:17]
	s_mov_b64 s[20:21], -1
	s_waitcnt vmcnt(0)
	v_cmp_nlt_f64_e32 vcc, v[2:3], v[0:1]
	s_cbranch_vccz .LBB255_173
; %bb.175:                              ;   in Loop: Header=BB255_172 Depth=1
                                        ; implicit-def: $sgpr16_sgpr17
                                        ; implicit-def: $sgpr18_sgpr19
.LBB255_176:                            ;   in Loop: Header=BB255_172 Depth=1
	s_andn2_b64 vcc, exec, s[20:21]
	s_cbranch_vccz .LBB255_171
; %bb.177:                              ;   in Loop: Header=BB255_172 Depth=1
	s_bfe_i64 s[14:15], s[18:19], 0x200000
	s_branch .LBB255_171
.LBB255_178:
	s_cmp_lt_i32 s48, 24
	s_cbranch_scc1 .LBB255_187
; %bb.179:
	s_mov_b64 s[8:9], 23
	s_mov_b32 s11, 0
	v_mov_b32_e32 v4, 0
	s_mov_b64 s[12:13], s[36:37]
	s_branch .LBB255_181
.LBB255_180:                            ;   in Loop: Header=BB255_181 Depth=1
	s_lshl_b64 s[14:15], s[14:15], 3
	s_add_u32 s14, s36, s14
	s_addc_u32 s15, s37, s15
	s_add_u32 s8, s8, 1
	s_addc_u32 s9, s9, 0
	;; [unrolled: 2-line block ×3, first 2 shown]
	s_cmp_lg_u32 s8, s48
	global_store_dwordx2 v4, v[0:1], s[14:15]
	s_cbranch_scc0 .LBB255_187
.LBB255_181:                            ; =>This Loop Header: Depth=1
                                        ;     Child Loop BB255_183 Depth 2
	s_mov_b32 s10, s8
	s_lshl_b64 s[14:15], s[10:11], 3
	s_add_u32 s14, s36, s14
	s_addc_u32 s15, s37, s15
	global_load_dwordx2 v[0:1], v4, s[14:15]
	s_mov_b64 s[16:17], s[12:13]
	s_mov_b64 s[14:15], s[8:9]
	s_branch .LBB255_183
.LBB255_182:                            ;   in Loop: Header=BB255_183 Depth=2
	s_add_u32 s18, s14, 0xffffffe9
	s_addc_u32 s19, s15, -1
	global_store_dwordx2 v4, v[2:3], s[16:17] offset:184
	s_add_u32 s16, s16, 0xffffff48
	s_addc_u32 s17, s17, -1
	s_cmp_lt_i32 s14, 46
	s_mov_b64 s[20:21], 0
	s_cselect_b64 s[22:23], -1, 0
	s_mov_b64 s[14:15], s[18:19]
	s_andn2_b64 vcc, exec, s[22:23]
	s_cbranch_vccz .LBB255_185
.LBB255_183:                            ;   Parent Loop BB255_181 Depth=1
                                        ; =>  This Inner Loop Header: Depth=2
	global_load_dwordx2 v[2:3], v4, s[16:17]
	s_mov_b64 s[20:21], -1
	s_waitcnt vmcnt(0)
	v_cmp_nlt_f64_e32 vcc, v[2:3], v[0:1]
	s_cbranch_vccz .LBB255_182
; %bb.184:                              ;   in Loop: Header=BB255_181 Depth=1
                                        ; implicit-def: $sgpr16_sgpr17
                                        ; implicit-def: $sgpr18_sgpr19
.LBB255_185:                            ;   in Loop: Header=BB255_181 Depth=1
	s_andn2_b64 vcc, exec, s[20:21]
	s_cbranch_vccz .LBB255_180
; %bb.186:                              ;   in Loop: Header=BB255_181 Depth=1
	s_bfe_i64 s[14:15], s[18:19], 0x200000
	s_branch .LBB255_180
.LBB255_187:
	s_cmp_lt_i32 s48, 11
	s_cbranch_scc1 .LBB255_196
; %bb.188:
	s_mov_b64 s[8:9], 10
	s_mov_b32 s11, 0
	v_mov_b32_e32 v4, 0
	s_mov_b64 s[12:13], s[36:37]
	s_branch .LBB255_190
.LBB255_189:                            ;   in Loop: Header=BB255_190 Depth=1
	s_lshl_b64 s[14:15], s[14:15], 3
	s_add_u32 s14, s36, s14
	s_addc_u32 s15, s37, s15
	s_add_u32 s8, s8, 1
	s_addc_u32 s9, s9, 0
	;; [unrolled: 2-line block ×3, first 2 shown]
	s_cmp_lg_u32 s8, s48
	global_store_dwordx2 v4, v[0:1], s[14:15]
	s_cbranch_scc0 .LBB255_196
.LBB255_190:                            ; =>This Loop Header: Depth=1
                                        ;     Child Loop BB255_192 Depth 2
	s_mov_b32 s10, s8
	s_lshl_b64 s[14:15], s[10:11], 3
	s_add_u32 s14, s36, s14
	s_addc_u32 s15, s37, s15
	global_load_dwordx2 v[0:1], v4, s[14:15]
	s_mov_b64 s[16:17], s[12:13]
	s_mov_b64 s[14:15], s[8:9]
	s_branch .LBB255_192
.LBB255_191:                            ;   in Loop: Header=BB255_192 Depth=2
	s_add_u32 s18, s14, -10
	s_addc_u32 s19, s15, -1
	global_store_dwordx2 v4, v[2:3], s[16:17] offset:80
	s_add_u32 s16, s16, 0xffffffb0
	s_addc_u32 s17, s17, -1
	s_cmp_lt_i32 s14, 20
	s_mov_b64 s[20:21], 0
	s_cselect_b64 s[22:23], -1, 0
	s_mov_b64 s[14:15], s[18:19]
	s_andn2_b64 vcc, exec, s[22:23]
	s_cbranch_vccz .LBB255_194
.LBB255_192:                            ;   Parent Loop BB255_190 Depth=1
                                        ; =>  This Inner Loop Header: Depth=2
	global_load_dwordx2 v[2:3], v4, s[16:17]
	s_mov_b64 s[20:21], -1
	s_waitcnt vmcnt(0)
	v_cmp_nlt_f64_e32 vcc, v[2:3], v[0:1]
	s_cbranch_vccz .LBB255_191
; %bb.193:                              ;   in Loop: Header=BB255_190 Depth=1
                                        ; implicit-def: $sgpr16_sgpr17
                                        ; implicit-def: $sgpr18_sgpr19
.LBB255_194:                            ;   in Loop: Header=BB255_190 Depth=1
	s_andn2_b64 vcc, exec, s[20:21]
	s_cbranch_vccz .LBB255_189
; %bb.195:                              ;   in Loop: Header=BB255_190 Depth=1
	s_bfe_i64 s[14:15], s[18:19], 0x200000
	s_branch .LBB255_189
.LBB255_196:
	s_cmp_lt_i32 s48, 5
	s_cbranch_scc1 .LBB255_205
; %bb.197:
	s_add_u32 s8, s54, s52
	s_addc_u32 s9, s55, s53
	s_add_u32 s8, s8, 32
	s_addc_u32 s9, s9, 0
	s_mov_b64 s[10:11], 4
	s_mov_b32 s13, 0
	v_mov_b32_e32 v4, 0
	s_branch .LBB255_199
.LBB255_198:                            ;   in Loop: Header=BB255_199 Depth=1
	s_lshl_b64 s[14:15], s[14:15], 3
	s_add_u32 s14, s36, s14
	s_addc_u32 s15, s37, s15
	s_add_u32 s10, s10, 1
	s_addc_u32 s11, s11, 0
	;; [unrolled: 2-line block ×3, first 2 shown]
	s_cmp_lg_u32 s10, s48
	global_store_dwordx2 v4, v[0:1], s[14:15]
	s_cbranch_scc0 .LBB255_205
.LBB255_199:                            ; =>This Loop Header: Depth=1
                                        ;     Child Loop BB255_201 Depth 2
	s_mov_b32 s12, s10
	s_lshl_b64 s[14:15], s[12:13], 3
	s_add_u32 s14, s36, s14
	s_addc_u32 s15, s37, s15
	global_load_dwordx2 v[0:1], v4, s[14:15]
	s_mov_b64 s[16:17], s[8:9]
	s_mov_b64 s[14:15], s[10:11]
	s_branch .LBB255_201
.LBB255_200:                            ;   in Loop: Header=BB255_201 Depth=2
	s_add_u32 s20, s14, -4
	s_addc_u32 s21, s15, -1
	s_cmp_lt_i32 s14, 8
	global_store_dwordx2 v4, v[2:3], s[16:17]
	s_mov_b64 s[18:19], 0
	s_cselect_b64 s[24:25], -1, 0
	s_mov_b64 s[14:15], s[20:21]
	s_mov_b64 s[16:17], s[22:23]
	s_andn2_b64 vcc, exec, s[24:25]
	s_cbranch_vccz .LBB255_203
.LBB255_201:                            ;   Parent Loop BB255_199 Depth=1
                                        ; =>  This Inner Loop Header: Depth=2
	global_load_dwordx2 v[2:3], v4, s[16:17] offset:-32
	s_add_u32 s22, s16, 0xffffffe0
	s_addc_u32 s23, s17, -1
	s_mov_b64 s[18:19], -1
	s_waitcnt vmcnt(0)
	v_cmp_nlt_f64_e32 vcc, v[2:3], v[0:1]
	s_cbranch_vccz .LBB255_200
; %bb.202:                              ;   in Loop: Header=BB255_199 Depth=1
                                        ; implicit-def: $sgpr16_sgpr17
                                        ; implicit-def: $sgpr20_sgpr21
.LBB255_203:                            ;   in Loop: Header=BB255_199 Depth=1
	s_andn2_b64 vcc, exec, s[18:19]
	s_cbranch_vccz .LBB255_198
; %bb.204:                              ;   in Loop: Header=BB255_199 Depth=1
	s_bfe_i64 s[14:15], s[20:21], 0x200000
	s_branch .LBB255_198
.LBB255_205:
	s_cmp_lt_i32 s48, 2
	s_cbranch_scc1 .LBB255_212
; %bb.206:
	s_add_u32 s8, s54, s52
	s_addc_u32 s9, s55, s53
	s_add_u32 s8, s8, 8
	s_addc_u32 s9, s9, 0
	s_mov_b64 s[10:11], 1
	s_mov_b32 s13, 0
	v_mov_b32_e32 v4, 0
	s_branch .LBB255_208
.LBB255_207:                            ;   in Loop: Header=BB255_208 Depth=1
	s_lshl_b64 s[14:15], s[18:19], 3
	s_add_u32 s14, s36, s14
	s_addc_u32 s15, s37, s15
	s_add_u32 s10, s10, 1
	s_addc_u32 s11, s11, 0
	s_add_u32 s8, s8, 8
	s_addc_u32 s9, s9, 0
	s_cmp_eq_u32 s10, s48
	global_store_dwordx2 v4, v[0:1], s[14:15]
	s_cbranch_scc1 .LBB255_212
.LBB255_208:                            ; =>This Loop Header: Depth=1
                                        ;     Child Loop BB255_210 Depth 2
	s_mov_b32 s12, s10
	s_lshl_b64 s[14:15], s[12:13], 3
	s_add_u32 s14, s36, s14
	s_addc_u32 s15, s37, s15
	global_load_dwordx2 v[0:1], v4, s[14:15]
	s_mov_b64 s[16:17], s[8:9]
	s_mov_b64 s[14:15], s[10:11]
	s_branch .LBB255_210
.LBB255_209:                            ;   in Loop: Header=BB255_210 Depth=2
	global_store_dwordx2 v4, v[2:3], s[16:17]
	s_add_u32 s16, s14, -1
	s_addc_u32 s17, s15, -1
	s_cmp_lt_i32 s14, 2
	s_mov_b64 s[18:19], 0
	s_cselect_b64 s[20:21], -1, 0
	s_mov_b64 s[14:15], s[16:17]
	s_mov_b64 s[16:17], s[22:23]
	s_andn2_b64 vcc, exec, s[20:21]
	s_cbranch_vccz .LBB255_207
.LBB255_210:                            ;   Parent Loop BB255_208 Depth=1
                                        ; =>  This Inner Loop Header: Depth=2
	global_load_dwordx2 v[2:3], v4, s[16:17] offset:-8
	s_add_u32 s22, s16, -8
	s_addc_u32 s23, s17, -1
	s_mov_b64 s[20:21], -1
	s_waitcnt vmcnt(0)
	v_cmp_nlt_f64_e32 vcc, v[2:3], v[0:1]
	s_cbranch_vccz .LBB255_209
; %bb.211:                              ;   in Loop: Header=BB255_210 Depth=2
                                        ; implicit-def: $sgpr16_sgpr17
	s_mov_b64 s[18:19], s[14:15]
	s_andn2_b64 vcc, exec, s[20:21]
	s_cbranch_vccnz .LBB255_210
	s_branch .LBB255_207
.LBB255_212:
	s_or_b64 exec, exec, s[4:5]
	s_cmp_lt_i32 s48, 2
	s_cselect_b64 s[10:11], -1, 0
	s_mov_b64 s[58:59], 0
	s_and_b64 vcc, exec, s[10:11]
	s_barrier
	s_cbranch_vccnz .LBB255_220
; %bb.213:
	s_add_i32 s20, s48, -1
	v_cmp_gt_u32_e32 vcc, s20, v41
	s_mov_b64 s[10:11], -1
	s_mov_b64 s[4:5], 0
	s_and_saveexec_b64 s[8:9], vcc
	s_cbranch_execz .LBB255_222
; %bb.214:
	s_add_u32 s21, s36, 8
	s_addc_u32 s22, s37, 0
	s_mov_b64 s[10:11], 0
	v_mov_b32_e32 v1, 0
	v_mov_b32_e32 v4, s37
	;; [unrolled: 1-line block ×3, first 2 shown]
                                        ; implicit-def: $sgpr12_sgpr13
	s_branch .LBB255_216
.LBB255_215:                            ;   in Loop: Header=BB255_216 Depth=1
	s_or_b64 exec, exec, s[18:19]
	s_xor_b64 s[14:15], s[14:15], -1
	s_and_b64 s[4:5], exec, s[4:5]
	s_or_b64 s[10:11], s[4:5], s[10:11]
	s_andn2_b64 s[4:5], s[12:13], exec
	s_and_b64 s[12:13], s[14:15], exec
	s_or_b64 s[12:13], s[4:5], s[12:13]
	s_andn2_b64 exec, exec, s[10:11]
	s_cbranch_execz .LBB255_221
.LBB255_216:                            ; =>This Inner Loop Header: Depth=1
	v_lshlrev_b64 v[2:3], 3, v[0:1]
	v_add_co_u32_e32 v2, vcc, s36, v2
	v_addc_co_u32_e32 v3, vcc, v4, v3, vcc
	global_load_dwordx2 v[2:3], v[2:3], off
                                        ; implicit-def: $sgpr14_sgpr15
	s_waitcnt vmcnt(0)
	v_cmp_u_f64_e64 s[16:17], v[2:3], v[2:3]
	v_cmp_o_f64_e32 vcc, v[2:3], v[2:3]
	s_and_saveexec_b64 s[18:19], vcc
	s_cbranch_execz .LBB255_218
; %bb.217:                              ;   in Loop: Header=BB255_216 Depth=1
	v_ashrrev_i32_e32 v7, 31, v0
	v_mov_b32_e32 v6, v0
	v_lshlrev_b64 v[6:7], 3, v[6:7]
	v_mov_b32_e32 v5, s22
	v_add_co_u32_e32 v6, vcc, s21, v6
	v_addc_co_u32_e32 v7, vcc, v5, v7, vcc
	global_load_dwordx2 v[6:7], v[6:7], off
	s_andn2_b64 s[16:17], s[16:17], exec
	s_mov_b64 s[14:15], -1
	s_waitcnt vmcnt(0)
	v_cmp_u_f64_e32 vcc, v[6:7], v[6:7]
	v_cmp_ge_f64_e64 s[4:5], v[2:3], v[6:7]
	s_or_b64 s[4:5], vcc, s[4:5]
	s_and_b64 s[4:5], s[4:5], exec
	s_or_b64 s[16:17], s[16:17], s[4:5]
.LBB255_218:                            ;   in Loop: Header=BB255_216 Depth=1
	s_or_b64 exec, exec, s[18:19]
	s_mov_b64 s[4:5], -1
	s_and_saveexec_b64 s[18:19], s[16:17]
	s_cbranch_execz .LBB255_215
; %bb.219:                              ;   in Loop: Header=BB255_216 Depth=1
	v_add_u32_e32 v0, s60, v0
	v_cmp_le_u32_e32 vcc, s20, v0
	s_andn2_b64 s[14:15], s[14:15], exec
	s_orn2_b64 s[4:5], vcc, exec
	s_branch .LBB255_215
.LBB255_220:
	s_mov_b64 s[4:5], 0
	s_branch .LBB255_223
.LBB255_221:
	s_or_b64 exec, exec, s[10:11]
	s_mov_b64 s[4:5], exec
	s_orn2_b64 s[10:11], s[12:13], exec
.LBB255_222:
	s_or_b64 exec, exec, s[8:9]
.LBB255_223:
	s_and_saveexec_b64 s[8:9], s[10:11]
	s_cbranch_execz .LBB255_225
; %bb.224:
	s_mov_b64 s[58:59], exec
	s_barrier
	s_andn2_b64 s[4:5], s[4:5], exec
.LBB255_225:
	s_or_b64 exec, exec, s[8:9]
	s_and_saveexec_b64 s[40:41], s[4:5]
	s_cbranch_execz .LBB255_227
; %bb.226:
	s_add_u32 s8, s6, 0x90
	s_addc_u32 s9, s7, 0
	s_getpc_b64 s[4:5]
	s_add_u32 s4, s4, __PRETTY_FUNCTION__._ZN9rocsolver6v33100L21shell_sort_descendingIdiEEvT0_PT_PS2_@rel32@lo+4
	s_addc_u32 s5, s5, __PRETTY_FUNCTION__._ZN9rocsolver6v33100L21shell_sort_descendingIdiEEvT0_PT_PS2_@rel32@hi+12
	v_mov_b32_e32 v0, s4
	v_mov_b32_e32 v1, s5
	s_getpc_b64 s[6:7]
	s_add_u32 s6, s6, __assert_fail@rel32@lo+4
	s_addc_u32 s7, s7, __assert_fail@rel32@hi+12
	s_swappc_b64 s[30:31], s[6:7]
	s_or_b64 s[62:63], s[62:63], exec
.LBB255_227:
	s_or_b64 exec, exec, s[40:41]
.LBB255_228:
	s_and_saveexec_b64 s[4:5], s[62:63]
; %bb.229:
	; divergent unreachable
; %bb.230:
	s_or_b64 exec, exec, s[4:5]
	s_and_saveexec_b64 s[4:5], s[58:59]
	s_cbranch_execz .LBB255_232
; %bb.231:
	s_barrier
.LBB255_232:
	s_or_b64 exec, exec, s[4:5]
	s_cbranch_execnz .LBB255_256
.LBB255_233:
	s_cmp_lt_i32 s48, 2
	s_cbranch_scc1 .LBB255_256
; %bb.234:
	s_cmp_lg_u32 s49, 0
	s_cselect_b64 s[12:13], -1, 0
	s_cmp_lg_u32 s50, 0
	s_cselect_b64 s[14:15], -1, 0
	s_cmp_lg_u32 s51, 0
	s_cselect_b64 s[16:17], -1, 0
	s_add_i32 s33, s48, -2
	s_add_u32 s18, s54, s52
	v_cndmask_b32_e64 v0, 0, 1, s[12:13]
	s_addc_u32 s21, s55, s53
	v_cmp_ne_u32_e64 s[12:13], 1, v0
	v_cndmask_b32_e64 v0, 0, 1, s[14:15]
	s_add_u32 s20, s18, 8
	v_cmp_ne_u32_e64 s[14:15], 1, v0
	v_cndmask_b32_e64 v0, 0, 1, s[16:17]
	s_mov_b32 s19, 0
	v_cmp_eq_u32_e64 s[4:5], 0, v41
	v_cmp_gt_i32_e64 s[6:7], s49, v41
	v_cmp_gt_i32_e64 s[8:9], s50, v41
	;; [unrolled: 1-line block ×3, first 2 shown]
	s_addc_u32 s21, s21, 0
	v_mul_lo_u32 v2, s47, v41
	s_mul_i32 s40, s47, s42
	v_mul_lo_u32 v3, s61, v41
	s_mul_i32 s41, s61, s42
	v_mov_b32_e32 v4, 0
	v_cmp_ne_u32_e64 s[16:17], 1, v0
	s_mov_b32 s47, 0
	s_mov_b32 s52, 0
	s_branch .LBB255_237
.LBB255_235:                            ;   in Loop: Header=BB255_237 Depth=1
	s_or_b64 exec, exec, s[24:25]
	s_waitcnt lgkmcnt(0)
	s_barrier
.LBB255_236:                            ;   in Loop: Header=BB255_237 Depth=1
	s_add_u32 s20, s20, 8
	s_addc_u32 s21, s21, 0
	s_add_i32 s47, s47, s43
	s_cmp_eq_u32 s18, s33
	s_cbranch_scc1 .LBB255_256
.LBB255_237:                            ; =>This Loop Header: Depth=1
                                        ;     Child Loop BB255_238 Depth 2
                                        ;     Child Loop BB255_245 Depth 2
	;; [unrolled: 1-line block ×4, first 2 shown]
	s_mov_b32 s18, s52
	s_lshl_b64 s[22:23], s[18:19], 3
	s_add_u32 s24, s36, s22
	s_addc_u32 s25, s37, s23
	global_load_dwordx2 v[0:1], v4, s[24:25]
	s_add_i32 s52, s52, 1
	s_mov_b64 s[30:31], s[20:21]
	s_mov_b32 s23, s52
	s_mov_b32 s22, s18
.LBB255_238:                            ;   Parent Loop BB255_237 Depth=1
                                        ; =>  This Inner Loop Header: Depth=2
	global_load_dwordx2 v[6:7], v4, s[30:31]
	s_waitcnt vmcnt(0)
	v_cmp_gt_f64_e32 vcc, v[6:7], v[0:1]
	s_and_b64 s[54:55], vcc, exec
	s_cselect_b32 s22, s23, s22
	s_add_i32 s23, s23, 1
	s_add_u32 s30, s30, 8
	s_addc_u32 s31, s31, 0
	v_cndmask_b32_e32 v1, v1, v7, vcc
	s_cmp_lt_i32 s23, s48
	v_cndmask_b32_e32 v0, v0, v6, vcc
	s_cbranch_scc1 .LBB255_238
; %bb.239:                              ;   in Loop: Header=BB255_237 Depth=1
	s_cmp_eq_u32 s22, s18
	s_barrier
	s_cbranch_scc1 .LBB255_236
; %bb.240:                              ;   in Loop: Header=BB255_237 Depth=1
	s_and_saveexec_b64 s[30:31], s[4:5]
	s_cbranch_execz .LBB255_242
; %bb.241:                              ;   in Loop: Header=BB255_237 Depth=1
	global_load_dwordx2 v[6:7], v4, s[24:25]
	s_ashr_i32 s23, s22, 31
	s_lshl_b64 s[54:55], s[22:23], 3
	s_add_u32 s54, s36, s54
	s_addc_u32 s55, s37, s55
	s_waitcnt vmcnt(0)
	global_store_dwordx2 v4, v[6:7], s[54:55]
	global_store_dwordx2 v4, v[0:1], s[24:25]
.LBB255_242:                            ;   in Loop: Header=BB255_237 Depth=1
	s_or_b64 exec, exec, s[30:31]
	s_and_b64 vcc, exec, s[12:13]
	s_cbranch_vccnz .LBB255_247
; %bb.243:                              ;   in Loop: Header=BB255_237 Depth=1
	s_and_saveexec_b64 s[24:25], s[6:7]
	s_cbranch_execz .LBB255_246
; %bb.244:                              ;   in Loop: Header=BB255_237 Depth=1
	s_mov_b64 s[30:31], 0
	v_mov_b32_e32 v0, v2
	v_mov_b32_e32 v1, v41
.LBB255_245:                            ;   Parent Loop BB255_237 Depth=1
                                        ; =>  This Inner Loop Header: Depth=2
	v_add_u32_e32 v6, s22, v0
	v_ashrrev_i32_e32 v7, 31, v6
	v_add_u32_e32 v8, s18, v0
	v_lshlrev_b64 v[6:7], 4, v[6:7]
	v_mov_b32_e32 v5, s35
	v_ashrrev_i32_e32 v9, 31, v8
	v_add_co_u32_e32 v14, vcc, s34, v6
	v_lshlrev_b64 v[8:9], 4, v[8:9]
	v_addc_co_u32_e32 v15, vcc, v5, v7, vcc
	v_add_co_u32_e32 v16, vcc, s34, v8
	v_addc_co_u32_e32 v17, vcc, v5, v9, vcc
	flat_load_dwordx4 v[6:9], v[16:17]
	flat_load_dwordx4 v[10:13], v[14:15]
	v_add_u32_e32 v1, s42, v1
	v_cmp_le_i32_e32 vcc, s49, v1
	v_add_u32_e32 v0, s40, v0
	s_or_b64 s[30:31], vcc, s[30:31]
	s_waitcnt vmcnt(0) lgkmcnt(0)
	flat_store_dwordx4 v[14:15], v[6:9]
	flat_store_dwordx4 v[16:17], v[10:13]
	s_andn2_b64 exec, exec, s[30:31]
	s_cbranch_execnz .LBB255_245
.LBB255_246:                            ;   in Loop: Header=BB255_237 Depth=1
	s_or_b64 exec, exec, s[24:25]
	s_waitcnt lgkmcnt(0)
	s_barrier
.LBB255_247:                            ;   in Loop: Header=BB255_237 Depth=1
	s_and_b64 vcc, exec, s[14:15]
	s_cbranch_vccnz .LBB255_252
; %bb.248:                              ;   in Loop: Header=BB255_237 Depth=1
	s_and_saveexec_b64 s[24:25], s[8:9]
	s_cbranch_execz .LBB255_251
; %bb.249:                              ;   in Loop: Header=BB255_237 Depth=1
	s_mul_i32 s23, s22, s43
	s_mov_b64 s[30:31], 0
	v_mov_b32_e32 v0, v41
.LBB255_250:                            ;   Parent Loop BB255_237 Depth=1
                                        ; =>  This Inner Loop Header: Depth=2
	v_add_u32_e32 v6, s23, v0
	v_ashrrev_i32_e32 v7, 31, v6
	v_add_u32_e32 v8, s47, v0
	v_lshlrev_b64 v[6:7], 4, v[6:7]
	v_mov_b32_e32 v1, s29
	v_ashrrev_i32_e32 v9, 31, v8
	v_add_co_u32_e32 v14, vcc, s28, v6
	v_lshlrev_b64 v[8:9], 4, v[8:9]
	v_addc_co_u32_e32 v15, vcc, v1, v7, vcc
	v_add_co_u32_e32 v16, vcc, s28, v8
	v_addc_co_u32_e32 v17, vcc, v1, v9, vcc
	flat_load_dwordx4 v[6:9], v[16:17]
	flat_load_dwordx4 v[10:13], v[14:15]
	v_add_u32_e32 v0, s42, v0
	v_cmp_le_i32_e32 vcc, s50, v0
	s_or_b64 s[30:31], vcc, s[30:31]
	s_waitcnt vmcnt(0) lgkmcnt(0)
	flat_store_dwordx4 v[14:15], v[6:9]
	flat_store_dwordx4 v[16:17], v[10:13]
	s_andn2_b64 exec, exec, s[30:31]
	s_cbranch_execnz .LBB255_250
.LBB255_251:                            ;   in Loop: Header=BB255_237 Depth=1
	s_or_b64 exec, exec, s[24:25]
	s_waitcnt lgkmcnt(0)
	s_barrier
.LBB255_252:                            ;   in Loop: Header=BB255_237 Depth=1
	s_and_b64 vcc, exec, s[16:17]
	s_cbranch_vccnz .LBB255_236
; %bb.253:                              ;   in Loop: Header=BB255_237 Depth=1
	s_and_saveexec_b64 s[24:25], s[10:11]
	s_cbranch_execz .LBB255_235
; %bb.254:                              ;   in Loop: Header=BB255_237 Depth=1
	s_mov_b64 s[30:31], 0
	v_mov_b32_e32 v0, v3
	v_mov_b32_e32 v1, v41
.LBB255_255:                            ;   Parent Loop BB255_237 Depth=1
                                        ; =>  This Inner Loop Header: Depth=2
	v_add_u32_e32 v6, s22, v0
	v_ashrrev_i32_e32 v7, 31, v6
	v_add_u32_e32 v8, s18, v0
	v_lshlrev_b64 v[6:7], 4, v[6:7]
	v_mov_b32_e32 v5, s45
	v_ashrrev_i32_e32 v9, 31, v8
	v_add_co_u32_e32 v14, vcc, s44, v6
	v_lshlrev_b64 v[8:9], 4, v[8:9]
	v_addc_co_u32_e32 v15, vcc, v5, v7, vcc
	v_add_co_u32_e32 v16, vcc, s44, v8
	v_addc_co_u32_e32 v17, vcc, v5, v9, vcc
	flat_load_dwordx4 v[6:9], v[16:17]
	flat_load_dwordx4 v[10:13], v[14:15]
	v_add_u32_e32 v1, s42, v1
	v_cmp_le_i32_e32 vcc, s51, v1
	v_add_u32_e32 v0, s41, v0
	s_or_b64 s[30:31], vcc, s[30:31]
	s_waitcnt vmcnt(0) lgkmcnt(0)
	flat_store_dwordx4 v[14:15], v[6:9]
	flat_store_dwordx4 v[16:17], v[10:13]
	s_andn2_b64 exec, exec, s[30:31]
	s_cbranch_execnz .LBB255_255
	s_branch .LBB255_235
.LBB255_256:
	s_mov_b64 s[8:9], 0
.LBB255_257:
	s_andn2_b64 vcc, exec, s[8:9]
	s_cbranch_vccnz .LBB255_260
; %bb.258:
	v_cmp_eq_u32_e32 vcc, 0, v41
	s_and_saveexec_b64 s[4:5], vcc
	s_cbranch_execz .LBB255_260
; %bb.259:
	s_add_u32 s4, s38, s26
	s_addc_u32 s5, s39, s27
	v_mov_b32_e32 v0, 0
	v_mov_b32_e32 v1, s46
	global_store_dword v0, v1, s[4:5]
.LBB255_260:
	s_endpgm
	.section	.rodata,"a",@progbits
	.p2align	6, 0x0
	.amdhsa_kernel _ZN9rocsolver6v33100L14bdsqr_finalizeI19rocblas_complex_numIdEdPS3_S4_S4_EEviiiiPT0_lS6_lT1_iilT2_iilT3_iilPiSA_SA_
		.amdhsa_group_segment_fixed_size 32768
		.amdhsa_private_segment_fixed_size 144
		.amdhsa_kernarg_size 400
		.amdhsa_user_sgpr_count 10
		.amdhsa_user_sgpr_private_segment_buffer 1
		.amdhsa_user_sgpr_dispatch_ptr 1
		.amdhsa_user_sgpr_queue_ptr 0
		.amdhsa_user_sgpr_kernarg_segment_ptr 1
		.amdhsa_user_sgpr_dispatch_id 0
		.amdhsa_user_sgpr_flat_scratch_init 1
		.amdhsa_user_sgpr_kernarg_preload_length 0
		.amdhsa_user_sgpr_kernarg_preload_offset 0
		.amdhsa_user_sgpr_private_segment_size 0
		.amdhsa_uses_dynamic_stack 0
		.amdhsa_system_sgpr_private_segment_wavefront_offset 1
		.amdhsa_system_sgpr_workgroup_id_x 1
		.amdhsa_system_sgpr_workgroup_id_y 1
		.amdhsa_system_sgpr_workgroup_id_z 0
		.amdhsa_system_sgpr_workgroup_info 0
		.amdhsa_system_vgpr_workitem_id 2
		.amdhsa_next_free_vgpr 45
		.amdhsa_next_free_sgpr 78
		.amdhsa_accum_offset 48
		.amdhsa_reserve_vcc 1
		.amdhsa_reserve_flat_scratch 1
		.amdhsa_float_round_mode_32 0
		.amdhsa_float_round_mode_16_64 0
		.amdhsa_float_denorm_mode_32 3
		.amdhsa_float_denorm_mode_16_64 3
		.amdhsa_dx10_clamp 1
		.amdhsa_ieee_mode 1
		.amdhsa_fp16_overflow 0
		.amdhsa_tg_split 0
		.amdhsa_exception_fp_ieee_invalid_op 0
		.amdhsa_exception_fp_denorm_src 0
		.amdhsa_exception_fp_ieee_div_zero 0
		.amdhsa_exception_fp_ieee_overflow 0
		.amdhsa_exception_fp_ieee_underflow 0
		.amdhsa_exception_fp_ieee_inexact 0
		.amdhsa_exception_int_div_zero 0
	.end_amdhsa_kernel
	.section	.text._ZN9rocsolver6v33100L14bdsqr_finalizeI19rocblas_complex_numIdEdPS3_S4_S4_EEviiiiPT0_lS6_lT1_iilT2_iilT3_iilPiSA_SA_,"axG",@progbits,_ZN9rocsolver6v33100L14bdsqr_finalizeI19rocblas_complex_numIdEdPS3_S4_S4_EEviiiiPT0_lS6_lT1_iilT2_iilT3_iilPiSA_SA_,comdat
.Lfunc_end255:
	.size	_ZN9rocsolver6v33100L14bdsqr_finalizeI19rocblas_complex_numIdEdPS3_S4_S4_EEviiiiPT0_lS6_lT1_iilT2_iilT3_iilPiSA_SA_, .Lfunc_end255-_ZN9rocsolver6v33100L14bdsqr_finalizeI19rocblas_complex_numIdEdPS3_S4_S4_EEviiiiPT0_lS6_lT1_iilT2_iilT3_iilPiSA_SA_
                                        ; -- End function
	.section	.AMDGPU.csdata,"",@progbits
; Kernel info:
; codeLenInByte = 7924
; NumSgprs: 84
; NumVgprs: 45
; NumAgprs: 0
; TotalNumVgprs: 45
; ScratchSize: 144
; MemoryBound: 0
; FloatMode: 240
; IeeeMode: 1
; LDSByteSize: 32768 bytes/workgroup (compile time only)
; SGPRBlocks: 10
; VGPRBlocks: 5
; NumSGPRsForWavesPerEU: 84
; NumVGPRsForWavesPerEU: 45
; AccumOffset: 48
; Occupancy: 8
; WaveLimiterHint : 1
; COMPUTE_PGM_RSRC2:SCRATCH_EN: 1
; COMPUTE_PGM_RSRC2:USER_SGPR: 10
; COMPUTE_PGM_RSRC2:TRAP_HANDLER: 0
; COMPUTE_PGM_RSRC2:TGID_X_EN: 1
; COMPUTE_PGM_RSRC2:TGID_Y_EN: 1
; COMPUTE_PGM_RSRC2:TGID_Z_EN: 0
; COMPUTE_PGM_RSRC2:TIDIG_COMP_CNT: 2
; COMPUTE_PGM_RSRC3_GFX90A:ACCUM_OFFSET: 11
; COMPUTE_PGM_RSRC3_GFX90A:TG_SPLIT: 0
	.section	.text._ZN9rocsolver6v33100L8copy_matI19rocblas_complex_numIdEPS3_PKS4_NS0_7no_maskEEEviiT0_iilT1_iilT2_13rocblas_fill_17rocblas_diagonal_,"axG",@progbits,_ZN9rocsolver6v33100L8copy_matI19rocblas_complex_numIdEPS3_PKS4_NS0_7no_maskEEEviiT0_iilT1_iilT2_13rocblas_fill_17rocblas_diagonal_,comdat
	.globl	_ZN9rocsolver6v33100L8copy_matI19rocblas_complex_numIdEPS3_PKS4_NS0_7no_maskEEEviiT0_iilT1_iilT2_13rocblas_fill_17rocblas_diagonal_ ; -- Begin function _ZN9rocsolver6v33100L8copy_matI19rocblas_complex_numIdEPS3_PKS4_NS0_7no_maskEEEviiT0_iilT1_iilT2_13rocblas_fill_17rocblas_diagonal_
	.p2align	8
	.type	_ZN9rocsolver6v33100L8copy_matI19rocblas_complex_numIdEPS3_PKS4_NS0_7no_maskEEEviiT0_iilT1_iilT2_13rocblas_fill_17rocblas_diagonal_,@function
_ZN9rocsolver6v33100L8copy_matI19rocblas_complex_numIdEPS3_PKS4_NS0_7no_maskEEEviiT0_iilT1_iilT2_13rocblas_fill_17rocblas_diagonal_: ; @_ZN9rocsolver6v33100L8copy_matI19rocblas_complex_numIdEPS3_PKS4_NS0_7no_maskEEEviiT0_iilT1_iilT2_13rocblas_fill_17rocblas_diagonal_
; %bb.0:
	s_load_dword s2, s[4:5], 0x54
	s_load_dwordx2 s[0:1], s[4:5], 0x0
	v_bfe_u32 v1, v0, 10, 10
	v_and_b32_e32 v0, 0x3ff, v0
	s_waitcnt lgkmcnt(0)
	s_lshr_b32 s3, s2, 16
	s_and_b32 s2, s2, 0xffff
	s_mul_i32 s7, s7, s3
	s_mul_i32 s6, s6, s2
	v_add_u32_e32 v1, s7, v1
	v_add_u32_e32 v0, s6, v0
	v_cmp_gt_u32_e32 vcc, s0, v0
	v_cmp_gt_u32_e64 s[0:1], s1, v1
	s_and_b64 s[0:1], s[0:1], vcc
	s_and_saveexec_b64 s[2:3], s[0:1]
	s_cbranch_execz .LBB256_14
; %bb.1:
	s_load_dwordx2 s[2:3], s[4:5], 0x3c
	s_waitcnt lgkmcnt(0)
	s_cmpk_lt_i32 s2, 0x7a
	s_cbranch_scc1 .LBB256_4
; %bb.2:
	s_cmpk_gt_i32 s2, 0x7a
	s_cbranch_scc0 .LBB256_5
; %bb.3:
	s_cmpk_lg_i32 s2, 0x7b
	s_mov_b64 s[6:7], -1
	s_cselect_b64 s[10:11], -1, 0
	s_cbranch_execz .LBB256_6
	s_branch .LBB256_7
.LBB256_4:
	s_mov_b64 s[10:11], 0
	s_mov_b64 s[6:7], 0
	s_cbranch_execnz .LBB256_8
	s_branch .LBB256_10
.LBB256_5:
	s_mov_b64 s[6:7], 0
	s_mov_b64 s[10:11], 0
.LBB256_6:
	v_cmp_gt_u32_e32 vcc, v0, v1
	v_cmp_le_u32_e64 s[0:1], v0, v1
	s_andn2_b64 s[6:7], s[6:7], exec
	s_and_b64 s[12:13], vcc, exec
	s_andn2_b64 s[10:11], s[10:11], exec
	s_and_b64 s[0:1], s[0:1], exec
	s_or_b64 s[6:7], s[6:7], s[12:13]
	s_or_b64 s[10:11], s[10:11], s[0:1]
.LBB256_7:
	s_branch .LBB256_10
.LBB256_8:
	s_cmpk_eq_i32 s2, 0x79
	s_mov_b64 s[10:11], -1
	s_cbranch_scc0 .LBB256_10
; %bb.9:
	v_cmp_gt_u32_e32 vcc, v1, v0
	v_cmp_le_u32_e64 s[0:1], v1, v0
	s_andn2_b64 s[6:7], s[6:7], exec
	s_and_b64 s[10:11], vcc, exec
	s_or_b64 s[6:7], s[6:7], s[10:11]
	s_orn2_b64 s[10:11], s[0:1], exec
.LBB256_10:
	s_and_saveexec_b64 s[0:1], s[10:11]
; %bb.11:
	s_cmpk_eq_i32 s3, 0x83
	s_cselect_b64 s[2:3], -1, 0
	v_cmp_eq_u32_e32 vcc, v0, v1
	s_and_b64 s[2:3], s[2:3], vcc
	s_andn2_b64 s[6:7], s[6:7], exec
	s_and_b64 s[2:3], s[2:3], exec
	s_or_b64 s[6:7], s[6:7], s[2:3]
; %bb.12:
	s_or_b64 exec, exec, s[0:1]
	s_and_b64 exec, exec, s[6:7]
	s_cbranch_execz .LBB256_14
; %bb.13:
	s_load_dwordx8 s[12:19], s[4:5], 0x8
	s_mov_b32 s9, 0
	s_waitcnt lgkmcnt(0)
	s_mul_i32 s3, s8, s17
	s_mul_hi_u32 s6, s8, s16
	s_mul_i32 s2, s8, s16
	s_add_i32 s3, s6, s3
	s_ashr_i32 s1, s14, 31
	s_lshl_b64 s[2:3], s[2:3], 4
	s_mov_b32 s0, s14
	s_add_u32 s2, s12, s2
	s_addc_u32 s3, s13, s3
	s_lshl_b64 s[0:1], s[0:1], 4
	s_add_u32 s2, s2, s0
	s_addc_u32 s3, s3, s1
	v_mad_u64_u32 v[6:7], s[0:1], v1, s15, v[0:1]
	v_mov_b32_e32 v7, 0
	v_lshlrev_b64 v[2:3], 4, v[6:7]
	v_mov_b32_e32 v4, s3
	v_add_co_u32_e32 v2, vcc, s2, v2
	v_addc_co_u32_e32 v3, vcc, v4, v3, vcc
	global_load_dwordx4 v[2:5], v[2:3], off
	s_load_dwordx2 s[0:1], s[4:5], 0x28
	s_lshl_b64 s[4:5], s[8:9], 3
	s_waitcnt lgkmcnt(0)
	s_ashr_i32 s3, s0, 31
	s_add_u32 s4, s18, s4
	s_addc_u32 s5, s19, s5
	s_load_dwordx2 s[4:5], s[4:5], 0x0
	s_mov_b32 s2, s0
	s_lshl_b64 s[2:3], s[2:3], 4
	v_mad_u64_u32 v[0:1], s[0:1], v1, s1, v[0:1]
	s_waitcnt lgkmcnt(0)
	s_add_u32 s2, s4, s2
	v_mov_b32_e32 v1, v7
	s_addc_u32 s3, s5, s3
	v_lshlrev_b64 v[0:1], 4, v[0:1]
	v_mov_b32_e32 v6, s3
	v_add_co_u32_e32 v0, vcc, s2, v0
	v_addc_co_u32_e32 v1, vcc, v6, v1, vcc
	s_waitcnt vmcnt(0)
	global_store_dwordx4 v[0:1], v[2:5], off
.LBB256_14:
	s_endpgm
	.section	.rodata,"a",@progbits
	.p2align	6, 0x0
	.amdhsa_kernel _ZN9rocsolver6v33100L8copy_matI19rocblas_complex_numIdEPS3_PKS4_NS0_7no_maskEEEviiT0_iilT1_iilT2_13rocblas_fill_17rocblas_diagonal_
		.amdhsa_group_segment_fixed_size 0
		.amdhsa_private_segment_fixed_size 0
		.amdhsa_kernarg_size 328
		.amdhsa_user_sgpr_count 6
		.amdhsa_user_sgpr_private_segment_buffer 1
		.amdhsa_user_sgpr_dispatch_ptr 0
		.amdhsa_user_sgpr_queue_ptr 0
		.amdhsa_user_sgpr_kernarg_segment_ptr 1
		.amdhsa_user_sgpr_dispatch_id 0
		.amdhsa_user_sgpr_flat_scratch_init 0
		.amdhsa_user_sgpr_kernarg_preload_length 0
		.amdhsa_user_sgpr_kernarg_preload_offset 0
		.amdhsa_user_sgpr_private_segment_size 0
		.amdhsa_uses_dynamic_stack 0
		.amdhsa_system_sgpr_private_segment_wavefront_offset 0
		.amdhsa_system_sgpr_workgroup_id_x 1
		.amdhsa_system_sgpr_workgroup_id_y 1
		.amdhsa_system_sgpr_workgroup_id_z 1
		.amdhsa_system_sgpr_workgroup_info 0
		.amdhsa_system_vgpr_workitem_id 1
		.amdhsa_next_free_vgpr 8
		.amdhsa_next_free_sgpr 20
		.amdhsa_accum_offset 8
		.amdhsa_reserve_vcc 1
		.amdhsa_reserve_flat_scratch 0
		.amdhsa_float_round_mode_32 0
		.amdhsa_float_round_mode_16_64 0
		.amdhsa_float_denorm_mode_32 3
		.amdhsa_float_denorm_mode_16_64 3
		.amdhsa_dx10_clamp 1
		.amdhsa_ieee_mode 1
		.amdhsa_fp16_overflow 0
		.amdhsa_tg_split 0
		.amdhsa_exception_fp_ieee_invalid_op 0
		.amdhsa_exception_fp_denorm_src 0
		.amdhsa_exception_fp_ieee_div_zero 0
		.amdhsa_exception_fp_ieee_overflow 0
		.amdhsa_exception_fp_ieee_underflow 0
		.amdhsa_exception_fp_ieee_inexact 0
		.amdhsa_exception_int_div_zero 0
	.end_amdhsa_kernel
	.section	.text._ZN9rocsolver6v33100L8copy_matI19rocblas_complex_numIdEPS3_PKS4_NS0_7no_maskEEEviiT0_iilT1_iilT2_13rocblas_fill_17rocblas_diagonal_,"axG",@progbits,_ZN9rocsolver6v33100L8copy_matI19rocblas_complex_numIdEPS3_PKS4_NS0_7no_maskEEEviiT0_iilT1_iilT2_13rocblas_fill_17rocblas_diagonal_,comdat
.Lfunc_end256:
	.size	_ZN9rocsolver6v33100L8copy_matI19rocblas_complex_numIdEPS3_PKS4_NS0_7no_maskEEEviiT0_iilT1_iilT2_13rocblas_fill_17rocblas_diagonal_, .Lfunc_end256-_ZN9rocsolver6v33100L8copy_matI19rocblas_complex_numIdEPS3_PKS4_NS0_7no_maskEEEviiT0_iilT1_iilT2_13rocblas_fill_17rocblas_diagonal_
                                        ; -- End function
	.section	.AMDGPU.csdata,"",@progbits
; Kernel info:
; codeLenInByte = 492
; NumSgprs: 24
; NumVgprs: 8
; NumAgprs: 0
; TotalNumVgprs: 8
; ScratchSize: 0
; MemoryBound: 0
; FloatMode: 240
; IeeeMode: 1
; LDSByteSize: 0 bytes/workgroup (compile time only)
; SGPRBlocks: 2
; VGPRBlocks: 0
; NumSGPRsForWavesPerEU: 24
; NumVGPRsForWavesPerEU: 8
; AccumOffset: 8
; Occupancy: 8
; WaveLimiterHint : 1
; COMPUTE_PGM_RSRC2:SCRATCH_EN: 0
; COMPUTE_PGM_RSRC2:USER_SGPR: 6
; COMPUTE_PGM_RSRC2:TRAP_HANDLER: 0
; COMPUTE_PGM_RSRC2:TGID_X_EN: 1
; COMPUTE_PGM_RSRC2:TGID_Y_EN: 1
; COMPUTE_PGM_RSRC2:TGID_Z_EN: 1
; COMPUTE_PGM_RSRC2:TIDIG_COMP_CNT: 1
; COMPUTE_PGM_RSRC3_GFX90A:ACCUM_OFFSET: 1
; COMPUTE_PGM_RSRC3_GFX90A:TG_SPLIT: 0
	.section	.text._ZN9rocsolver6v33100L8set_diagI19rocblas_complex_numIdEiS3_PS3_TnNSt9enable_ifIXoont18rocblas_is_complexIT_E18rocblas_is_complexIT1_EEiE4typeELi0EEEvPS7_llT2_lT0_lSC_b,"axG",@progbits,_ZN9rocsolver6v33100L8set_diagI19rocblas_complex_numIdEiS3_PS3_TnNSt9enable_ifIXoont18rocblas_is_complexIT_E18rocblas_is_complexIT1_EEiE4typeELi0EEEvPS7_llT2_lT0_lSC_b,comdat
	.globl	_ZN9rocsolver6v33100L8set_diagI19rocblas_complex_numIdEiS3_PS3_TnNSt9enable_ifIXoont18rocblas_is_complexIT_E18rocblas_is_complexIT1_EEiE4typeELi0EEEvPS7_llT2_lT0_lSC_b ; -- Begin function _ZN9rocsolver6v33100L8set_diagI19rocblas_complex_numIdEiS3_PS3_TnNSt9enable_ifIXoont18rocblas_is_complexIT_E18rocblas_is_complexIT1_EEiE4typeELi0EEEvPS7_llT2_lT0_lSC_b
	.p2align	8
	.type	_ZN9rocsolver6v33100L8set_diagI19rocblas_complex_numIdEiS3_PS3_TnNSt9enable_ifIXoont18rocblas_is_complexIT_E18rocblas_is_complexIT1_EEiE4typeELi0EEEvPS7_llT2_lT0_lSC_b,@function
_ZN9rocsolver6v33100L8set_diagI19rocblas_complex_numIdEiS3_PS3_TnNSt9enable_ifIXoont18rocblas_is_complexIT_E18rocblas_is_complexIT1_EEiE4typeELi0EEEvPS7_llT2_lT0_lSC_b: ; @_ZN9rocsolver6v33100L8set_diagI19rocblas_complex_numIdEiS3_PS3_TnNSt9enable_ifIXoont18rocblas_is_complexIT_E18rocblas_is_complexIT1_EEiE4typeELi0EEEvPS7_llT2_lT0_lSC_b
; %bb.0:
	s_load_dword s2, s[4:5], 0x4c
	s_load_dwordx2 s[0:1], s[4:5], 0x38
	v_bfe_u32 v0, v0, 10, 10
	s_waitcnt lgkmcnt(0)
	s_lshr_b32 s2, s2, 16
	s_mul_i32 s7, s7, s2
	v_add_u32_e32 v0, s7, v0
	v_cmp_gt_i32_e32 vcc, s0, v0
	s_and_saveexec_b64 s[2:3], vcc
	s_cbranch_execz .LBB257_5
; %bb.1:
	s_load_dwordx2 s[2:3], s[4:5], 0x20
	s_load_dword s7, s[4:5], 0x28
	s_load_dwordx2 s[16:17], s[4:5], 0x30
	s_load_dwordx8 s[8:15], s[4:5], 0x0
	s_bitcmp1_b32 s1, 0
	s_cselect_b64 s[0:1], -1, 0
	s_ashr_i32 s18, s6, 31
	s_waitcnt lgkmcnt(0)
	s_mul_i32 s4, s6, s17
	s_mul_hi_u32 s5, s6, s16
	s_add_i32 s4, s5, s4
	s_mul_i32 s5, s18, s16
	s_add_i32 s5, s4, s5
	s_mul_i32 s4, s6, s16
	s_lshl_b64 s[4:5], s[4:5], 4
	s_add_u32 s4, s14, s4
	s_addc_u32 s5, s15, s5
	s_lshl_b64 s[2:3], s[2:3], 4
	s_add_u32 s4, s4, s2
	s_addc_u32 s5, s5, s3
	v_mad_u64_u32 v[2:3], s[2:3], v0, s7, v[0:1]
	v_ashrrev_i32_e32 v3, 31, v2
	v_lshlrev_b64 v[2:3], 4, v[2:3]
	v_mov_b32_e32 v1, s5
	v_add_co_u32_e32 v4, vcc, s4, v2
	v_addc_co_u32_e32 v5, vcc, v1, v3, vcc
	global_load_dwordx4 v[6:9], v[4:5], off
	s_mul_i32 s3, s6, s13
	s_mul_hi_u32 s4, s6, s12
	s_mul_i32 s18, s18, s12
	s_add_i32 s3, s4, s3
	s_mul_i32 s2, s6, s12
	s_add_i32 s3, s3, s18
	s_lshl_b64 s[2:3], s[2:3], 4
	s_add_u32 s4, s8, s2
	s_addc_u32 s5, s9, s3
	s_lshl_b64 s[2:3], s[10:11], 4
	v_ashrrev_i32_e32 v1, 31, v0
	s_add_u32 s2, s4, s2
	v_lshlrev_b64 v[0:1], 4, v[0:1]
	s_addc_u32 s3, s5, s3
	s_and_b64 vcc, exec, s[0:1]
	v_mov_b32_e32 v2, s3
	v_add_co_u32_e64 v0, s[0:1], s2, v0
	v_addc_co_u32_e64 v1, s[0:1], v2, v1, s[0:1]
	s_waitcnt vmcnt(0)
	global_store_dwordx4 v[0:1], v[6:9], off
	s_cbranch_vccnz .LBB257_3
; %bb.2:
	global_load_dwordx4 v[0:3], v[4:5], off
	s_branch .LBB257_4
.LBB257_3:
	v_mov_b32_e32 v0, 0
	v_pk_mov_b32 v[2:3], 0, 0
	v_mov_b32_e32 v1, 0x3ff00000
.LBB257_4:
	s_waitcnt vmcnt(0)
	global_store_dwordx4 v[4:5], v[0:3], off
.LBB257_5:
	s_endpgm
	.section	.rodata,"a",@progbits
	.p2align	6, 0x0
	.amdhsa_kernel _ZN9rocsolver6v33100L8set_diagI19rocblas_complex_numIdEiS3_PS3_TnNSt9enable_ifIXoont18rocblas_is_complexIT_E18rocblas_is_complexIT1_EEiE4typeELi0EEEvPS7_llT2_lT0_lSC_b
		.amdhsa_group_segment_fixed_size 0
		.amdhsa_private_segment_fixed_size 0
		.amdhsa_kernarg_size 320
		.amdhsa_user_sgpr_count 6
		.amdhsa_user_sgpr_private_segment_buffer 1
		.amdhsa_user_sgpr_dispatch_ptr 0
		.amdhsa_user_sgpr_queue_ptr 0
		.amdhsa_user_sgpr_kernarg_segment_ptr 1
		.amdhsa_user_sgpr_dispatch_id 0
		.amdhsa_user_sgpr_flat_scratch_init 0
		.amdhsa_user_sgpr_kernarg_preload_length 0
		.amdhsa_user_sgpr_kernarg_preload_offset 0
		.amdhsa_user_sgpr_private_segment_size 0
		.amdhsa_uses_dynamic_stack 0
		.amdhsa_system_sgpr_private_segment_wavefront_offset 0
		.amdhsa_system_sgpr_workgroup_id_x 1
		.amdhsa_system_sgpr_workgroup_id_y 1
		.amdhsa_system_sgpr_workgroup_id_z 0
		.amdhsa_system_sgpr_workgroup_info 0
		.amdhsa_system_vgpr_workitem_id 1
		.amdhsa_next_free_vgpr 10
		.amdhsa_next_free_sgpr 19
		.amdhsa_accum_offset 12
		.amdhsa_reserve_vcc 1
		.amdhsa_reserve_flat_scratch 0
		.amdhsa_float_round_mode_32 0
		.amdhsa_float_round_mode_16_64 0
		.amdhsa_float_denorm_mode_32 3
		.amdhsa_float_denorm_mode_16_64 3
		.amdhsa_dx10_clamp 1
		.amdhsa_ieee_mode 1
		.amdhsa_fp16_overflow 0
		.amdhsa_tg_split 0
		.amdhsa_exception_fp_ieee_invalid_op 0
		.amdhsa_exception_fp_denorm_src 0
		.amdhsa_exception_fp_ieee_div_zero 0
		.amdhsa_exception_fp_ieee_overflow 0
		.amdhsa_exception_fp_ieee_underflow 0
		.amdhsa_exception_fp_ieee_inexact 0
		.amdhsa_exception_int_div_zero 0
	.end_amdhsa_kernel
	.section	.text._ZN9rocsolver6v33100L8set_diagI19rocblas_complex_numIdEiS3_PS3_TnNSt9enable_ifIXoont18rocblas_is_complexIT_E18rocblas_is_complexIT1_EEiE4typeELi0EEEvPS7_llT2_lT0_lSC_b,"axG",@progbits,_ZN9rocsolver6v33100L8set_diagI19rocblas_complex_numIdEiS3_PS3_TnNSt9enable_ifIXoont18rocblas_is_complexIT_E18rocblas_is_complexIT1_EEiE4typeELi0EEEvPS7_llT2_lT0_lSC_b,comdat
.Lfunc_end257:
	.size	_ZN9rocsolver6v33100L8set_diagI19rocblas_complex_numIdEiS3_PS3_TnNSt9enable_ifIXoont18rocblas_is_complexIT_E18rocblas_is_complexIT1_EEiE4typeELi0EEEvPS7_llT2_lT0_lSC_b, .Lfunc_end257-_ZN9rocsolver6v33100L8set_diagI19rocblas_complex_numIdEiS3_PS3_TnNSt9enable_ifIXoont18rocblas_is_complexIT_E18rocblas_is_complexIT1_EEiE4typeELi0EEEvPS7_llT2_lT0_lSC_b
                                        ; -- End function
	.section	.AMDGPU.csdata,"",@progbits
; Kernel info:
; codeLenInByte = 336
; NumSgprs: 23
; NumVgprs: 10
; NumAgprs: 0
; TotalNumVgprs: 10
; ScratchSize: 0
; MemoryBound: 1
; FloatMode: 240
; IeeeMode: 1
; LDSByteSize: 0 bytes/workgroup (compile time only)
; SGPRBlocks: 2
; VGPRBlocks: 1
; NumSGPRsForWavesPerEU: 23
; NumVGPRsForWavesPerEU: 10
; AccumOffset: 12
; Occupancy: 8
; WaveLimiterHint : 0
; COMPUTE_PGM_RSRC2:SCRATCH_EN: 0
; COMPUTE_PGM_RSRC2:USER_SGPR: 6
; COMPUTE_PGM_RSRC2:TRAP_HANDLER: 0
; COMPUTE_PGM_RSRC2:TGID_X_EN: 1
; COMPUTE_PGM_RSRC2:TGID_Y_EN: 1
; COMPUTE_PGM_RSRC2:TGID_Z_EN: 0
; COMPUTE_PGM_RSRC2:TIDIG_COMP_CNT: 1
; COMPUTE_PGM_RSRC3_GFX90A:ACCUM_OFFSET: 2
; COMPUTE_PGM_RSRC3_GFX90A:TG_SPLIT: 0
	.section	.text._ZN9rocsolver6v33100L12restore_diagI19rocblas_complex_numIdEiS3_PS3_EEvPT1_llT2_lT0_lS8_,"axG",@progbits,_ZN9rocsolver6v33100L12restore_diagI19rocblas_complex_numIdEiS3_PS3_EEvPT1_llT2_lT0_lS8_,comdat
	.globl	_ZN9rocsolver6v33100L12restore_diagI19rocblas_complex_numIdEiS3_PS3_EEvPT1_llT2_lT0_lS8_ ; -- Begin function _ZN9rocsolver6v33100L12restore_diagI19rocblas_complex_numIdEiS3_PS3_EEvPT1_llT2_lT0_lS8_
	.p2align	8
	.type	_ZN9rocsolver6v33100L12restore_diagI19rocblas_complex_numIdEiS3_PS3_EEvPT1_llT2_lT0_lS8_,@function
_ZN9rocsolver6v33100L12restore_diagI19rocblas_complex_numIdEiS3_PS3_EEvPT1_llT2_lT0_lS8_: ; @_ZN9rocsolver6v33100L12restore_diagI19rocblas_complex_numIdEiS3_PS3_EEvPT1_llT2_lT0_lS8_
; %bb.0:
	s_load_dword s0, s[4:5], 0x4c
	s_load_dword s1, s[4:5], 0x38
	v_bfe_u32 v0, v0, 10, 10
	s_waitcnt lgkmcnt(0)
	s_lshr_b32 s0, s0, 16
	s_mul_i32 s7, s7, s0
	v_add_u32_e32 v0, s7, v0
	v_cmp_gt_i32_e32 vcc, s1, v0
	s_and_saveexec_b64 s[0:1], vcc
	s_cbranch_execz .LBB258_2
; %bb.1:
	s_load_dwordx2 s[0:1], s[4:5], 0x30
	s_load_dwordx2 s[2:3], s[4:5], 0x20
	s_load_dword s7, s[4:5], 0x28
	s_load_dwordx8 s[8:15], s[4:5], 0x0
	s_ashr_i32 s4, s6, 31
	s_waitcnt lgkmcnt(0)
	s_mul_i32 s1, s6, s1
	s_mul_hi_u32 s5, s6, s0
	s_add_i32 s1, s5, s1
	s_mul_i32 s5, s4, s0
	s_add_i32 s1, s1, s5
	s_mul_i32 s0, s6, s0
	s_lshl_b64 s[0:1], s[0:1], 4
	s_add_u32 s5, s14, s0
	s_addc_u32 s14, s15, s1
	s_lshl_b64 s[0:1], s[2:3], 4
	s_add_u32 s2, s5, s0
	s_addc_u32 s3, s14, s1
	s_mul_i32 s0, s6, s13
	s_mul_hi_u32 s1, s6, s12
	s_add_i32 s0, s1, s0
	s_mul_i32 s4, s4, s12
	s_add_i32 s1, s0, s4
	s_mul_i32 s0, s6, s12
	s_lshl_b64 s[0:1], s[0:1], 4
	s_add_u32 s4, s8, s0
	s_addc_u32 s5, s9, s1
	s_lshl_b64 s[0:1], s[10:11], 4
	s_add_u32 s4, s4, s0
	s_addc_u32 s5, s5, s1
	v_mad_u64_u32 v[4:5], s[0:1], v0, s7, v[0:1]
	v_ashrrev_i32_e32 v1, 31, v0
	v_lshlrev_b64 v[0:1], 4, v[0:1]
	v_mov_b32_e32 v2, s5
	v_add_co_u32_e32 v0, vcc, s4, v0
	v_addc_co_u32_e32 v1, vcc, v2, v1, vcc
	global_load_dwordx4 v[0:3], v[0:1], off
	v_ashrrev_i32_e32 v5, 31, v4
	v_lshlrev_b64 v[4:5], 4, v[4:5]
	v_mov_b32_e32 v6, s3
	v_add_co_u32_e32 v4, vcc, s2, v4
	v_addc_co_u32_e32 v5, vcc, v6, v5, vcc
	s_waitcnt vmcnt(0)
	global_store_dwordx4 v[4:5], v[0:3], off
.LBB258_2:
	s_endpgm
	.section	.rodata,"a",@progbits
	.p2align	6, 0x0
	.amdhsa_kernel _ZN9rocsolver6v33100L12restore_diagI19rocblas_complex_numIdEiS3_PS3_EEvPT1_llT2_lT0_lS8_
		.amdhsa_group_segment_fixed_size 0
		.amdhsa_private_segment_fixed_size 0
		.amdhsa_kernarg_size 320
		.amdhsa_user_sgpr_count 6
		.amdhsa_user_sgpr_private_segment_buffer 1
		.amdhsa_user_sgpr_dispatch_ptr 0
		.amdhsa_user_sgpr_queue_ptr 0
		.amdhsa_user_sgpr_kernarg_segment_ptr 1
		.amdhsa_user_sgpr_dispatch_id 0
		.amdhsa_user_sgpr_flat_scratch_init 0
		.amdhsa_user_sgpr_kernarg_preload_length 0
		.amdhsa_user_sgpr_kernarg_preload_offset 0
		.amdhsa_user_sgpr_private_segment_size 0
		.amdhsa_uses_dynamic_stack 0
		.amdhsa_system_sgpr_private_segment_wavefront_offset 0
		.amdhsa_system_sgpr_workgroup_id_x 1
		.amdhsa_system_sgpr_workgroup_id_y 1
		.amdhsa_system_sgpr_workgroup_id_z 0
		.amdhsa_system_sgpr_workgroup_info 0
		.amdhsa_system_vgpr_workitem_id 1
		.amdhsa_next_free_vgpr 7
		.amdhsa_next_free_sgpr 16
		.amdhsa_accum_offset 8
		.amdhsa_reserve_vcc 1
		.amdhsa_reserve_flat_scratch 0
		.amdhsa_float_round_mode_32 0
		.amdhsa_float_round_mode_16_64 0
		.amdhsa_float_denorm_mode_32 3
		.amdhsa_float_denorm_mode_16_64 3
		.amdhsa_dx10_clamp 1
		.amdhsa_ieee_mode 1
		.amdhsa_fp16_overflow 0
		.amdhsa_tg_split 0
		.amdhsa_exception_fp_ieee_invalid_op 0
		.amdhsa_exception_fp_denorm_src 0
		.amdhsa_exception_fp_ieee_div_zero 0
		.amdhsa_exception_fp_ieee_overflow 0
		.amdhsa_exception_fp_ieee_underflow 0
		.amdhsa_exception_fp_ieee_inexact 0
		.amdhsa_exception_int_div_zero 0
	.end_amdhsa_kernel
	.section	.text._ZN9rocsolver6v33100L12restore_diagI19rocblas_complex_numIdEiS3_PS3_EEvPT1_llT2_lT0_lS8_,"axG",@progbits,_ZN9rocsolver6v33100L12restore_diagI19rocblas_complex_numIdEiS3_PS3_EEvPT1_llT2_lT0_lS8_,comdat
.Lfunc_end258:
	.size	_ZN9rocsolver6v33100L12restore_diagI19rocblas_complex_numIdEiS3_PS3_EEvPT1_llT2_lT0_lS8_, .Lfunc_end258-_ZN9rocsolver6v33100L12restore_diagI19rocblas_complex_numIdEiS3_PS3_EEvPT1_llT2_lT0_lS8_
                                        ; -- End function
	.section	.AMDGPU.csdata,"",@progbits
; Kernel info:
; codeLenInByte = 268
; NumSgprs: 20
; NumVgprs: 7
; NumAgprs: 0
; TotalNumVgprs: 7
; ScratchSize: 0
; MemoryBound: 0
; FloatMode: 240
; IeeeMode: 1
; LDSByteSize: 0 bytes/workgroup (compile time only)
; SGPRBlocks: 2
; VGPRBlocks: 0
; NumSGPRsForWavesPerEU: 20
; NumVGPRsForWavesPerEU: 7
; AccumOffset: 8
; Occupancy: 8
; WaveLimiterHint : 0
; COMPUTE_PGM_RSRC2:SCRATCH_EN: 0
; COMPUTE_PGM_RSRC2:USER_SGPR: 6
; COMPUTE_PGM_RSRC2:TRAP_HANDLER: 0
; COMPUTE_PGM_RSRC2:TGID_X_EN: 1
; COMPUTE_PGM_RSRC2:TGID_Y_EN: 1
; COMPUTE_PGM_RSRC2:TGID_Z_EN: 0
; COMPUTE_PGM_RSRC2:TIDIG_COMP_CNT: 1
; COMPUTE_PGM_RSRC3_GFX90A:ACCUM_OFFSET: 1
; COMPUTE_PGM_RSRC3_GFX90A:TG_SPLIT: 0
	.text
	.p2alignl 6, 3212836864
	.fill 256, 4, 3212836864
	.type	__const.__assert_fail.fmt,@object ; @__const.__assert_fail.fmt
	.section	.rodata.str1.16,"aMS",@progbits,1
	.p2align	4, 0x0
__const.__assert_fail.fmt:
	.asciz	"%s:%u: %s: Device-side assertion `%s' failed.\n"
	.size	__const.__assert_fail.fmt, 47

	.type	.str.3,@object                  ; @.str.3
	.section	.rodata.str1.1,"aMS",@progbits,1
.str.3:
	.asciz	"std::isnan(a[k]) || std::isnan(a[k + 1]) || a[k] >= a[k + 1]"
	.size	.str.3, 61

	.type	.str.4,@object                  ; @.str.4
.str.4:
	.asciz	"/root/src/amdgpu-assembly/repos/ROCm__rocSOLVER/library/src/include/lib_device_helpers.hpp"
	.size	.str.4, 91

	.type	__PRETTY_FUNCTION__._ZN9rocsolver6v33100L21shell_sort_descendingIfiEEvT0_PT_PS2_,@object ; @__PRETTY_FUNCTION__._ZN9rocsolver6v33100L21shell_sort_descendingIfiEEvT0_PT_PS2_
__PRETTY_FUNCTION__._ZN9rocsolver6v33100L21shell_sort_descendingIfiEEvT0_PT_PS2_:
	.asciz	"void rocsolver::shell_sort_descending(const I, S *, I *) [S = float, I = int]"
	.size	__PRETTY_FUNCTION__._ZN9rocsolver6v33100L21shell_sort_descendingIfiEEvT0_PT_PS2_, 78

	.type	__PRETTY_FUNCTION__._ZN9rocsolver6v33100L21shell_sort_descendingIdiEEvT0_PT_PS2_,@object ; @__PRETTY_FUNCTION__._ZN9rocsolver6v33100L21shell_sort_descendingIdiEEvT0_PT_PS2_
__PRETTY_FUNCTION__._ZN9rocsolver6v33100L21shell_sort_descendingIdiEEvT0_PT_PS2_:
	.asciz	"void rocsolver::shell_sort_descending(const I, S *, I *) [S = double, I = int]"
	.size	__PRETTY_FUNCTION__._ZN9rocsolver6v33100L21shell_sort_descendingIdiEEvT0_PT_PS2_, 79

	.type	__hip_cuid_af1cba3a3b95452c,@object ; @__hip_cuid_af1cba3a3b95452c
	.section	.bss,"aw",@nobits
	.globl	__hip_cuid_af1cba3a3b95452c
__hip_cuid_af1cba3a3b95452c:
	.byte	0                               ; 0x0
	.size	__hip_cuid_af1cba3a3b95452c, 1

	.ident	"AMD clang version 19.0.0git (https://github.com/RadeonOpenCompute/llvm-project roc-6.4.0 25133 c7fe45cf4b819c5991fe208aaa96edf142730f1d)"
	.section	".note.GNU-stack","",@progbits
	.addrsig
	.addrsig_sym __hip_cuid_af1cba3a3b95452c
	.amdgpu_metadata
---
amdhsa.kernels:
  - .agpr_count:     0
    .args:
      - .address_space:  global
        .offset:         0
        .size:           8
        .value_kind:     global_buffer
      - .offset:         8
        .size:           4
        .value_kind:     by_value
      - .offset:         12
        .size:           4
        .value_kind:     by_value
    .group_segment_fixed_size: 0
    .kernarg_segment_align: 8
    .kernarg_segment_size: 16
    .language:       OpenCL C
    .language_version:
      - 2
      - 0
    .max_flat_workgroup_size: 32
    .name:           _ZN9rocsolver6v33100L6iota_nIfEEvPT_jS2_
    .private_segment_fixed_size: 0
    .sgpr_count:     10
    .sgpr_spill_count: 0
    .symbol:         _ZN9rocsolver6v33100L6iota_nIfEEvPT_jS2_.kd
    .uniform_work_group_size: 1
    .uses_dynamic_stack: false
    .vgpr_count:     2
    .vgpr_spill_count: 0
    .wavefront_size: 64
  - .agpr_count:     0
    .args:
      - .offset:         0
        .size:           4
        .value_kind:     by_value
      - .offset:         4
        .size:           4
        .value_kind:     by_value
      - .address_space:  global
        .offset:         8
        .size:           8
        .value_kind:     global_buffer
      - .offset:         16
        .size:           8
        .value_kind:     by_value
      - .offset:         24
        .size:           4
        .value_kind:     by_value
      - .offset:         32
        .size:           8
        .value_kind:     by_value
      - .address_space:  global
        .offset:         40
        .size:           8
        .value_kind:     global_buffer
      - .offset:         48
        .size:           8
        .value_kind:     by_value
      - .address_space:  global
        .offset:         56
        .size:           8
        .value_kind:     global_buffer
      - .offset:         64
        .size:           8
        .value_kind:     by_value
    .group_segment_fixed_size: 0
    .kernarg_segment_align: 8
    .kernarg_segment_size: 72
    .language:       OpenCL C
    .language_version:
      - 2
      - 0
    .max_flat_workgroup_size: 256
    .name:           _ZN9rocsolver6v33100L18geqr2_kernel_smallILi256EfifPKPfEEvT1_S5_T3_lS5_lPT2_lPT0_l
    .private_segment_fixed_size: 0
    .sgpr_count:     52
    .sgpr_spill_count: 0
    .symbol:         _ZN9rocsolver6v33100L18geqr2_kernel_smallILi256EfifPKPfEEvT1_S5_T3_lS5_lPT2_lPT0_l.kd
    .uniform_work_group_size: 1
    .uses_dynamic_stack: false
    .vgpr_count:     25
    .vgpr_spill_count: 0
    .wavefront_size: 64
  - .agpr_count:     0
    .args:
      - .address_space:  global
        .offset:         0
        .size:           8
        .value_kind:     global_buffer
      - .offset:         8
        .size:           8
        .value_kind:     by_value
      - .offset:         16
        .size:           4
        .value_kind:     by_value
      - .offset:         20
        .size:           4
        .value_kind:     by_value
      - .offset:         24
        .size:           4
        .value_kind:     hidden_block_count_x
      - .offset:         28
        .size:           4
        .value_kind:     hidden_block_count_y
      - .offset:         32
        .size:           4
        .value_kind:     hidden_block_count_z
      - .offset:         36
        .size:           2
        .value_kind:     hidden_group_size_x
      - .offset:         38
        .size:           2
        .value_kind:     hidden_group_size_y
      - .offset:         40
        .size:           2
        .value_kind:     hidden_group_size_z
      - .offset:         42
        .size:           2
        .value_kind:     hidden_remainder_x
      - .offset:         44
        .size:           2
        .value_kind:     hidden_remainder_y
      - .offset:         46
        .size:           2
        .value_kind:     hidden_remainder_z
      - .offset:         64
        .size:           8
        .value_kind:     hidden_global_offset_x
      - .offset:         72
        .size:           8
        .value_kind:     hidden_global_offset_y
      - .offset:         80
        .size:           8
        .value_kind:     hidden_global_offset_z
      - .offset:         88
        .size:           2
        .value_kind:     hidden_grid_dims
    .group_segment_fixed_size: 0
    .kernarg_segment_align: 8
    .kernarg_segment_size: 280
    .language:       OpenCL C
    .language_version:
      - 2
      - 0
    .max_flat_workgroup_size: 1024
    .name:           _ZN9rocsolver6v33100L16reset_batch_infoIfiiPfEEvT2_lT0_T1_
    .private_segment_fixed_size: 0
    .sgpr_count:     16
    .sgpr_spill_count: 0
    .symbol:         _ZN9rocsolver6v33100L16reset_batch_infoIfiiPfEEvT2_lT0_T1_.kd
    .uniform_work_group_size: 1
    .uses_dynamic_stack: false
    .vgpr_count:     4
    .vgpr_spill_count: 0
    .wavefront_size: 64
  - .agpr_count:     0
    .args:
      - .address_space:  global
        .offset:         0
        .size:           8
        .value_kind:     global_buffer
      - .offset:         8
        .size:           8
        .value_kind:     by_value
      - .offset:         16
        .size:           8
        .value_kind:     by_value
      - .address_space:  global
        .offset:         24
        .size:           8
        .value_kind:     global_buffer
      - .offset:         32
        .size:           8
        .value_kind:     by_value
      - .offset:         40
        .size:           4
        .value_kind:     by_value
      - .offset:         48
        .size:           8
        .value_kind:     by_value
      - .offset:         56
        .size:           4
        .value_kind:     by_value
      - .offset:         60
        .size:           1
        .value_kind:     by_value
      - .offset:         64
        .size:           4
        .value_kind:     hidden_block_count_x
      - .offset:         68
        .size:           4
        .value_kind:     hidden_block_count_y
      - .offset:         72
        .size:           4
        .value_kind:     hidden_block_count_z
      - .offset:         76
        .size:           2
        .value_kind:     hidden_group_size_x
      - .offset:         78
        .size:           2
        .value_kind:     hidden_group_size_y
      - .offset:         80
        .size:           2
        .value_kind:     hidden_group_size_z
      - .offset:         82
        .size:           2
        .value_kind:     hidden_remainder_x
      - .offset:         84
        .size:           2
        .value_kind:     hidden_remainder_y
      - .offset:         86
        .size:           2
        .value_kind:     hidden_remainder_z
      - .offset:         104
        .size:           8
        .value_kind:     hidden_global_offset_x
      - .offset:         112
        .size:           8
        .value_kind:     hidden_global_offset_y
      - .offset:         120
        .size:           8
        .value_kind:     hidden_global_offset_z
      - .offset:         128
        .size:           2
        .value_kind:     hidden_grid_dims
    .group_segment_fixed_size: 0
    .kernarg_segment_align: 8
    .kernarg_segment_size: 320
    .language:       OpenCL C
    .language_version:
      - 2
      - 0
    .max_flat_workgroup_size: 1024
    .name:           _ZN9rocsolver6v33100L8set_diagIfifPKPfTnNSt9enable_ifIXoont18rocblas_is_complexIT_E18rocblas_is_complexIT1_EEiE4typeELi0EEEvPS7_llT2_lT0_lSC_b
    .private_segment_fixed_size: 0
    .sgpr_count:     23
    .sgpr_spill_count: 0
    .symbol:         _ZN9rocsolver6v33100L8set_diagIfifPKPfTnNSt9enable_ifIXoont18rocblas_is_complexIT_E18rocblas_is_complexIT1_EEiE4typeELi0EEEvPS7_llT2_lT0_lSC_b.kd
    .uniform_work_group_size: 1
    .uses_dynamic_stack: false
    .vgpr_count:     6
    .vgpr_spill_count: 0
    .wavefront_size: 64
  - .agpr_count:     0
    .args:
      - .address_space:  global
        .offset:         0
        .size:           8
        .value_kind:     global_buffer
      - .offset:         8
        .size:           8
        .value_kind:     by_value
      - .address_space:  global
        .offset:         16
        .size:           8
        .value_kind:     global_buffer
      - .address_space:  global
        .offset:         24
        .size:           8
        .value_kind:     global_buffer
      - .offset:         32
        .size:           8
        .value_kind:     by_value
      - .offset:         40
        .size:           8
        .value_kind:     by_value
      - .address_space:  global
        .offset:         48
        .size:           8
        .value_kind:     global_buffer
      - .offset:         56
        .size:           8
        .value_kind:     by_value
      - .offset:         64
        .size:           8
        .value_kind:     by_value
    .group_segment_fixed_size: 0
    .kernarg_segment_align: 8
    .kernarg_segment_size: 72
    .language:       OpenCL C
    .language_version:
      - 2
      - 0
    .max_flat_workgroup_size: 1024
    .name:           _ZN9rocsolver6v33100L11set_taubetaIfifPKPfEEvPT_lS6_T2_llPT1_ll
    .private_segment_fixed_size: 0
    .sgpr_count:     26
    .sgpr_spill_count: 0
    .symbol:         _ZN9rocsolver6v33100L11set_taubetaIfifPKPfEEvPT_lS6_T2_llPT1_ll.kd
    .uniform_work_group_size: 1
    .uses_dynamic_stack: false
    .vgpr_count:     8
    .vgpr_spill_count: 0
    .wavefront_size: 64
  - .agpr_count:     0
    .args:
      - .offset:         0
        .size:           4
        .value_kind:     by_value
      - .offset:         4
        .size:           4
        .value_kind:     by_value
      - .address_space:  global
        .offset:         8
        .size:           8
        .value_kind:     global_buffer
      - .offset:         16
        .size:           8
        .value_kind:     by_value
      - .offset:         24
        .size:           4
        .value_kind:     by_value
      - .offset:         32
        .size:           8
        .value_kind:     by_value
    .group_segment_fixed_size: 0
    .kernarg_segment_align: 8
    .kernarg_segment_size: 40
    .language:       OpenCL C
    .language_version:
      - 2
      - 0
    .max_flat_workgroup_size: 1024
    .name:           _ZN9rocsolver6v33100L13conj_in_placeIfiPfTnNSt9enable_ifIXnt18rocblas_is_complexIT_EEiE4typeELi0EEEvT0_S7_T1_lS7_l
    .private_segment_fixed_size: 0
    .sgpr_count:     4
    .sgpr_spill_count: 0
    .symbol:         _ZN9rocsolver6v33100L13conj_in_placeIfiPfTnNSt9enable_ifIXnt18rocblas_is_complexIT_EEiE4typeELi0EEEvT0_S7_T1_lS7_l.kd
    .uniform_work_group_size: 1
    .uses_dynamic_stack: false
    .vgpr_count:     0
    .vgpr_spill_count: 0
    .wavefront_size: 64
  - .agpr_count:     0
    .args:
      - .offset:         0
        .size:           4
        .value_kind:     by_value
      - .offset:         4
        .size:           4
        .value_kind:     by_value
      - .address_space:  global
        .offset:         8
        .size:           8
        .value_kind:     global_buffer
      - .offset:         16
        .size:           8
        .value_kind:     by_value
      - .offset:         24
        .size:           4
        .value_kind:     by_value
      - .offset:         32
        .size:           8
        .value_kind:     by_value
      - .address_space:  global
        .offset:         40
        .size:           8
        .value_kind:     global_buffer
      - .offset:         48
        .size:           8
        .value_kind:     by_value
      - .address_space:  global
        .offset:         56
        .size:           8
        .value_kind:     global_buffer
      - .offset:         64
        .size:           8
        .value_kind:     by_value
      - .offset:         72
        .size:           4
        .value_kind:     by_value
      - .offset:         80
        .size:           8
        .value_kind:     by_value
    .group_segment_fixed_size: 0
    .kernarg_segment_align: 8
    .kernarg_segment_size: 88
    .language:       OpenCL C
    .language_version:
      - 2
      - 0
    .max_flat_workgroup_size: 1024
    .name:           _ZN9rocsolver6v33100L16larf_left_kernelILi1024EfiPKPfEEvT1_S5_T2_lS5_lPKT0_lS6_lS5_l
    .private_segment_fixed_size: 0
    .sgpr_count:     40
    .sgpr_spill_count: 0
    .symbol:         _ZN9rocsolver6v33100L16larf_left_kernelILi1024EfiPKPfEEvT1_S5_T2_lS5_lPKT0_lS6_lS5_l.kd
    .uniform_work_group_size: 1
    .uses_dynamic_stack: false
    .vgpr_count:     22
    .vgpr_spill_count: 0
    .wavefront_size: 64
  - .agpr_count:     0
    .args:
      - .offset:         0
        .size:           4
        .value_kind:     by_value
      - .offset:         4
        .size:           4
        .value_kind:     by_value
      - .address_space:  global
        .offset:         8
        .size:           8
        .value_kind:     global_buffer
      - .offset:         16
        .size:           8
        .value_kind:     by_value
      - .offset:         24
        .size:           4
        .value_kind:     by_value
      - .offset:         32
        .size:           8
        .value_kind:     by_value
      - .address_space:  global
        .offset:         40
        .size:           8
        .value_kind:     global_buffer
      - .offset:         48
        .size:           8
        .value_kind:     by_value
      - .address_space:  global
        .offset:         56
        .size:           8
        .value_kind:     global_buffer
      - .offset:         64
        .size:           8
        .value_kind:     by_value
      - .offset:         72
        .size:           4
        .value_kind:     by_value
      - .offset:         80
        .size:           8
        .value_kind:     by_value
    .group_segment_fixed_size: 0
    .kernarg_segment_align: 8
    .kernarg_segment_size: 88
    .language:       OpenCL C
    .language_version:
      - 2
      - 0
    .max_flat_workgroup_size: 1024
    .name:           _ZN9rocsolver6v33100L17larf_right_kernelILi1024EfiPKPfEEvT1_S5_T2_lS5_lPKT0_lS6_lS5_l
    .private_segment_fixed_size: 0
    .sgpr_count:     38
    .sgpr_spill_count: 0
    .symbol:         _ZN9rocsolver6v33100L17larf_right_kernelILi1024EfiPKPfEEvT1_S5_T2_lS5_lPKT0_lS6_lS5_l.kd
    .uniform_work_group_size: 1
    .uses_dynamic_stack: false
    .vgpr_count:     18
    .vgpr_spill_count: 0
    .wavefront_size: 64
  - .agpr_count:     0
    .args:
      - .address_space:  global
        .offset:         0
        .size:           8
        .value_kind:     global_buffer
      - .address_space:  global
        .offset:         8
        .size:           8
        .value_kind:     global_buffer
      - .offset:         16
        .size:           8
        .value_kind:     by_value
      - .offset:         24
        .size:           4
        .value_kind:     by_value
      - .offset:         32
        .size:           4
        .value_kind:     hidden_block_count_x
      - .offset:         36
        .size:           4
        .value_kind:     hidden_block_count_y
      - .offset:         40
        .size:           4
        .value_kind:     hidden_block_count_z
      - .offset:         44
        .size:           2
        .value_kind:     hidden_group_size_x
      - .offset:         46
        .size:           2
        .value_kind:     hidden_group_size_y
      - .offset:         48
        .size:           2
        .value_kind:     hidden_group_size_z
      - .offset:         50
        .size:           2
        .value_kind:     hidden_remainder_x
      - .offset:         52
        .size:           2
        .value_kind:     hidden_remainder_y
      - .offset:         54
        .size:           2
        .value_kind:     hidden_remainder_z
      - .offset:         72
        .size:           8
        .value_kind:     hidden_global_offset_x
      - .offset:         80
        .size:           8
        .value_kind:     hidden_global_offset_y
      - .offset:         88
        .size:           8
        .value_kind:     hidden_global_offset_z
      - .offset:         96
        .size:           2
        .value_kind:     hidden_grid_dims
    .group_segment_fixed_size: 0
    .kernarg_segment_align: 8
    .kernarg_segment_size: 288
    .language:       OpenCL C
    .language_version:
      - 2
      - 0
    .max_flat_workgroup_size: 1024
    .name:           _ZN9rocsolver6v33100L9get_arrayIfiEEvPPT_S3_lT0_
    .private_segment_fixed_size: 0
    .sgpr_count:     12
    .sgpr_spill_count: 0
    .symbol:         _ZN9rocsolver6v33100L9get_arrayIfiEEvPPT_S3_lT0_.kd
    .uniform_work_group_size: 1
    .uses_dynamic_stack: false
    .vgpr_count:     6
    .vgpr_spill_count: 0
    .wavefront_size: 64
  - .agpr_count:     0
    .args:
      - .address_space:  global
        .offset:         0
        .size:           8
        .value_kind:     global_buffer
      - .offset:         8
        .size:           8
        .value_kind:     by_value
      - .offset:         16
        .size:           8
        .value_kind:     by_value
      - .address_space:  global
        .offset:         24
        .size:           8
        .value_kind:     global_buffer
      - .offset:         32
        .size:           8
        .value_kind:     by_value
      - .offset:         40
        .size:           4
        .value_kind:     by_value
      - .offset:         48
        .size:           8
        .value_kind:     by_value
      - .offset:         56
        .size:           4
        .value_kind:     by_value
      - .offset:         64
        .size:           4
        .value_kind:     hidden_block_count_x
      - .offset:         68
        .size:           4
        .value_kind:     hidden_block_count_y
      - .offset:         72
        .size:           4
        .value_kind:     hidden_block_count_z
      - .offset:         76
        .size:           2
        .value_kind:     hidden_group_size_x
      - .offset:         78
        .size:           2
        .value_kind:     hidden_group_size_y
      - .offset:         80
        .size:           2
        .value_kind:     hidden_group_size_z
      - .offset:         82
        .size:           2
        .value_kind:     hidden_remainder_x
      - .offset:         84
        .size:           2
        .value_kind:     hidden_remainder_y
      - .offset:         86
        .size:           2
        .value_kind:     hidden_remainder_z
      - .offset:         104
        .size:           8
        .value_kind:     hidden_global_offset_x
      - .offset:         112
        .size:           8
        .value_kind:     hidden_global_offset_y
      - .offset:         120
        .size:           8
        .value_kind:     hidden_global_offset_z
      - .offset:         128
        .size:           2
        .value_kind:     hidden_grid_dims
    .group_segment_fixed_size: 0
    .kernarg_segment_align: 8
    .kernarg_segment_size: 320
    .language:       OpenCL C
    .language_version:
      - 2
      - 0
    .max_flat_workgroup_size: 1024
    .name:           _ZN9rocsolver6v33100L12restore_diagIfifPKPfEEvPT1_llT2_lT0_lS8_
    .private_segment_fixed_size: 0
    .sgpr_count:     21
    .sgpr_spill_count: 0
    .symbol:         _ZN9rocsolver6v33100L12restore_diagIfifPKPfEEvPT1_llT2_lT0_lS8_.kd
    .uniform_work_group_size: 1
    .uses_dynamic_stack: false
    .vgpr_count:     5
    .vgpr_spill_count: 0
    .wavefront_size: 64
  - .agpr_count:     0
    .args:
      - .offset:         0
        .size:           4
        .value_kind:     by_value
      - .offset:         4
        .size:           4
        .value_kind:     by_value
      - .address_space:  global
        .offset:         8
        .size:           8
        .value_kind:     global_buffer
      - .offset:         16
        .size:           4
        .value_kind:     by_value
      - .offset:         20
        .size:           4
        .value_kind:     by_value
      - .offset:         24
        .size:           8
        .value_kind:     by_value
      - .address_space:  global
        .offset:         32
        .size:           8
        .value_kind:     global_buffer
      - .offset:         40
        .size:           8
        .value_kind:     by_value
      - .address_space:  global
        .offset:         48
        .size:           8
        .value_kind:     global_buffer
      - .offset:         56
        .size:           4
        .value_kind:     by_value
      - .offset:         64
        .size:           8
        .value_kind:     by_value
      - .offset:         72
        .size:           4
        .value_kind:     by_value
      - .offset:         76
        .size:           4
        .value_kind:     by_value
      - .offset:         80
        .size:           1
        .value_kind:     by_value
      - .offset:         88
        .size:           4
        .value_kind:     hidden_block_count_x
      - .offset:         92
        .size:           4
        .value_kind:     hidden_block_count_y
      - .offset:         96
        .size:           4
        .value_kind:     hidden_block_count_z
      - .offset:         100
        .size:           2
        .value_kind:     hidden_group_size_x
      - .offset:         102
        .size:           2
        .value_kind:     hidden_group_size_y
      - .offset:         104
        .size:           2
        .value_kind:     hidden_group_size_z
      - .offset:         106
        .size:           2
        .value_kind:     hidden_remainder_x
      - .offset:         108
        .size:           2
        .value_kind:     hidden_remainder_y
      - .offset:         110
        .size:           2
        .value_kind:     hidden_remainder_z
      - .offset:         128
        .size:           8
        .value_kind:     hidden_global_offset_x
      - .offset:         136
        .size:           8
        .value_kind:     hidden_global_offset_y
      - .offset:         144
        .size:           8
        .value_kind:     hidden_global_offset_z
      - .offset:         152
        .size:           2
        .value_kind:     hidden_grid_dims
    .group_segment_fixed_size: 0
    .kernarg_segment_align: 8
    .kernarg_segment_size: 344
    .language:       OpenCL C
    .language_version:
      - 2
      - 0
    .max_flat_workgroup_size: 1024
    .name:           _ZN9rocsolver6v33100L14set_triangularIfPKPfTnNSt9enable_ifIXnt18rocblas_is_complexIT_EEiE4typeELi0EEEviiT0_iilPS6_lSA_il15rocblas_direct_15rocblas_storev_b
    .private_segment_fixed_size: 0
    .sgpr_count:     26
    .sgpr_spill_count: 0
    .symbol:         _ZN9rocsolver6v33100L14set_triangularIfPKPfTnNSt9enable_ifIXnt18rocblas_is_complexIT_EEiE4typeELi0EEEviiT0_iilPS6_lSA_il15rocblas_direct_15rocblas_storev_b.kd
    .uniform_work_group_size: 1
    .uses_dynamic_stack: false
    .vgpr_count:     15
    .vgpr_spill_count: 0
    .wavefront_size: 64
  - .agpr_count:     0
    .args:
      - .offset:         0
        .size:           4
        .value_kind:     by_value
      - .address_space:  global
        .offset:         8
        .size:           8
        .value_kind:     global_buffer
      - .offset:         16
        .size:           8
        .value_kind:     by_value
      - .offset:         24
        .size:           4
        .value_kind:     hidden_block_count_x
      - .offset:         28
        .size:           4
        .value_kind:     hidden_block_count_y
      - .offset:         32
        .size:           4
        .value_kind:     hidden_block_count_z
      - .offset:         36
        .size:           2
        .value_kind:     hidden_group_size_x
      - .offset:         38
        .size:           2
        .value_kind:     hidden_group_size_y
      - .offset:         40
        .size:           2
        .value_kind:     hidden_group_size_z
      - .offset:         42
        .size:           2
        .value_kind:     hidden_remainder_x
      - .offset:         44
        .size:           2
        .value_kind:     hidden_remainder_y
      - .offset:         46
        .size:           2
        .value_kind:     hidden_remainder_z
      - .offset:         64
        .size:           8
        .value_kind:     hidden_global_offset_x
      - .offset:         72
        .size:           8
        .value_kind:     hidden_global_offset_y
      - .offset:         80
        .size:           8
        .value_kind:     hidden_global_offset_z
      - .offset:         88
        .size:           2
        .value_kind:     hidden_grid_dims
    .group_segment_fixed_size: 0
    .kernarg_segment_align: 8
    .kernarg_segment_size: 280
    .language:       OpenCL C
    .language_version:
      - 2
      - 0
    .max_flat_workgroup_size: 1024
    .name:           _ZN9rocsolver6v33100L7set_tauIfEEviPT_l
    .private_segment_fixed_size: 0
    .sgpr_count:     12
    .sgpr_spill_count: 0
    .symbol:         _ZN9rocsolver6v33100L7set_tauIfEEviPT_l.kd
    .uniform_work_group_size: 1
    .uses_dynamic_stack: false
    .vgpr_count:     3
    .vgpr_spill_count: 0
    .wavefront_size: 64
  - .agpr_count:     0
    .args:
      - .offset:         0
        .size:           4
        .value_kind:     by_value
      - .offset:         4
        .size:           4
        .value_kind:     by_value
      - .offset:         8
        .size:           4
        .value_kind:     by_value
      - .address_space:  global
        .offset:         16
        .size:           8
        .value_kind:     global_buffer
      - .offset:         24
        .size:           4
        .value_kind:     by_value
      - .offset:         28
        .size:           4
        .value_kind:     by_value
      - .offset:         32
        .size:           8
        .value_kind:     by_value
      - .address_space:  global
        .offset:         40
        .size:           8
        .value_kind:     global_buffer
      - .offset:         48
        .size:           8
        .value_kind:     by_value
      - .address_space:  global
        .offset:         56
        .size:           8
        .value_kind:     global_buffer
      - .offset:         64
        .size:           4
        .value_kind:     by_value
      - .offset:         72
        .size:           8
        .value_kind:     by_value
      - .offset:         80
        .size:           4
        .value_kind:     hidden_block_count_x
      - .offset:         84
        .size:           4
        .value_kind:     hidden_block_count_y
      - .offset:         88
        .size:           4
        .value_kind:     hidden_block_count_z
      - .offset:         92
        .size:           2
        .value_kind:     hidden_group_size_x
      - .offset:         94
        .size:           2
        .value_kind:     hidden_group_size_y
      - .offset:         96
        .size:           2
        .value_kind:     hidden_group_size_z
      - .offset:         98
        .size:           2
        .value_kind:     hidden_remainder_x
      - .offset:         100
        .size:           2
        .value_kind:     hidden_remainder_y
      - .offset:         102
        .size:           2
        .value_kind:     hidden_remainder_z
      - .offset:         120
        .size:           8
        .value_kind:     hidden_global_offset_x
      - .offset:         128
        .size:           8
        .value_kind:     hidden_global_offset_y
      - .offset:         136
        .size:           8
        .value_kind:     hidden_global_offset_z
      - .offset:         144
        .size:           2
        .value_kind:     hidden_grid_dims
      - .offset:         200
        .size:           4
        .value_kind:     hidden_dynamic_lds_size
    .group_segment_fixed_size: 0
    .kernarg_segment_align: 8
    .kernarg_segment_size: 336
    .language:       OpenCL C
    .language_version:
      - 2
      - 0
    .max_flat_workgroup_size: 1024
    .name:           _ZN9rocsolver6v33100L20larft_kernel_forwardIfPKPfEEv15rocblas_storev_iiT0_iilPT_lS8_il
    .private_segment_fixed_size: 0
    .sgpr_count:     52
    .sgpr_spill_count: 0
    .symbol:         _ZN9rocsolver6v33100L20larft_kernel_forwardIfPKPfEEv15rocblas_storev_iiT0_iilPT_lS8_il.kd
    .uniform_work_group_size: 1
    .uses_dynamic_stack: false
    .vgpr_count:     21
    .vgpr_spill_count: 0
    .wavefront_size: 64
  - .agpr_count:     0
    .args:
      - .offset:         0
        .size:           4
        .value_kind:     by_value
      - .offset:         4
        .size:           4
        .value_kind:     by_value
      - .address_space:  global
        .offset:         8
        .size:           8
        .value_kind:     global_buffer
      - .offset:         16
        .size:           8
        .value_kind:     by_value
      - .offset:         24
        .size:           4
        .value_kind:     by_value
      - .offset:         32
        .size:           8
        .value_kind:     by_value
    .group_segment_fixed_size: 0
    .kernarg_segment_align: 8
    .kernarg_segment_size: 40
    .language:       OpenCL C
    .language_version:
      - 2
      - 0
    .max_flat_workgroup_size: 1024
    .name:           _ZN9rocsolver6v33100L13conj_in_placeIfiPKPfTnNSt9enable_ifIXnt18rocblas_is_complexIT_EEiE4typeELi0EEEvT0_S9_T1_lS9_l
    .private_segment_fixed_size: 0
    .sgpr_count:     4
    .sgpr_spill_count: 0
    .symbol:         _ZN9rocsolver6v33100L13conj_in_placeIfiPKPfTnNSt9enable_ifIXnt18rocblas_is_complexIT_EEiE4typeELi0EEEvT0_S9_T1_lS9_l.kd
    .uniform_work_group_size: 1
    .uses_dynamic_stack: false
    .vgpr_count:     0
    .vgpr_spill_count: 0
    .wavefront_size: 64
  - .agpr_count:     0
    .args:
      - .offset:         0
        .size:           4
        .value_kind:     by_value
      - .offset:         4
        .size:           4
        .value_kind:     by_value
      - .offset:         8
        .size:           4
        .value_kind:     by_value
      - .address_space:  global
        .offset:         16
        .size:           8
        .value_kind:     global_buffer
      - .offset:         24
        .size:           4
        .value_kind:     by_value
      - .offset:         28
        .size:           4
        .value_kind:     by_value
      - .offset:         32
        .size:           8
        .value_kind:     by_value
      - .address_space:  global
        .offset:         40
        .size:           8
        .value_kind:     global_buffer
      - .offset:         48
        .size:           8
        .value_kind:     by_value
      - .address_space:  global
        .offset:         56
        .size:           8
        .value_kind:     global_buffer
      - .offset:         64
        .size:           4
        .value_kind:     by_value
      - .offset:         72
        .size:           8
        .value_kind:     by_value
      - .offset:         80
        .size:           4
        .value_kind:     hidden_block_count_x
      - .offset:         84
        .size:           4
        .value_kind:     hidden_block_count_y
      - .offset:         88
        .size:           4
        .value_kind:     hidden_block_count_z
      - .offset:         92
        .size:           2
        .value_kind:     hidden_group_size_x
      - .offset:         94
        .size:           2
        .value_kind:     hidden_group_size_y
      - .offset:         96
        .size:           2
        .value_kind:     hidden_group_size_z
      - .offset:         98
        .size:           2
        .value_kind:     hidden_remainder_x
      - .offset:         100
        .size:           2
        .value_kind:     hidden_remainder_y
      - .offset:         102
        .size:           2
        .value_kind:     hidden_remainder_z
      - .offset:         120
        .size:           8
        .value_kind:     hidden_global_offset_x
      - .offset:         128
        .size:           8
        .value_kind:     hidden_global_offset_y
      - .offset:         136
        .size:           8
        .value_kind:     hidden_global_offset_z
      - .offset:         144
        .size:           2
        .value_kind:     hidden_grid_dims
      - .offset:         200
        .size:           4
        .value_kind:     hidden_dynamic_lds_size
    .group_segment_fixed_size: 0
    .kernarg_segment_align: 8
    .kernarg_segment_size: 336
    .language:       OpenCL C
    .language_version:
      - 2
      - 0
    .max_flat_workgroup_size: 1024
    .name:           _ZN9rocsolver6v33100L21larft_kernel_backwardIfPKPfEEv15rocblas_storev_iiT0_iilPT_lS8_il
    .private_segment_fixed_size: 0
    .sgpr_count:     53
    .sgpr_spill_count: 0
    .symbol:         _ZN9rocsolver6v33100L21larft_kernel_backwardIfPKPfEEv15rocblas_storev_iiT0_iilPT_lS8_il.kd
    .uniform_work_group_size: 1
    .uses_dynamic_stack: false
    .vgpr_count:     13
    .vgpr_spill_count: 0
    .wavefront_size: 64
  - .agpr_count:     0
    .args:
      - .offset:         0
        .size:           4
        .value_kind:     by_value
      - .offset:         4
        .size:           4
        .value_kind:     by_value
      - .address_space:  global
        .offset:         8
        .size:           8
        .value_kind:     global_buffer
      - .offset:         16
        .size:           4
        .value_kind:     by_value
      - .offset:         20
        .size:           4
        .value_kind:     by_value
      - .offset:         24
        .size:           8
        .value_kind:     by_value
      - .address_space:  global
        .offset:         32
        .size:           8
        .value_kind:     global_buffer
      - .offset:         40
        .size:           4
        .value_kind:     hidden_block_count_x
      - .offset:         44
        .size:           4
        .value_kind:     hidden_block_count_y
      - .offset:         48
        .size:           4
        .value_kind:     hidden_block_count_z
      - .offset:         52
        .size:           2
        .value_kind:     hidden_group_size_x
      - .offset:         54
        .size:           2
        .value_kind:     hidden_group_size_y
      - .offset:         56
        .size:           2
        .value_kind:     hidden_group_size_z
      - .offset:         58
        .size:           2
        .value_kind:     hidden_remainder_x
      - .offset:         60
        .size:           2
        .value_kind:     hidden_remainder_y
      - .offset:         62
        .size:           2
        .value_kind:     hidden_remainder_z
      - .offset:         80
        .size:           8
        .value_kind:     hidden_global_offset_x
      - .offset:         88
        .size:           8
        .value_kind:     hidden_global_offset_y
      - .offset:         96
        .size:           8
        .value_kind:     hidden_global_offset_z
      - .offset:         104
        .size:           2
        .value_kind:     hidden_grid_dims
    .group_segment_fixed_size: 0
    .kernarg_segment_align: 8
    .kernarg_segment_size: 296
    .language:       OpenCL C
    .language_version:
      - 2
      - 0
    .max_flat_workgroup_size: 1024
    .name:           _ZN9rocsolver6v33100L9copymatA1IfPKPfEEviiT0_iilPT_
    .private_segment_fixed_size: 0
    .sgpr_count:     20
    .sgpr_spill_count: 0
    .symbol:         _ZN9rocsolver6v33100L9copymatA1IfPKPfEEviiT0_iilPT_.kd
    .uniform_work_group_size: 1
    .uses_dynamic_stack: false
    .vgpr_count:     6
    .vgpr_spill_count: 0
    .wavefront_size: 64
  - .agpr_count:     0
    .args:
      - .offset:         0
        .size:           4
        .value_kind:     by_value
      - .offset:         4
        .size:           4
        .value_kind:     by_value
      - .address_space:  global
        .offset:         8
        .size:           8
        .value_kind:     global_buffer
      - .offset:         16
        .size:           4
        .value_kind:     by_value
      - .offset:         20
        .size:           4
        .value_kind:     by_value
      - .offset:         24
        .size:           8
        .value_kind:     by_value
      - .address_space:  global
        .offset:         32
        .size:           8
        .value_kind:     global_buffer
      - .offset:         40
        .size:           4
        .value_kind:     hidden_block_count_x
      - .offset:         44
        .size:           4
        .value_kind:     hidden_block_count_y
      - .offset:         48
        .size:           4
        .value_kind:     hidden_block_count_z
      - .offset:         52
        .size:           2
        .value_kind:     hidden_group_size_x
      - .offset:         54
        .size:           2
        .value_kind:     hidden_group_size_y
      - .offset:         56
        .size:           2
        .value_kind:     hidden_group_size_z
      - .offset:         58
        .size:           2
        .value_kind:     hidden_remainder_x
      - .offset:         60
        .size:           2
        .value_kind:     hidden_remainder_y
      - .offset:         62
        .size:           2
        .value_kind:     hidden_remainder_z
      - .offset:         80
        .size:           8
        .value_kind:     hidden_global_offset_x
      - .offset:         88
        .size:           8
        .value_kind:     hidden_global_offset_y
      - .offset:         96
        .size:           8
        .value_kind:     hidden_global_offset_z
      - .offset:         104
        .size:           2
        .value_kind:     hidden_grid_dims
    .group_segment_fixed_size: 0
    .kernarg_segment_align: 8
    .kernarg_segment_size: 296
    .language:       OpenCL C
    .language_version:
      - 2
      - 0
    .max_flat_workgroup_size: 1024
    .name:           _ZN9rocsolver6v33100L8addmatA1IfPKPfEEviiT0_iilPT_
    .private_segment_fixed_size: 0
    .sgpr_count:     18
    .sgpr_spill_count: 0
    .symbol:         _ZN9rocsolver6v33100L8addmatA1IfPKPfEEviiT0_iilPT_.kd
    .uniform_work_group_size: 1
    .uses_dynamic_stack: false
    .vgpr_count:     6
    .vgpr_spill_count: 0
    .wavefront_size: 64
  - .agpr_count:     0
    .args:
      - .offset:         0
        .size:           4
        .value_kind:     by_value
      - .offset:         4
        .size:           4
        .value_kind:     by_value
      - .address_space:  global
        .offset:         8
        .size:           8
        .value_kind:     global_buffer
      - .offset:         16
        .size:           4
        .value_kind:     by_value
      - .offset:         20
        .size:           4
        .value_kind:     by_value
      - .offset:         24
        .size:           8
        .value_kind:     by_value
      - .offset:         32
        .size:           4
        .value_kind:     by_value
      - .offset:         40
        .size:           4
        .value_kind:     hidden_block_count_x
      - .offset:         44
        .size:           4
        .value_kind:     hidden_block_count_y
      - .offset:         48
        .size:           4
        .value_kind:     hidden_block_count_z
      - .offset:         52
        .size:           2
        .value_kind:     hidden_group_size_x
      - .offset:         54
        .size:           2
        .value_kind:     hidden_group_size_y
      - .offset:         56
        .size:           2
        .value_kind:     hidden_group_size_z
      - .offset:         58
        .size:           2
        .value_kind:     hidden_remainder_x
      - .offset:         60
        .size:           2
        .value_kind:     hidden_remainder_y
      - .offset:         62
        .size:           2
        .value_kind:     hidden_remainder_z
      - .offset:         80
        .size:           8
        .value_kind:     hidden_global_offset_x
      - .offset:         88
        .size:           8
        .value_kind:     hidden_global_offset_y
      - .offset:         96
        .size:           8
        .value_kind:     hidden_global_offset_z
      - .offset:         104
        .size:           2
        .value_kind:     hidden_grid_dims
    .group_segment_fixed_size: 0
    .kernarg_segment_align: 8
    .kernarg_segment_size: 296
    .language:       OpenCL C
    .language_version:
      - 2
      - 0
    .max_flat_workgroup_size: 1024
    .name:           _ZN9rocsolver6v33100L8set_zeroIfPKPfEEviiT0_iil13rocblas_fill_
    .private_segment_fixed_size: 0
    .sgpr_count:     14
    .sgpr_spill_count: 0
    .symbol:         _ZN9rocsolver6v33100L8set_zeroIfPKPfEEviiT0_iil13rocblas_fill_.kd
    .uniform_work_group_size: 1
    .uses_dynamic_stack: false
    .vgpr_count:     4
    .vgpr_spill_count: 0
    .wavefront_size: 64
  - .agpr_count:     0
    .args:
      - .offset:         0
        .size:           4
        .value_kind:     by_value
      - .offset:         4
        .size:           4
        .value_kind:     by_value
      - .offset:         8
        .size:           4
        .value_kind:     by_value
      - .address_space:  global
        .offset:         16
        .size:           8
        .value_kind:     global_buffer
      - .offset:         24
        .size:           4
        .value_kind:     by_value
      - .offset:         28
        .size:           4
        .value_kind:     by_value
      - .offset:         32
        .size:           8
        .value_kind:     by_value
      - .offset:         40
        .size:           4
        .value_kind:     hidden_block_count_x
      - .offset:         44
        .size:           4
        .value_kind:     hidden_block_count_y
      - .offset:         48
        .size:           4
        .value_kind:     hidden_block_count_z
      - .offset:         52
        .size:           2
        .value_kind:     hidden_group_size_x
      - .offset:         54
        .size:           2
        .value_kind:     hidden_group_size_y
      - .offset:         56
        .size:           2
        .value_kind:     hidden_group_size_z
      - .offset:         58
        .size:           2
        .value_kind:     hidden_remainder_x
      - .offset:         60
        .size:           2
        .value_kind:     hidden_remainder_y
      - .offset:         62
        .size:           2
        .value_kind:     hidden_remainder_z
      - .offset:         80
        .size:           8
        .value_kind:     hidden_global_offset_x
      - .offset:         88
        .size:           8
        .value_kind:     hidden_global_offset_y
      - .offset:         96
        .size:           8
        .value_kind:     hidden_global_offset_z
      - .offset:         104
        .size:           2
        .value_kind:     hidden_grid_dims
    .group_segment_fixed_size: 0
    .kernarg_segment_align: 8
    .kernarg_segment_size: 296
    .language:       OpenCL C
    .language_version:
      - 2
      - 0
    .max_flat_workgroup_size: 1024
    .name:           _ZN9rocsolver6v33100L16org2r_init_identIfPKPfEEviiiT0_iil
    .private_segment_fixed_size: 0
    .sgpr_count:     20
    .sgpr_spill_count: 0
    .symbol:         _ZN9rocsolver6v33100L16org2r_init_identIfPKPfEEviiiT0_iil.kd
    .uniform_work_group_size: 1
    .uses_dynamic_stack: false
    .vgpr_count:     6
    .vgpr_spill_count: 0
    .wavefront_size: 64
  - .agpr_count:     0
    .args:
      - .offset:         0
        .size:           4
        .value_kind:     by_value
      - .offset:         4
        .size:           4
        .value_kind:     by_value
      - .address_space:  global
        .offset:         8
        .size:           8
        .value_kind:     global_buffer
      - .offset:         16
        .size:           4
        .value_kind:     by_value
      - .offset:         20
        .size:           4
        .value_kind:     by_value
      - .offset:         24
        .size:           8
        .value_kind:     by_value
      - .address_space:  global
        .offset:         32
        .size:           8
        .value_kind:     global_buffer
      - .offset:         40
        .size:           8
        .value_kind:     by_value
    .group_segment_fixed_size: 0
    .kernarg_segment_align: 8
    .kernarg_segment_size: 48
    .language:       OpenCL C
    .language_version:
      - 2
      - 0
    .max_flat_workgroup_size: 1024
    .name:           _ZN9rocsolver6v33100L12subtract_tauIfPKPfEEviiT0_iilPT_l
    .private_segment_fixed_size: 0
    .sgpr_count:     20
    .sgpr_spill_count: 0
    .symbol:         _ZN9rocsolver6v33100L12subtract_tauIfPKPfEEviiT0_iilPT_l.kd
    .uniform_work_group_size: 1
    .uses_dynamic_stack: false
    .vgpr_count:     2
    .vgpr_spill_count: 0
    .wavefront_size: 64
  - .agpr_count:     0
    .args:
      - .offset:         0
        .size:           4
        .value_kind:     by_value
      - .address_space:  global
        .offset:         8
        .size:           8
        .value_kind:     global_buffer
      - .offset:         16
        .size:           8
        .value_kind:     by_value
      - .offset:         24
        .size:           4
        .value_kind:     hidden_block_count_x
      - .offset:         28
        .size:           4
        .value_kind:     hidden_block_count_y
      - .offset:         32
        .size:           4
        .value_kind:     hidden_block_count_z
      - .offset:         36
        .size:           2
        .value_kind:     hidden_group_size_x
      - .offset:         38
        .size:           2
        .value_kind:     hidden_group_size_y
      - .offset:         40
        .size:           2
        .value_kind:     hidden_group_size_z
      - .offset:         42
        .size:           2
        .value_kind:     hidden_remainder_x
      - .offset:         44
        .size:           2
        .value_kind:     hidden_remainder_y
      - .offset:         46
        .size:           2
        .value_kind:     hidden_remainder_z
      - .offset:         64
        .size:           8
        .value_kind:     hidden_global_offset_x
      - .offset:         72
        .size:           8
        .value_kind:     hidden_global_offset_y
      - .offset:         80
        .size:           8
        .value_kind:     hidden_global_offset_z
      - .offset:         88
        .size:           2
        .value_kind:     hidden_grid_dims
    .group_segment_fixed_size: 0
    .kernarg_segment_align: 8
    .kernarg_segment_size: 280
    .language:       OpenCL C
    .language_version:
      - 2
      - 0
    .max_flat_workgroup_size: 1024
    .name:           _ZN9rocsolver6v33100L6restauIfEEviPT_l
    .private_segment_fixed_size: 0
    .sgpr_count:     12
    .sgpr_spill_count: 0
    .symbol:         _ZN9rocsolver6v33100L6restauIfEEviPT_l.kd
    .uniform_work_group_size: 1
    .uses_dynamic_stack: false
    .vgpr_count:     3
    .vgpr_spill_count: 0
    .wavefront_size: 64
  - .agpr_count:     0
    .args:
      - .offset:         0
        .size:           1
        .value_kind:     by_value
      - .offset:         4
        .size:           4
        .value_kind:     by_value
      - .address_space:  global
        .offset:         8
        .size:           8
        .value_kind:     global_buffer
      - .offset:         16
        .size:           4
        .value_kind:     by_value
      - .offset:         20
        .size:           4
        .value_kind:     by_value
      - .offset:         24
        .size:           8
        .value_kind:     by_value
      - .address_space:  global
        .offset:         32
        .size:           8
        .value_kind:     global_buffer
      - .offset:         40
        .size:           4
        .value_kind:     by_value
      - .offset:         44
        .size:           4
        .value_kind:     by_value
      - .offset:         48
        .size:           8
        .value_kind:     by_value
      - .offset:         56
        .size:           4
        .value_kind:     hidden_block_count_x
      - .offset:         60
        .size:           4
        .value_kind:     hidden_block_count_y
      - .offset:         64
        .size:           4
        .value_kind:     hidden_block_count_z
      - .offset:         68
        .size:           2
        .value_kind:     hidden_group_size_x
      - .offset:         70
        .size:           2
        .value_kind:     hidden_group_size_y
      - .offset:         72
        .size:           2
        .value_kind:     hidden_group_size_z
      - .offset:         74
        .size:           2
        .value_kind:     hidden_remainder_x
      - .offset:         76
        .size:           2
        .value_kind:     hidden_remainder_y
      - .offset:         78
        .size:           2
        .value_kind:     hidden_remainder_z
      - .offset:         96
        .size:           8
        .value_kind:     hidden_global_offset_x
      - .offset:         104
        .size:           8
        .value_kind:     hidden_global_offset_y
      - .offset:         112
        .size:           8
        .value_kind:     hidden_global_offset_z
      - .offset:         120
        .size:           2
        .value_kind:     hidden_grid_dims
    .group_segment_fixed_size: 0
    .kernarg_segment_align: 8
    .kernarg_segment_size: 312
    .language:       OpenCL C
    .language_version:
      - 2
      - 0
    .max_flat_workgroup_size: 1024
    .name:           _ZN9rocsolver6v33100L15copyshift_rightIfPKPfEEvbiT0_iilPT_iil
    .private_segment_fixed_size: 0
    .sgpr_count:     21
    .sgpr_spill_count: 0
    .symbol:         _ZN9rocsolver6v33100L15copyshift_rightIfPKPfEEvbiT0_iilPT_iil.kd
    .uniform_work_group_size: 1
    .uses_dynamic_stack: false
    .vgpr_count:     8
    .vgpr_spill_count: 0
    .wavefront_size: 64
  - .agpr_count:     0
    .args:
      - .offset:         0
        .size:           4
        .value_kind:     by_value
      - .offset:         4
        .size:           4
        .value_kind:     by_value
      - .offset:         8
        .size:           4
        .value_kind:     by_value
      - .address_space:  global
        .offset:         16
        .size:           8
        .value_kind:     global_buffer
      - .offset:         24
        .size:           4
        .value_kind:     by_value
      - .offset:         28
        .size:           4
        .value_kind:     by_value
      - .offset:         32
        .size:           8
        .value_kind:     by_value
      - .offset:         40
        .size:           4
        .value_kind:     hidden_block_count_x
      - .offset:         44
        .size:           4
        .value_kind:     hidden_block_count_y
      - .offset:         48
        .size:           4
        .value_kind:     hidden_block_count_z
      - .offset:         52
        .size:           2
        .value_kind:     hidden_group_size_x
      - .offset:         54
        .size:           2
        .value_kind:     hidden_group_size_y
      - .offset:         56
        .size:           2
        .value_kind:     hidden_group_size_z
      - .offset:         58
        .size:           2
        .value_kind:     hidden_remainder_x
      - .offset:         60
        .size:           2
        .value_kind:     hidden_remainder_y
      - .offset:         62
        .size:           2
        .value_kind:     hidden_remainder_z
      - .offset:         80
        .size:           8
        .value_kind:     hidden_global_offset_x
      - .offset:         88
        .size:           8
        .value_kind:     hidden_global_offset_y
      - .offset:         96
        .size:           8
        .value_kind:     hidden_global_offset_z
      - .offset:         104
        .size:           2
        .value_kind:     hidden_grid_dims
    .group_segment_fixed_size: 0
    .kernarg_segment_align: 8
    .kernarg_segment_size: 296
    .language:       OpenCL C
    .language_version:
      - 2
      - 0
    .max_flat_workgroup_size: 1024
    .name:           _ZN9rocsolver6v33100L16orgl2_init_identIfPKPfEEviiiT0_iil
    .private_segment_fixed_size: 0
    .sgpr_count:     20
    .sgpr_spill_count: 0
    .symbol:         _ZN9rocsolver6v33100L16orgl2_init_identIfPKPfEEviiiT0_iil.kd
    .uniform_work_group_size: 1
    .uses_dynamic_stack: false
    .vgpr_count:     6
    .vgpr_spill_count: 0
    .wavefront_size: 64
  - .agpr_count:     0
    .args:
      - .offset:         0
        .size:           1
        .value_kind:     by_value
      - .offset:         4
        .size:           4
        .value_kind:     by_value
      - .address_space:  global
        .offset:         8
        .size:           8
        .value_kind:     global_buffer
      - .offset:         16
        .size:           4
        .value_kind:     by_value
      - .offset:         20
        .size:           4
        .value_kind:     by_value
      - .offset:         24
        .size:           8
        .value_kind:     by_value
      - .address_space:  global
        .offset:         32
        .size:           8
        .value_kind:     global_buffer
      - .offset:         40
        .size:           4
        .value_kind:     by_value
      - .offset:         44
        .size:           4
        .value_kind:     by_value
      - .offset:         48
        .size:           8
        .value_kind:     by_value
      - .offset:         56
        .size:           4
        .value_kind:     hidden_block_count_x
      - .offset:         60
        .size:           4
        .value_kind:     hidden_block_count_y
      - .offset:         64
        .size:           4
        .value_kind:     hidden_block_count_z
      - .offset:         68
        .size:           2
        .value_kind:     hidden_group_size_x
      - .offset:         70
        .size:           2
        .value_kind:     hidden_group_size_y
      - .offset:         72
        .size:           2
        .value_kind:     hidden_group_size_z
      - .offset:         74
        .size:           2
        .value_kind:     hidden_remainder_x
      - .offset:         76
        .size:           2
        .value_kind:     hidden_remainder_y
      - .offset:         78
        .size:           2
        .value_kind:     hidden_remainder_z
      - .offset:         96
        .size:           8
        .value_kind:     hidden_global_offset_x
      - .offset:         104
        .size:           8
        .value_kind:     hidden_global_offset_y
      - .offset:         112
        .size:           8
        .value_kind:     hidden_global_offset_z
      - .offset:         120
        .size:           2
        .value_kind:     hidden_grid_dims
    .group_segment_fixed_size: 0
    .kernarg_segment_align: 8
    .kernarg_segment_size: 312
    .language:       OpenCL C
    .language_version:
      - 2
      - 0
    .max_flat_workgroup_size: 1024
    .name:           _ZN9rocsolver6v33100L14copyshift_downIfPKPfEEvbiT0_iilPT_iil
    .private_segment_fixed_size: 0
    .sgpr_count:     21
    .sgpr_spill_count: 0
    .symbol:         _ZN9rocsolver6v33100L14copyshift_downIfPKPfEEvbiT0_iilPT_iil.kd
    .uniform_work_group_size: 1
    .uses_dynamic_stack: false
    .vgpr_count:     10
    .vgpr_spill_count: 0
    .wavefront_size: 64
  - .agpr_count:     0
    .args:
      - .address_space:  global
        .offset:         0
        .size:           8
        .value_kind:     global_buffer
      - .offset:         8
        .size:           4
        .value_kind:     by_value
      - .offset:         12
        .size:           4
        .value_kind:     by_value
      - .offset:         16
        .size:           4
        .value_kind:     by_value
      - .offset:         24
        .size:           4
        .value_kind:     hidden_block_count_x
      - .offset:         28
        .size:           4
        .value_kind:     hidden_block_count_y
      - .offset:         32
        .size:           4
        .value_kind:     hidden_block_count_z
      - .offset:         36
        .size:           2
        .value_kind:     hidden_group_size_x
      - .offset:         38
        .size:           2
        .value_kind:     hidden_group_size_y
      - .offset:         40
        .size:           2
        .value_kind:     hidden_group_size_z
      - .offset:         42
        .size:           2
        .value_kind:     hidden_remainder_x
      - .offset:         44
        .size:           2
        .value_kind:     hidden_remainder_y
      - .offset:         46
        .size:           2
        .value_kind:     hidden_remainder_z
      - .offset:         64
        .size:           8
        .value_kind:     hidden_global_offset_x
      - .offset:         72
        .size:           8
        .value_kind:     hidden_global_offset_y
      - .offset:         80
        .size:           8
        .value_kind:     hidden_global_offset_z
      - .offset:         88
        .size:           2
        .value_kind:     hidden_grid_dims
    .group_segment_fixed_size: 0
    .kernarg_segment_align: 8
    .kernarg_segment_size: 280
    .language:       OpenCL C
    .language_version:
      - 2
      - 0
    .max_flat_workgroup_size: 1024
    .name:           _ZN9rocsolver6v33100L10reset_infoIiiiEEvPT_T0_T1_S4_
    .private_segment_fixed_size: 0
    .sgpr_count:     12
    .sgpr_spill_count: 0
    .symbol:         _ZN9rocsolver6v33100L10reset_infoIiiiEEvPT_T0_T1_S4_.kd
    .uniform_work_group_size: 1
    .uses_dynamic_stack: false
    .vgpr_count:     4
    .vgpr_spill_count: 0
    .wavefront_size: 64
  - .agpr_count:     0
    .args:
      - .offset:         0
        .size:           4
        .value_kind:     by_value
      - .address_space:  global
        .offset:         8
        .size:           8
        .value_kind:     global_buffer
      - .offset:         16
        .size:           8
        .value_kind:     by_value
      - .address_space:  global
        .offset:         24
        .size:           8
        .value_kind:     global_buffer
      - .offset:         32
        .size:           8
        .value_kind:     by_value
      - .address_space:  global
        .offset:         40
        .size:           8
        .value_kind:     global_buffer
      - .offset:         48
        .size:           4
        .value_kind:     by_value
      - .offset:         52
        .size:           4
        .value_kind:     by_value
      - .offset:         56
        .size:           4
        .value_kind:     by_value
      - .address_space:  global
        .offset:         64
        .size:           8
        .value_kind:     global_buffer
      - .address_space:  global
        .offset:         72
        .size:           8
        .value_kind:     global_buffer
      - .offset:         80
        .size:           8
        .value_kind:     by_value
      - .address_space:  global
        .offset:         88
        .size:           8
        .value_kind:     global_buffer
    .group_segment_fixed_size: 0
    .kernarg_segment_align: 8
    .kernarg_segment_size: 96
    .language:       OpenCL C
    .language_version:
      - 2
      - 0
    .max_flat_workgroup_size: 1024
    .name:           _ZN9rocsolver6v33100L10bdsqr_initIffEEviPT0_lS3_lPiiS2_S2_S4_S3_lS4_
    .private_segment_fixed_size: 0
    .sgpr_count:     40
    .sgpr_spill_count: 0
    .symbol:         _ZN9rocsolver6v33100L10bdsqr_initIffEEviPT0_lS3_lPiiS2_S2_S4_S3_lS4_.kd
    .uniform_work_group_size: 1
    .uses_dynamic_stack: false
    .vgpr_count:     12
    .vgpr_spill_count: 0
    .wavefront_size: 64
  - .agpr_count:     0
    .args:
      - .offset:         0
        .size:           4
        .value_kind:     by_value
      - .address_space:  global
        .offset:         8
        .size:           8
        .value_kind:     global_buffer
      - .offset:         16
        .size:           4
        .value_kind:     by_value
      - .address_space:  global
        .offset:         24
        .size:           8
        .value_kind:     global_buffer
      - .offset:         32
        .size:           4
        .value_kind:     by_value
      - .offset:         40
        .size:           4
        .value_kind:     hidden_block_count_x
      - .offset:         44
        .size:           4
        .value_kind:     hidden_block_count_y
      - .offset:         48
        .size:           4
        .value_kind:     hidden_block_count_z
      - .offset:         52
        .size:           2
        .value_kind:     hidden_group_size_x
      - .offset:         54
        .size:           2
        .value_kind:     hidden_group_size_y
      - .offset:         56
        .size:           2
        .value_kind:     hidden_group_size_z
      - .offset:         58
        .size:           2
        .value_kind:     hidden_remainder_x
      - .offset:         60
        .size:           2
        .value_kind:     hidden_remainder_y
      - .offset:         62
        .size:           2
        .value_kind:     hidden_remainder_z
      - .offset:         80
        .size:           8
        .value_kind:     hidden_global_offset_x
      - .offset:         88
        .size:           8
        .value_kind:     hidden_global_offset_y
      - .offset:         96
        .size:           8
        .value_kind:     hidden_global_offset_z
      - .offset:         104
        .size:           2
        .value_kind:     hidden_grid_dims
    .group_segment_fixed_size: 0
    .kernarg_segment_align: 8
    .kernarg_segment_size: 296
    .language:       OpenCL C
    .language_version:
      - 2
      - 0
    .max_flat_workgroup_size: 1024
    .name:           _ZN9rocsolver6v33100L11swap_kernelIfiEEvT0_PT_S2_S4_S2_
    .private_segment_fixed_size: 0
    .sgpr_count:     21
    .sgpr_spill_count: 0
    .symbol:         _ZN9rocsolver6v33100L11swap_kernelIfiEEvT0_PT_S2_S4_S2_.kd
    .uniform_work_group_size: 1
    .uses_dynamic_stack: false
    .vgpr_count:     12
    .vgpr_spill_count: 0
    .wavefront_size: 64
  - .agpr_count:     0
    .args:
      - .offset:         0
        .size:           4
        .value_kind:     by_value
      - .address_space:  global
        .offset:         8
        .size:           8
        .value_kind:     global_buffer
      - .offset:         16
        .size:           4
        .value_kind:     by_value
      - .address_space:  global
        .offset:         24
        .size:           8
        .value_kind:     global_buffer
      - .offset:         32
        .size:           4
        .value_kind:     by_value
      - .offset:         36
        .size:           4
        .value_kind:     by_value
      - .offset:         40
        .size:           4
        .value_kind:     by_value
      - .offset:         48
        .size:           4
        .value_kind:     hidden_block_count_x
      - .offset:         52
        .size:           4
        .value_kind:     hidden_block_count_y
      - .offset:         56
        .size:           4
        .value_kind:     hidden_block_count_z
      - .offset:         60
        .size:           2
        .value_kind:     hidden_group_size_x
      - .offset:         62
        .size:           2
        .value_kind:     hidden_group_size_y
      - .offset:         64
        .size:           2
        .value_kind:     hidden_group_size_z
      - .offset:         66
        .size:           2
        .value_kind:     hidden_remainder_x
      - .offset:         68
        .size:           2
        .value_kind:     hidden_remainder_y
      - .offset:         70
        .size:           2
        .value_kind:     hidden_remainder_z
      - .offset:         88
        .size:           8
        .value_kind:     hidden_global_offset_x
      - .offset:         96
        .size:           8
        .value_kind:     hidden_global_offset_y
      - .offset:         104
        .size:           8
        .value_kind:     hidden_global_offset_z
      - .offset:         112
        .size:           2
        .value_kind:     hidden_grid_dims
    .group_segment_fixed_size: 0
    .kernarg_segment_align: 8
    .kernarg_segment_size: 304
    .language:       OpenCL C
    .language_version:
      - 2
      - 0
    .max_flat_workgroup_size: 1024
    .name:           _ZN9rocsolver6v33100L10rot_kernelIffiEEvT1_PT0_S2_S4_S2_T_S5_
    .private_segment_fixed_size: 0
    .sgpr_count:     25
    .sgpr_spill_count: 0
    .symbol:         _ZN9rocsolver6v33100L10rot_kernelIffiEEvT1_PT0_S2_S4_S2_T_S5_.kd
    .uniform_work_group_size: 1
    .uses_dynamic_stack: false
    .vgpr_count:     14
    .vgpr_spill_count: 0
    .wavefront_size: 64
  - .agpr_count:     0
    .args:
      - .offset:         0
        .size:           4
        .value_kind:     by_value
      - .offset:         4
        .size:           4
        .value_kind:     by_value
      - .offset:         8
        .size:           4
        .value_kind:     by_value
      - .offset:         12
        .size:           4
        .value_kind:     by_value
      - .offset:         16
        .size:           4
        .value_kind:     by_value
      - .address_space:  global
        .offset:         24
        .size:           8
        .value_kind:     global_buffer
      - .offset:         32
        .size:           8
        .value_kind:     by_value
      - .address_space:  global
        .offset:         40
        .size:           8
        .value_kind:     global_buffer
      - .offset:         48
        .size:           8
        .value_kind:     by_value
      - .address_space:  global
        .offset:         56
        .size:           8
        .value_kind:     global_buffer
      - .offset:         64
        .size:           8
        .value_kind:     by_value
      - .offset:         72
        .size:           4
        .value_kind:     by_value
      - .offset:         80
        .size:           8
        .value_kind:     by_value
      - .offset:         88
        .size:           4
        .value_kind:     by_value
      - .offset:         96
        .size:           4
        .value_kind:     hidden_block_count_x
      - .offset:         100
        .size:           4
        .value_kind:     hidden_block_count_y
      - .offset:         104
        .size:           4
        .value_kind:     hidden_block_count_z
      - .offset:         108
        .size:           2
        .value_kind:     hidden_group_size_x
      - .offset:         110
        .size:           2
        .value_kind:     hidden_group_size_y
      - .offset:         112
        .size:           2
        .value_kind:     hidden_group_size_z
      - .offset:         114
        .size:           2
        .value_kind:     hidden_remainder_x
      - .offset:         116
        .size:           2
        .value_kind:     hidden_remainder_y
      - .offset:         118
        .size:           2
        .value_kind:     hidden_remainder_z
      - .offset:         136
        .size:           8
        .value_kind:     hidden_global_offset_x
      - .offset:         144
        .size:           8
        .value_kind:     hidden_global_offset_y
      - .offset:         152
        .size:           8
        .value_kind:     hidden_global_offset_z
      - .offset:         160
        .size:           2
        .value_kind:     hidden_grid_dims
    .group_segment_fixed_size: 0
    .kernarg_segment_align: 8
    .kernarg_segment_size: 352
    .language:       OpenCL C
    .language_version:
      - 2
      - 0
    .max_flat_workgroup_size: 64
    .name:           _ZN9rocsolver6v33100L11lasr_kernelIffPfiEEv13rocblas_side_14rocblas_pivot_15rocblas_direct_T2_S6_PT0_lS8_lT1_lS6_lS6_
    .private_segment_fixed_size: 0
    .sgpr_count:     100
    .sgpr_spill_count: 10
    .symbol:         _ZN9rocsolver6v33100L11lasr_kernelIffPfiEEv13rocblas_side_14rocblas_pivot_15rocblas_direct_T2_S6_PT0_lS8_lT1_lS6_lS6_.kd
    .uniform_work_group_size: 1
    .uses_dynamic_stack: false
    .vgpr_count:     43
    .vgpr_spill_count: 0
    .wavefront_size: 64
  - .agpr_count:     0
    .args:
      - .offset:         0
        .size:           4
        .value_kind:     by_value
      - .offset:         4
        .size:           4
        .value_kind:     by_value
      - .address_space:  global
        .offset:         8
        .size:           8
        .value_kind:     global_buffer
      - .offset:         16
        .size:           4
        .value_kind:     by_value
      - .offset:         24
        .size:           4
        .value_kind:     hidden_block_count_x
      - .offset:         28
        .size:           4
        .value_kind:     hidden_block_count_y
      - .offset:         32
        .size:           4
        .value_kind:     hidden_block_count_z
      - .offset:         36
        .size:           2
        .value_kind:     hidden_group_size_x
      - .offset:         38
        .size:           2
        .value_kind:     hidden_group_size_y
      - .offset:         40
        .size:           2
        .value_kind:     hidden_group_size_z
      - .offset:         42
        .size:           2
        .value_kind:     hidden_remainder_x
      - .offset:         44
        .size:           2
        .value_kind:     hidden_remainder_y
      - .offset:         46
        .size:           2
        .value_kind:     hidden_remainder_z
      - .offset:         64
        .size:           8
        .value_kind:     hidden_global_offset_x
      - .offset:         72
        .size:           8
        .value_kind:     hidden_global_offset_y
      - .offset:         80
        .size:           8
        .value_kind:     hidden_global_offset_z
      - .offset:         88
        .size:           2
        .value_kind:     hidden_grid_dims
    .group_segment_fixed_size: 0
    .kernarg_segment_align: 8
    .kernarg_segment_size: 280
    .language:       OpenCL C
    .language_version:
      - 2
      - 0
    .max_flat_workgroup_size: 1024
    .name:           _ZN9rocsolver6v33100L11scal_kernelIffiEEvT1_T_PT0_S2_
    .private_segment_fixed_size: 0
    .sgpr_count:     18
    .sgpr_spill_count: 0
    .symbol:         _ZN9rocsolver6v33100L11scal_kernelIffiEEvT1_T_PT0_S2_.kd
    .uniform_work_group_size: 1
    .uses_dynamic_stack: false
    .vgpr_count:     6
    .vgpr_spill_count: 0
    .wavefront_size: 64
  - .agpr_count:     0
    .args:
      - .offset:         0
        .size:           4
        .value_kind:     by_value
      - .offset:         4
        .size:           4
        .value_kind:     by_value
      - .offset:         8
        .size:           4
        .value_kind:     by_value
      - .address_space:  global
        .offset:         16
        .size:           8
        .value_kind:     global_buffer
      - .offset:         24
        .size:           8
        .value_kind:     by_value
      - .address_space:  global
        .offset:         32
        .size:           8
        .value_kind:     global_buffer
      - .offset:         40
        .size:           8
        .value_kind:     by_value
      - .address_space:  global
        .offset:         48
        .size:           8
        .value_kind:     global_buffer
      - .offset:         56
        .size:           4
        .value_kind:     by_value
      - .offset:         60
        .size:           4
        .value_kind:     by_value
      - .offset:         64
        .size:           8
        .value_kind:     by_value
      - .address_space:  global
        .offset:         72
        .size:           8
        .value_kind:     global_buffer
      - .offset:         80
        .size:           4
        .value_kind:     by_value
      - .offset:         84
        .size:           4
        .value_kind:     by_value
      - .offset:         88
        .size:           8
        .value_kind:     by_value
      - .address_space:  global
        .offset:         96
        .size:           8
        .value_kind:     global_buffer
      - .address_space:  global
        .offset:         104
        .size:           8
        .value_kind:     global_buffer
      - .offset:         112
        .size:           8
        .value_kind:     by_value
      - .address_space:  global
        .offset:         120
        .size:           8
        .value_kind:     global_buffer
      - .offset:         128
        .size:           4
        .value_kind:     hidden_block_count_x
      - .offset:         132
        .size:           4
        .value_kind:     hidden_block_count_y
      - .offset:         136
        .size:           4
        .value_kind:     hidden_block_count_z
      - .offset:         140
        .size:           2
        .value_kind:     hidden_group_size_x
      - .offset:         142
        .size:           2
        .value_kind:     hidden_group_size_y
      - .offset:         144
        .size:           2
        .value_kind:     hidden_group_size_z
      - .offset:         146
        .size:           2
        .value_kind:     hidden_remainder_x
      - .offset:         148
        .size:           2
        .value_kind:     hidden_remainder_y
      - .offset:         150
        .size:           2
        .value_kind:     hidden_remainder_z
      - .offset:         168
        .size:           8
        .value_kind:     hidden_global_offset_x
      - .offset:         176
        .size:           8
        .value_kind:     hidden_global_offset_y
      - .offset:         184
        .size:           8
        .value_kind:     hidden_global_offset_z
      - .offset:         192
        .size:           2
        .value_kind:     hidden_grid_dims
    .group_segment_fixed_size: 0
    .kernarg_segment_align: 8
    .kernarg_segment_size: 384
    .language:       OpenCL C
    .language_version:
      - 2
      - 0
    .max_flat_workgroup_size: 1024
    .name:           _ZN9rocsolver6v33100L17bdsqr_lower2upperIffPfPKS2_EEviiiPT0_lS6_lT1_iilT2_iilPiS6_lS9_
    .private_segment_fixed_size: 0
    .sgpr_count:     40
    .sgpr_spill_count: 0
    .symbol:         _ZN9rocsolver6v33100L17bdsqr_lower2upperIffPfPKS2_EEviiiPT0_lS6_lT1_iilT2_iilPiS6_lS9_.kd
    .uniform_work_group_size: 1
    .uses_dynamic_stack: false
    .vgpr_count:     16
    .vgpr_spill_count: 0
    .wavefront_size: 64
  - .agpr_count:     0
    .args:
      - .offset:         0
        .size:           4
        .value_kind:     by_value
      - .offset:         4
        .size:           4
        .value_kind:     by_value
      - .offset:         8
        .size:           4
        .value_kind:     by_value
      - .offset:         12
        .size:           4
        .value_kind:     by_value
      - .address_space:  global
        .offset:         16
        .size:           8
        .value_kind:     global_buffer
      - .offset:         24
        .size:           8
        .value_kind:     by_value
      - .address_space:  global
        .offset:         32
        .size:           8
        .value_kind:     global_buffer
      - .offset:         40
        .size:           8
        .value_kind:     by_value
      - .address_space:  global
        .offset:         48
        .size:           8
        .value_kind:     global_buffer
      - .offset:         56
        .size:           4
        .value_kind:     by_value
      - .offset:         60
        .size:           4
        .value_kind:     by_value
      - .offset:         64
        .size:           8
        .value_kind:     by_value
      - .address_space:  global
        .offset:         72
        .size:           8
        .value_kind:     global_buffer
      - .offset:         80
        .size:           4
        .value_kind:     by_value
      - .offset:         84
        .size:           4
        .value_kind:     by_value
      - .offset:         88
        .size:           8
        .value_kind:     by_value
      - .address_space:  global
        .offset:         96
        .size:           8
        .value_kind:     global_buffer
      - .offset:         104
        .size:           4
        .value_kind:     by_value
      - .offset:         108
        .size:           4
        .value_kind:     by_value
      - .offset:         112
        .size:           8
        .value_kind:     by_value
      - .offset:         120
        .size:           4
        .value_kind:     by_value
      - .offset:         124
        .size:           4
        .value_kind:     by_value
      - .offset:         128
        .size:           4
        .value_kind:     by_value
      - .offset:         132
        .size:           4
        .value_kind:     by_value
      - .offset:         136
        .size:           4
        .value_kind:     by_value
      - .address_space:  global
        .offset:         144
        .size:           8
        .value_kind:     global_buffer
      - .address_space:  global
        .offset:         152
        .size:           8
        .value_kind:     global_buffer
      - .offset:         160
        .size:           4
        .value_kind:     by_value
      - .offset:         168
        .size:           8
        .value_kind:     by_value
      - .address_space:  global
        .offset:         176
        .size:           8
        .value_kind:     global_buffer
      - .offset:         184
        .size:           4
        .value_kind:     hidden_block_count_x
      - .offset:         188
        .size:           4
        .value_kind:     hidden_block_count_y
      - .offset:         192
        .size:           4
        .value_kind:     hidden_block_count_z
      - .offset:         196
        .size:           2
        .value_kind:     hidden_group_size_x
      - .offset:         198
        .size:           2
        .value_kind:     hidden_group_size_y
      - .offset:         200
        .size:           2
        .value_kind:     hidden_group_size_z
      - .offset:         202
        .size:           2
        .value_kind:     hidden_remainder_x
      - .offset:         204
        .size:           2
        .value_kind:     hidden_remainder_y
      - .offset:         206
        .size:           2
        .value_kind:     hidden_remainder_z
      - .offset:         224
        .size:           8
        .value_kind:     hidden_global_offset_x
      - .offset:         232
        .size:           8
        .value_kind:     hidden_global_offset_y
      - .offset:         240
        .size:           8
        .value_kind:     hidden_global_offset_z
      - .offset:         248
        .size:           2
        .value_kind:     hidden_grid_dims
    .group_segment_fixed_size: 1040
    .kernarg_segment_align: 8
    .kernarg_segment_size: 440
    .language:       OpenCL C
    .language_version:
      - 2
      - 0
    .max_flat_workgroup_size: 1024
    .name:           _ZN9rocsolver6v33100L13bdsqr_computeILi256EffPKPfS2_S4_EEviiiiPT1_lS6_lT2_iilT3_iilT4_iiliS5_S5_S5_S5_PiS6_ilSA_
    .private_segment_fixed_size: 0
    .sgpr_count:     100
    .sgpr_spill_count: 27
    .symbol:         _ZN9rocsolver6v33100L13bdsqr_computeILi256EffPKPfS2_S4_EEviiiiPT1_lS6_lT2_iilT3_iilT4_iiliS5_S5_S5_S5_PiS6_ilSA_.kd
    .uniform_work_group_size: 1
    .uses_dynamic_stack: false
    .vgpr_count:     32
    .vgpr_spill_count: 0
    .wavefront_size: 64
  - .agpr_count:     0
    .args:
      - .offset:         0
        .size:           4
        .value_kind:     by_value
      - .offset:         4
        .size:           4
        .value_kind:     by_value
      - .offset:         8
        .size:           4
        .value_kind:     by_value
      - .offset:         12
        .size:           4
        .value_kind:     by_value
      - .address_space:  global
        .offset:         16
        .size:           8
        .value_kind:     global_buffer
      - .offset:         24
        .size:           4
        .value_kind:     by_value
      - .offset:         28
        .size:           4
        .value_kind:     by_value
      - .offset:         32
        .size:           8
        .value_kind:     by_value
      - .address_space:  global
        .offset:         40
        .size:           8
        .value_kind:     global_buffer
      - .offset:         48
        .size:           4
        .value_kind:     by_value
      - .offset:         52
        .size:           4
        .value_kind:     by_value
      - .offset:         56
        .size:           8
        .value_kind:     by_value
      - .address_space:  global
        .offset:         64
        .size:           8
        .value_kind:     global_buffer
      - .offset:         72
        .size:           4
        .value_kind:     by_value
      - .offset:         76
        .size:           4
        .value_kind:     by_value
      - .offset:         80
        .size:           8
        .value_kind:     by_value
      - .offset:         88
        .size:           4
        .value_kind:     by_value
      - .address_space:  global
        .offset:         96
        .size:           8
        .value_kind:     global_buffer
      - .address_space:  global
        .offset:         104
        .size:           8
        .value_kind:     global_buffer
      - .offset:         112
        .size:           4
        .value_kind:     by_value
      - .offset:         120
        .size:           8
        .value_kind:     by_value
      - .address_space:  global
        .offset:         128
        .size:           8
        .value_kind:     global_buffer
      - .offset:         136
        .size:           4
        .value_kind:     hidden_block_count_x
      - .offset:         140
        .size:           4
        .value_kind:     hidden_block_count_y
      - .offset:         144
        .size:           4
        .value_kind:     hidden_block_count_z
      - .offset:         148
        .size:           2
        .value_kind:     hidden_group_size_x
      - .offset:         150
        .size:           2
        .value_kind:     hidden_group_size_y
      - .offset:         152
        .size:           2
        .value_kind:     hidden_group_size_z
      - .offset:         154
        .size:           2
        .value_kind:     hidden_remainder_x
      - .offset:         156
        .size:           2
        .value_kind:     hidden_remainder_y
      - .offset:         158
        .size:           2
        .value_kind:     hidden_remainder_z
      - .offset:         176
        .size:           8
        .value_kind:     hidden_global_offset_x
      - .offset:         184
        .size:           8
        .value_kind:     hidden_global_offset_y
      - .offset:         192
        .size:           8
        .value_kind:     hidden_global_offset_z
      - .offset:         200
        .size:           2
        .value_kind:     hidden_grid_dims
    .group_segment_fixed_size: 0
    .kernarg_segment_align: 8
    .kernarg_segment_size: 392
    .language:       OpenCL C
    .language_version:
      - 2
      - 0
    .max_flat_workgroup_size: 1024
    .name:           _ZN9rocsolver6v33100L12bdsqr_rotateIffPKPfS2_S4_EEviiiiT1_iilT2_iilT3_iiliPiPT0_ilS8_
    .private_segment_fixed_size: 0
    .sgpr_count:     54
    .sgpr_spill_count: 0
    .symbol:         _ZN9rocsolver6v33100L12bdsqr_rotateIffPKPfS2_S4_EEviiiiT1_iilT2_iilT3_iiliPiPT0_ilS8_.kd
    .uniform_work_group_size: 1
    .uses_dynamic_stack: false
    .vgpr_count:     18
    .vgpr_spill_count: 0
    .wavefront_size: 64
  - .agpr_count:     0
    .args:
      - .offset:         0
        .size:           4
        .value_kind:     by_value
      - .address_space:  global
        .offset:         8
        .size:           8
        .value_kind:     global_buffer
      - .offset:         16
        .size:           8
        .value_kind:     by_value
      - .address_space:  global
        .offset:         24
        .size:           8
        .value_kind:     global_buffer
      - .address_space:  global
        .offset:         32
        .size:           8
        .value_kind:     global_buffer
      - .offset:         40
        .size:           8
        .value_kind:     by_value
      - .address_space:  global
        .offset:         48
        .size:           8
        .value_kind:     global_buffer
      - .offset:         56
        .size:           4
        .value_kind:     hidden_block_count_x
      - .offset:         60
        .size:           4
        .value_kind:     hidden_block_count_y
      - .offset:         64
        .size:           4
        .value_kind:     hidden_block_count_z
      - .offset:         68
        .size:           2
        .value_kind:     hidden_group_size_x
      - .offset:         70
        .size:           2
        .value_kind:     hidden_group_size_y
      - .offset:         72
        .size:           2
        .value_kind:     hidden_group_size_z
      - .offset:         74
        .size:           2
        .value_kind:     hidden_remainder_x
      - .offset:         76
        .size:           2
        .value_kind:     hidden_remainder_y
      - .offset:         78
        .size:           2
        .value_kind:     hidden_remainder_z
      - .offset:         96
        .size:           8
        .value_kind:     hidden_global_offset_x
      - .offset:         104
        .size:           8
        .value_kind:     hidden_global_offset_y
      - .offset:         112
        .size:           8
        .value_kind:     hidden_global_offset_z
      - .offset:         120
        .size:           2
        .value_kind:     hidden_grid_dims
    .group_segment_fixed_size: 0
    .kernarg_segment_align: 8
    .kernarg_segment_size: 312
    .language:       OpenCL C
    .language_version:
      - 2
      - 0
    .max_flat_workgroup_size: 1024
    .name:           _ZN9rocsolver6v33100L22bdsqr_update_endpointsIffEEviPT0_lPiS3_lS4_
    .private_segment_fixed_size: 0
    .sgpr_count:     30
    .sgpr_spill_count: 0
    .symbol:         _ZN9rocsolver6v33100L22bdsqr_update_endpointsIffEEviPT0_lPiS3_lS4_.kd
    .uniform_work_group_size: 1
    .uses_dynamic_stack: false
    .vgpr_count:     10
    .vgpr_spill_count: 0
    .wavefront_size: 64
  - .agpr_count:     0
    .args:
      - .offset:         0
        .size:           4
        .value_kind:     by_value
      - .offset:         4
        .size:           4
        .value_kind:     by_value
      - .address_space:  global
        .offset:         8
        .size:           8
        .value_kind:     global_buffer
      - .address_space:  global
        .offset:         16
        .size:           8
        .value_kind:     global_buffer
      - .offset:         24
        .size:           8
        .value_kind:     by_value
      - .address_space:  global
        .offset:         32
        .size:           8
        .value_kind:     global_buffer
    .group_segment_fixed_size: 0
    .kernarg_segment_align: 8
    .kernarg_segment_size: 40
    .language:       OpenCL C
    .language_version:
      - 2
      - 0
    .max_flat_workgroup_size: 1024
    .name:           _ZN9rocsolver6v33100L19bdsqr_chk_completedIffEEviiPiPT0_lS2_
    .private_segment_fixed_size: 0
    .sgpr_count:     20
    .sgpr_spill_count: 0
    .symbol:         _ZN9rocsolver6v33100L19bdsqr_chk_completedIffEEviiPiPT0_lS2_.kd
    .uniform_work_group_size: 1
    .uses_dynamic_stack: false
    .vgpr_count:     4
    .vgpr_spill_count: 0
    .wavefront_size: 64
  - .agpr_count:     0
    .args:
      - .offset:         0
        .size:           4
        .value_kind:     by_value
      - .offset:         4
        .size:           4
        .value_kind:     by_value
      - .offset:         8
        .size:           4
        .value_kind:     by_value
      - .offset:         12
        .size:           4
        .value_kind:     by_value
      - .address_space:  global
        .offset:         16
        .size:           8
        .value_kind:     global_buffer
      - .offset:         24
        .size:           8
        .value_kind:     by_value
      - .address_space:  global
        .offset:         32
        .size:           8
        .value_kind:     global_buffer
      - .offset:         40
        .size:           8
        .value_kind:     by_value
      - .address_space:  global
        .offset:         48
        .size:           8
        .value_kind:     global_buffer
      - .offset:         56
        .size:           4
        .value_kind:     by_value
      - .offset:         60
        .size:           4
        .value_kind:     by_value
      - .offset:         64
        .size:           8
        .value_kind:     by_value
      - .address_space:  global
        .offset:         72
        .size:           8
        .value_kind:     global_buffer
      - .offset:         80
        .size:           4
        .value_kind:     by_value
      - .offset:         84
        .size:           4
        .value_kind:     by_value
      - .offset:         88
        .size:           8
        .value_kind:     by_value
      - .address_space:  global
        .offset:         96
        .size:           8
        .value_kind:     global_buffer
      - .offset:         104
        .size:           4
        .value_kind:     by_value
      - .offset:         108
        .size:           4
        .value_kind:     by_value
      - .offset:         112
        .size:           8
        .value_kind:     by_value
      - .address_space:  global
        .offset:         120
        .size:           8
        .value_kind:     global_buffer
      - .address_space:  global
        .offset:         128
        .size:           8
        .value_kind:     global_buffer
      - .address_space:  global
        .offset:         136
        .size:           8
        .value_kind:     global_buffer
      - .offset:         144
        .size:           4
        .value_kind:     hidden_block_count_x
      - .offset:         148
        .size:           4
        .value_kind:     hidden_block_count_y
      - .offset:         152
        .size:           4
        .value_kind:     hidden_block_count_z
      - .offset:         156
        .size:           2
        .value_kind:     hidden_group_size_x
      - .offset:         158
        .size:           2
        .value_kind:     hidden_group_size_y
      - .offset:         160
        .size:           2
        .value_kind:     hidden_group_size_z
      - .offset:         162
        .size:           2
        .value_kind:     hidden_remainder_x
      - .offset:         164
        .size:           2
        .value_kind:     hidden_remainder_y
      - .offset:         166
        .size:           2
        .value_kind:     hidden_remainder_z
      - .offset:         184
        .size:           8
        .value_kind:     hidden_global_offset_x
      - .offset:         192
        .size:           8
        .value_kind:     hidden_global_offset_y
      - .offset:         200
        .size:           8
        .value_kind:     hidden_global_offset_z
      - .offset:         208
        .size:           2
        .value_kind:     hidden_grid_dims
      - .offset:         224
        .size:           8
        .value_kind:     hidden_hostcall_buffer
    .group_segment_fixed_size: 0
    .kernarg_segment_align: 8
    .kernarg_segment_size: 400
    .language:       OpenCL C
    .language_version:
      - 2
      - 0
    .max_flat_workgroup_size: 1024
    .name:           _ZN9rocsolver6v33100L14bdsqr_finalizeIffPKPfS2_S4_EEviiiiPT0_lS6_lT1_iilT2_iilT3_iilPiSA_SA_
    .private_segment_fixed_size: 64
    .sgpr_count:     84
    .sgpr_spill_count: 0
    .symbol:         _ZN9rocsolver6v33100L14bdsqr_finalizeIffPKPfS2_S4_EEviiiiPT0_lS6_lT1_iilT2_iilT3_iilPiSA_SA_.kd
    .uniform_work_group_size: 1
    .uses_dynamic_stack: false
    .vgpr_count:     45
    .vgpr_spill_count: 0
    .wavefront_size: 64
  - .agpr_count:     0
    .args:
      - .offset:         0
        .size:           4
        .value_kind:     by_value
      - .offset:         4
        .size:           4
        .value_kind:     by_value
      - .offset:         8
        .size:           4
        .value_kind:     by_value
      - .address_space:  global
        .offset:         16
        .size:           8
        .value_kind:     global_buffer
      - .offset:         24
        .size:           8
        .value_kind:     by_value
      - .address_space:  global
        .offset:         32
        .size:           8
        .value_kind:     global_buffer
      - .offset:         40
        .size:           8
        .value_kind:     by_value
      - .address_space:  global
        .offset:         48
        .size:           8
        .value_kind:     global_buffer
      - .offset:         56
        .size:           4
        .value_kind:     by_value
      - .offset:         60
        .size:           4
        .value_kind:     by_value
      - .offset:         64
        .size:           8
        .value_kind:     by_value
      - .address_space:  global
        .offset:         72
        .size:           8
        .value_kind:     global_buffer
      - .offset:         80
        .size:           4
        .value_kind:     by_value
      - .offset:         84
        .size:           4
        .value_kind:     by_value
      - .offset:         88
        .size:           8
        .value_kind:     by_value
      - .address_space:  global
        .offset:         96
        .size:           8
        .value_kind:     global_buffer
      - .address_space:  global
        .offset:         104
        .size:           8
        .value_kind:     global_buffer
      - .offset:         112
        .size:           8
        .value_kind:     by_value
      - .address_space:  global
        .offset:         120
        .size:           8
        .value_kind:     global_buffer
      - .offset:         128
        .size:           4
        .value_kind:     hidden_block_count_x
      - .offset:         132
        .size:           4
        .value_kind:     hidden_block_count_y
      - .offset:         136
        .size:           4
        .value_kind:     hidden_block_count_z
      - .offset:         140
        .size:           2
        .value_kind:     hidden_group_size_x
      - .offset:         142
        .size:           2
        .value_kind:     hidden_group_size_y
      - .offset:         144
        .size:           2
        .value_kind:     hidden_group_size_z
      - .offset:         146
        .size:           2
        .value_kind:     hidden_remainder_x
      - .offset:         148
        .size:           2
        .value_kind:     hidden_remainder_y
      - .offset:         150
        .size:           2
        .value_kind:     hidden_remainder_z
      - .offset:         168
        .size:           8
        .value_kind:     hidden_global_offset_x
      - .offset:         176
        .size:           8
        .value_kind:     hidden_global_offset_y
      - .offset:         184
        .size:           8
        .value_kind:     hidden_global_offset_z
      - .offset:         192
        .size:           2
        .value_kind:     hidden_grid_dims
    .group_segment_fixed_size: 0
    .kernarg_segment_align: 8
    .kernarg_segment_size: 384
    .language:       OpenCL C
    .language_version:
      - 2
      - 0
    .max_flat_workgroup_size: 1024
    .name:           _ZN9rocsolver6v33100L17bdsqr_lower2upperIffPKPfS4_EEviiiPT0_lS6_lT1_iilT2_iilPiS6_lS9_
    .private_segment_fixed_size: 0
    .sgpr_count:     40
    .sgpr_spill_count: 0
    .symbol:         _ZN9rocsolver6v33100L17bdsqr_lower2upperIffPKPfS4_EEviiiPT0_lS6_lT1_iilT2_iilPiS6_lS9_.kd
    .uniform_work_group_size: 1
    .uses_dynamic_stack: false
    .vgpr_count:     16
    .vgpr_spill_count: 0
    .wavefront_size: 64
  - .agpr_count:     0
    .args:
      - .offset:         0
        .size:           4
        .value_kind:     by_value
      - .offset:         4
        .size:           4
        .value_kind:     by_value
      - .offset:         8
        .size:           4
        .value_kind:     by_value
      - .offset:         12
        .size:           4
        .value_kind:     by_value
      - .address_space:  global
        .offset:         16
        .size:           8
        .value_kind:     global_buffer
      - .offset:         24
        .size:           8
        .value_kind:     by_value
      - .address_space:  global
        .offset:         32
        .size:           8
        .value_kind:     global_buffer
      - .offset:         40
        .size:           8
        .value_kind:     by_value
      - .address_space:  global
        .offset:         48
        .size:           8
        .value_kind:     global_buffer
      - .offset:         56
        .size:           4
        .value_kind:     by_value
      - .offset:         60
        .size:           4
        .value_kind:     by_value
      - .offset:         64
        .size:           8
        .value_kind:     by_value
      - .address_space:  global
        .offset:         72
        .size:           8
        .value_kind:     global_buffer
      - .offset:         80
        .size:           4
        .value_kind:     by_value
      - .offset:         84
        .size:           4
        .value_kind:     by_value
      - .offset:         88
        .size:           8
        .value_kind:     by_value
      - .address_space:  global
        .offset:         96
        .size:           8
        .value_kind:     global_buffer
      - .offset:         104
        .size:           4
        .value_kind:     by_value
      - .offset:         108
        .size:           4
        .value_kind:     by_value
      - .offset:         112
        .size:           8
        .value_kind:     by_value
      - .offset:         120
        .size:           4
        .value_kind:     by_value
      - .offset:         124
        .size:           4
        .value_kind:     by_value
      - .offset:         128
        .size:           4
        .value_kind:     by_value
      - .offset:         132
        .size:           4
        .value_kind:     by_value
      - .offset:         136
        .size:           4
        .value_kind:     by_value
      - .address_space:  global
        .offset:         144
        .size:           8
        .value_kind:     global_buffer
      - .address_space:  global
        .offset:         152
        .size:           8
        .value_kind:     global_buffer
      - .offset:         160
        .size:           4
        .value_kind:     by_value
      - .offset:         168
        .size:           8
        .value_kind:     by_value
      - .address_space:  global
        .offset:         176
        .size:           8
        .value_kind:     global_buffer
      - .offset:         184
        .size:           4
        .value_kind:     hidden_block_count_x
      - .offset:         188
        .size:           4
        .value_kind:     hidden_block_count_y
      - .offset:         192
        .size:           4
        .value_kind:     hidden_block_count_z
      - .offset:         196
        .size:           2
        .value_kind:     hidden_group_size_x
      - .offset:         198
        .size:           2
        .value_kind:     hidden_group_size_y
      - .offset:         200
        .size:           2
        .value_kind:     hidden_group_size_z
      - .offset:         202
        .size:           2
        .value_kind:     hidden_remainder_x
      - .offset:         204
        .size:           2
        .value_kind:     hidden_remainder_y
      - .offset:         206
        .size:           2
        .value_kind:     hidden_remainder_z
      - .offset:         224
        .size:           8
        .value_kind:     hidden_global_offset_x
      - .offset:         232
        .size:           8
        .value_kind:     hidden_global_offset_y
      - .offset:         240
        .size:           8
        .value_kind:     hidden_global_offset_z
      - .offset:         248
        .size:           2
        .value_kind:     hidden_grid_dims
    .group_segment_fixed_size: 1040
    .kernarg_segment_align: 8
    .kernarg_segment_size: 440
    .language:       OpenCL C
    .language_version:
      - 2
      - 0
    .max_flat_workgroup_size: 1024
    .name:           _ZN9rocsolver6v33100L13bdsqr_computeILi256EffPfPKS2_S4_EEviiiiPT1_lS6_lT2_iilT3_iilT4_iiliS5_S5_S5_S5_PiS6_ilSA_
    .private_segment_fixed_size: 0
    .sgpr_count:     100
    .sgpr_spill_count: 27
    .symbol:         _ZN9rocsolver6v33100L13bdsqr_computeILi256EffPfPKS2_S4_EEviiiiPT1_lS6_lT2_iilT3_iilT4_iiliS5_S5_S5_S5_PiS6_ilSA_.kd
    .uniform_work_group_size: 1
    .uses_dynamic_stack: false
    .vgpr_count:     32
    .vgpr_spill_count: 0
    .wavefront_size: 64
  - .agpr_count:     0
    .args:
      - .offset:         0
        .size:           4
        .value_kind:     by_value
      - .offset:         4
        .size:           4
        .value_kind:     by_value
      - .offset:         8
        .size:           4
        .value_kind:     by_value
      - .offset:         12
        .size:           4
        .value_kind:     by_value
      - .address_space:  global
        .offset:         16
        .size:           8
        .value_kind:     global_buffer
      - .offset:         24
        .size:           4
        .value_kind:     by_value
      - .offset:         28
        .size:           4
        .value_kind:     by_value
      - .offset:         32
        .size:           8
        .value_kind:     by_value
      - .address_space:  global
        .offset:         40
        .size:           8
        .value_kind:     global_buffer
      - .offset:         48
        .size:           4
        .value_kind:     by_value
      - .offset:         52
        .size:           4
        .value_kind:     by_value
      - .offset:         56
        .size:           8
        .value_kind:     by_value
      - .address_space:  global
        .offset:         64
        .size:           8
        .value_kind:     global_buffer
      - .offset:         72
        .size:           4
        .value_kind:     by_value
      - .offset:         76
        .size:           4
        .value_kind:     by_value
      - .offset:         80
        .size:           8
        .value_kind:     by_value
      - .offset:         88
        .size:           4
        .value_kind:     by_value
      - .address_space:  global
        .offset:         96
        .size:           8
        .value_kind:     global_buffer
      - .address_space:  global
        .offset:         104
        .size:           8
        .value_kind:     global_buffer
      - .offset:         112
        .size:           4
        .value_kind:     by_value
      - .offset:         120
        .size:           8
        .value_kind:     by_value
      - .address_space:  global
        .offset:         128
        .size:           8
        .value_kind:     global_buffer
      - .offset:         136
        .size:           4
        .value_kind:     hidden_block_count_x
      - .offset:         140
        .size:           4
        .value_kind:     hidden_block_count_y
      - .offset:         144
        .size:           4
        .value_kind:     hidden_block_count_z
      - .offset:         148
        .size:           2
        .value_kind:     hidden_group_size_x
      - .offset:         150
        .size:           2
        .value_kind:     hidden_group_size_y
      - .offset:         152
        .size:           2
        .value_kind:     hidden_group_size_z
      - .offset:         154
        .size:           2
        .value_kind:     hidden_remainder_x
      - .offset:         156
        .size:           2
        .value_kind:     hidden_remainder_y
      - .offset:         158
        .size:           2
        .value_kind:     hidden_remainder_z
      - .offset:         176
        .size:           8
        .value_kind:     hidden_global_offset_x
      - .offset:         184
        .size:           8
        .value_kind:     hidden_global_offset_y
      - .offset:         192
        .size:           8
        .value_kind:     hidden_global_offset_z
      - .offset:         200
        .size:           2
        .value_kind:     hidden_grid_dims
    .group_segment_fixed_size: 0
    .kernarg_segment_align: 8
    .kernarg_segment_size: 392
    .language:       OpenCL C
    .language_version:
      - 2
      - 0
    .max_flat_workgroup_size: 1024
    .name:           _ZN9rocsolver6v33100L12bdsqr_rotateIffPfPKS2_S4_EEviiiiT1_iilT2_iilT3_iiliPiPT0_ilS8_
    .private_segment_fixed_size: 0
    .sgpr_count:     54
    .sgpr_spill_count: 0
    .symbol:         _ZN9rocsolver6v33100L12bdsqr_rotateIffPfPKS2_S4_EEviiiiT1_iilT2_iilT3_iiliPiPT0_ilS8_.kd
    .uniform_work_group_size: 1
    .uses_dynamic_stack: false
    .vgpr_count:     18
    .vgpr_spill_count: 0
    .wavefront_size: 64
  - .agpr_count:     0
    .args:
      - .offset:         0
        .size:           4
        .value_kind:     by_value
      - .offset:         4
        .size:           4
        .value_kind:     by_value
      - .offset:         8
        .size:           4
        .value_kind:     by_value
      - .offset:         12
        .size:           4
        .value_kind:     by_value
      - .address_space:  global
        .offset:         16
        .size:           8
        .value_kind:     global_buffer
      - .offset:         24
        .size:           8
        .value_kind:     by_value
      - .address_space:  global
        .offset:         32
        .size:           8
        .value_kind:     global_buffer
      - .offset:         40
        .size:           8
        .value_kind:     by_value
      - .address_space:  global
        .offset:         48
        .size:           8
        .value_kind:     global_buffer
      - .offset:         56
        .size:           4
        .value_kind:     by_value
      - .offset:         60
        .size:           4
        .value_kind:     by_value
      - .offset:         64
        .size:           8
        .value_kind:     by_value
      - .address_space:  global
        .offset:         72
        .size:           8
        .value_kind:     global_buffer
      - .offset:         80
        .size:           4
        .value_kind:     by_value
      - .offset:         84
        .size:           4
        .value_kind:     by_value
      - .offset:         88
        .size:           8
        .value_kind:     by_value
      - .address_space:  global
        .offset:         96
        .size:           8
        .value_kind:     global_buffer
      - .offset:         104
        .size:           4
        .value_kind:     by_value
      - .offset:         108
        .size:           4
        .value_kind:     by_value
      - .offset:         112
        .size:           8
        .value_kind:     by_value
      - .address_space:  global
        .offset:         120
        .size:           8
        .value_kind:     global_buffer
      - .address_space:  global
        .offset:         128
        .size:           8
        .value_kind:     global_buffer
      - .address_space:  global
        .offset:         136
        .size:           8
        .value_kind:     global_buffer
      - .offset:         144
        .size:           4
        .value_kind:     hidden_block_count_x
      - .offset:         148
        .size:           4
        .value_kind:     hidden_block_count_y
      - .offset:         152
        .size:           4
        .value_kind:     hidden_block_count_z
      - .offset:         156
        .size:           2
        .value_kind:     hidden_group_size_x
      - .offset:         158
        .size:           2
        .value_kind:     hidden_group_size_y
      - .offset:         160
        .size:           2
        .value_kind:     hidden_group_size_z
      - .offset:         162
        .size:           2
        .value_kind:     hidden_remainder_x
      - .offset:         164
        .size:           2
        .value_kind:     hidden_remainder_y
      - .offset:         166
        .size:           2
        .value_kind:     hidden_remainder_z
      - .offset:         184
        .size:           8
        .value_kind:     hidden_global_offset_x
      - .offset:         192
        .size:           8
        .value_kind:     hidden_global_offset_y
      - .offset:         200
        .size:           8
        .value_kind:     hidden_global_offset_z
      - .offset:         208
        .size:           2
        .value_kind:     hidden_grid_dims
      - .offset:         224
        .size:           8
        .value_kind:     hidden_hostcall_buffer
    .group_segment_fixed_size: 0
    .kernarg_segment_align: 8
    .kernarg_segment_size: 400
    .language:       OpenCL C
    .language_version:
      - 2
      - 0
    .max_flat_workgroup_size: 1024
    .name:           _ZN9rocsolver6v33100L14bdsqr_finalizeIffPfPKS2_S4_EEviiiiPT0_lS6_lT1_iilT2_iilT3_iilPiSA_SA_
    .private_segment_fixed_size: 64
    .sgpr_count:     84
    .sgpr_spill_count: 0
    .symbol:         _ZN9rocsolver6v33100L14bdsqr_finalizeIffPfPKS2_S4_EEviiiiPT0_lS6_lT1_iilT2_iilT3_iilPiSA_SA_.kd
    .uniform_work_group_size: 1
    .uses_dynamic_stack: false
    .vgpr_count:     45
    .vgpr_spill_count: 0
    .wavefront_size: 64
  - .agpr_count:     0
    .args:
      - .offset:         0
        .size:           4
        .value_kind:     by_value
      - .offset:         4
        .size:           4
        .value_kind:     by_value
      - .address_space:  global
        .offset:         8
        .size:           8
        .value_kind:     global_buffer
      - .offset:         16
        .size:           4
        .value_kind:     by_value
      - .offset:         20
        .size:           4
        .value_kind:     by_value
      - .offset:         24
        .size:           8
        .value_kind:     by_value
      - .address_space:  global
        .offset:         32
        .size:           8
        .value_kind:     global_buffer
      - .offset:         40
        .size:           4
        .value_kind:     by_value
      - .offset:         44
        .size:           4
        .value_kind:     by_value
      - .offset:         48
        .size:           8
        .value_kind:     by_value
      - .offset:         56
        .size:           1
        .value_kind:     by_value
      - .offset:         60
        .size:           4
        .value_kind:     by_value
      - .offset:         64
        .size:           4
        .value_kind:     by_value
      - .offset:         72
        .size:           4
        .value_kind:     hidden_block_count_x
      - .offset:         76
        .size:           4
        .value_kind:     hidden_block_count_y
      - .offset:         80
        .size:           4
        .value_kind:     hidden_block_count_z
      - .offset:         84
        .size:           2
        .value_kind:     hidden_group_size_x
      - .offset:         86
        .size:           2
        .value_kind:     hidden_group_size_y
      - .offset:         88
        .size:           2
        .value_kind:     hidden_group_size_z
      - .offset:         90
        .size:           2
        .value_kind:     hidden_remainder_x
      - .offset:         92
        .size:           2
        .value_kind:     hidden_remainder_y
      - .offset:         94
        .size:           2
        .value_kind:     hidden_remainder_z
      - .offset:         112
        .size:           8
        .value_kind:     hidden_global_offset_x
      - .offset:         120
        .size:           8
        .value_kind:     hidden_global_offset_y
      - .offset:         128
        .size:           8
        .value_kind:     hidden_global_offset_z
      - .offset:         136
        .size:           2
        .value_kind:     hidden_grid_dims
    .group_segment_fixed_size: 0
    .kernarg_segment_align: 8
    .kernarg_segment_size: 328
    .language:       OpenCL C
    .language_version:
      - 2
      - 0
    .max_flat_workgroup_size: 1024
    .name:           _ZN9rocsolver6v33100L8copy_matIfPKPfS2_NS0_7no_maskEEEviiT0_iilT1_iilT2_13rocblas_fill_17rocblas_diagonal_
    .private_segment_fixed_size: 0
    .sgpr_count:     20
    .sgpr_spill_count: 0
    .symbol:         _ZN9rocsolver6v33100L8copy_matIfPKPfS2_NS0_7no_maskEEEviiT0_iilT1_iilT2_13rocblas_fill_17rocblas_diagonal_.kd
    .uniform_work_group_size: 1
    .uses_dynamic_stack: false
    .vgpr_count:     6
    .vgpr_spill_count: 0
    .wavefront_size: 64
  - .agpr_count:     0
    .args:
      - .offset:         0
        .size:           4
        .value_kind:     by_value
      - .offset:         4
        .size:           4
        .value_kind:     by_value
      - .offset:         8
        .size:           4
        .value_kind:     by_value
      - .address_space:  global
        .offset:         16
        .size:           8
        .value_kind:     global_buffer
      - .offset:         24
        .size:           4
        .value_kind:     by_value
      - .offset:         28
        .size:           4
        .value_kind:     by_value
      - .offset:         32
        .size:           8
        .value_kind:     by_value
      - .offset:         40
        .size:           4
        .value_kind:     hidden_block_count_x
      - .offset:         44
        .size:           4
        .value_kind:     hidden_block_count_y
      - .offset:         48
        .size:           4
        .value_kind:     hidden_block_count_z
      - .offset:         52
        .size:           2
        .value_kind:     hidden_group_size_x
      - .offset:         54
        .size:           2
        .value_kind:     hidden_group_size_y
      - .offset:         56
        .size:           2
        .value_kind:     hidden_group_size_z
      - .offset:         58
        .size:           2
        .value_kind:     hidden_remainder_x
      - .offset:         60
        .size:           2
        .value_kind:     hidden_remainder_y
      - .offset:         62
        .size:           2
        .value_kind:     hidden_remainder_z
      - .offset:         80
        .size:           8
        .value_kind:     hidden_global_offset_x
      - .offset:         88
        .size:           8
        .value_kind:     hidden_global_offset_y
      - .offset:         96
        .size:           8
        .value_kind:     hidden_global_offset_z
      - .offset:         104
        .size:           2
        .value_kind:     hidden_grid_dims
    .group_segment_fixed_size: 0
    .kernarg_segment_align: 8
    .kernarg_segment_size: 296
    .language:       OpenCL C
    .language_version:
      - 2
      - 0
    .max_flat_workgroup_size: 1024
    .name:           _ZN9rocsolver6v33100L16org2r_init_identIfPfEEviiiT0_iil
    .private_segment_fixed_size: 0
    .sgpr_count:     20
    .sgpr_spill_count: 0
    .symbol:         _ZN9rocsolver6v33100L16org2r_init_identIfPfEEviiiT0_iil.kd
    .uniform_work_group_size: 1
    .uses_dynamic_stack: false
    .vgpr_count:     6
    .vgpr_spill_count: 0
    .wavefront_size: 64
  - .agpr_count:     0
    .args:
      - .offset:         0
        .size:           4
        .value_kind:     by_value
      - .offset:         4
        .size:           4
        .value_kind:     by_value
      - .address_space:  global
        .offset:         8
        .size:           8
        .value_kind:     global_buffer
      - .offset:         16
        .size:           8
        .value_kind:     by_value
      - .offset:         24
        .size:           4
        .value_kind:     by_value
      - .offset:         32
        .size:           8
        .value_kind:     by_value
      - .address_space:  global
        .offset:         40
        .size:           8
        .value_kind:     global_buffer
      - .offset:         48
        .size:           8
        .value_kind:     by_value
      - .address_space:  global
        .offset:         56
        .size:           8
        .value_kind:     global_buffer
      - .offset:         64
        .size:           8
        .value_kind:     by_value
      - .offset:         72
        .size:           4
        .value_kind:     by_value
      - .offset:         80
        .size:           8
        .value_kind:     by_value
    .group_segment_fixed_size: 0
    .kernarg_segment_align: 8
    .kernarg_segment_size: 88
    .language:       OpenCL C
    .language_version:
      - 2
      - 0
    .max_flat_workgroup_size: 1024
    .name:           _ZN9rocsolver6v33100L16larf_left_kernelILi1024EfiPfEEvT1_S3_T2_lS3_lPKT0_lS4_lS3_l
    .private_segment_fixed_size: 0
    .sgpr_count:     44
    .sgpr_spill_count: 0
    .symbol:         _ZN9rocsolver6v33100L16larf_left_kernelILi1024EfiPfEEvT1_S3_T2_lS3_lPKT0_lS4_lS3_l.kd
    .uniform_work_group_size: 1
    .uses_dynamic_stack: false
    .vgpr_count:     22
    .vgpr_spill_count: 0
    .wavefront_size: 64
  - .agpr_count:     0
    .args:
      - .offset:         0
        .size:           4
        .value_kind:     by_value
      - .offset:         4
        .size:           4
        .value_kind:     by_value
      - .address_space:  global
        .offset:         8
        .size:           8
        .value_kind:     global_buffer
      - .offset:         16
        .size:           8
        .value_kind:     by_value
      - .offset:         24
        .size:           4
        .value_kind:     by_value
      - .offset:         32
        .size:           8
        .value_kind:     by_value
      - .address_space:  global
        .offset:         40
        .size:           8
        .value_kind:     global_buffer
      - .offset:         48
        .size:           8
        .value_kind:     by_value
      - .address_space:  global
        .offset:         56
        .size:           8
        .value_kind:     global_buffer
      - .offset:         64
        .size:           8
        .value_kind:     by_value
      - .offset:         72
        .size:           4
        .value_kind:     by_value
      - .offset:         80
        .size:           8
        .value_kind:     by_value
    .group_segment_fixed_size: 0
    .kernarg_segment_align: 8
    .kernarg_segment_size: 88
    .language:       OpenCL C
    .language_version:
      - 2
      - 0
    .max_flat_workgroup_size: 1024
    .name:           _ZN9rocsolver6v33100L17larf_right_kernelILi1024EfiPfEEvT1_S3_T2_lS3_lPKT0_lS4_lS3_l
    .private_segment_fixed_size: 0
    .sgpr_count:     44
    .sgpr_spill_count: 0
    .symbol:         _ZN9rocsolver6v33100L17larf_right_kernelILi1024EfiPfEEvT1_S3_T2_lS3_lPKT0_lS4_lS3_l.kd
    .uniform_work_group_size: 1
    .uses_dynamic_stack: false
    .vgpr_count:     18
    .vgpr_spill_count: 0
    .wavefront_size: 64
  - .agpr_count:     0
    .args:
      - .offset:         0
        .size:           4
        .value_kind:     by_value
      - .offset:         4
        .size:           4
        .value_kind:     by_value
      - .address_space:  global
        .offset:         8
        .size:           8
        .value_kind:     global_buffer
      - .offset:         16
        .size:           4
        .value_kind:     by_value
      - .offset:         20
        .size:           4
        .value_kind:     by_value
      - .offset:         24
        .size:           8
        .value_kind:     by_value
      - .address_space:  global
        .offset:         32
        .size:           8
        .value_kind:     global_buffer
      - .offset:         40
        .size:           8
        .value_kind:     by_value
    .group_segment_fixed_size: 0
    .kernarg_segment_align: 8
    .kernarg_segment_size: 48
    .language:       OpenCL C
    .language_version:
      - 2
      - 0
    .max_flat_workgroup_size: 1024
    .name:           _ZN9rocsolver6v33100L12subtract_tauIfPfEEviiT0_iilPT_l
    .private_segment_fixed_size: 0
    .sgpr_count:     20
    .sgpr_spill_count: 0
    .symbol:         _ZN9rocsolver6v33100L12subtract_tauIfPfEEviiT0_iilPT_l.kd
    .uniform_work_group_size: 1
    .uses_dynamic_stack: false
    .vgpr_count:     2
    .vgpr_spill_count: 0
    .wavefront_size: 64
  - .agpr_count:     0
    .args:
      - .offset:         0
        .size:           4
        .value_kind:     by_value
      - .offset:         4
        .size:           4
        .value_kind:     by_value
      - .address_space:  global
        .offset:         8
        .size:           8
        .value_kind:     global_buffer
      - .offset:         16
        .size:           4
        .value_kind:     by_value
      - .offset:         20
        .size:           4
        .value_kind:     by_value
      - .offset:         24
        .size:           8
        .value_kind:     by_value
      - .address_space:  global
        .offset:         32
        .size:           8
        .value_kind:     global_buffer
      - .offset:         40
        .size:           8
        .value_kind:     by_value
      - .address_space:  global
        .offset:         48
        .size:           8
        .value_kind:     global_buffer
      - .offset:         56
        .size:           4
        .value_kind:     by_value
      - .offset:         64
        .size:           8
        .value_kind:     by_value
      - .offset:         72
        .size:           4
        .value_kind:     by_value
      - .offset:         76
        .size:           4
        .value_kind:     by_value
      - .offset:         80
        .size:           1
        .value_kind:     by_value
      - .offset:         88
        .size:           4
        .value_kind:     hidden_block_count_x
      - .offset:         92
        .size:           4
        .value_kind:     hidden_block_count_y
      - .offset:         96
        .size:           4
        .value_kind:     hidden_block_count_z
      - .offset:         100
        .size:           2
        .value_kind:     hidden_group_size_x
      - .offset:         102
        .size:           2
        .value_kind:     hidden_group_size_y
      - .offset:         104
        .size:           2
        .value_kind:     hidden_group_size_z
      - .offset:         106
        .size:           2
        .value_kind:     hidden_remainder_x
      - .offset:         108
        .size:           2
        .value_kind:     hidden_remainder_y
      - .offset:         110
        .size:           2
        .value_kind:     hidden_remainder_z
      - .offset:         128
        .size:           8
        .value_kind:     hidden_global_offset_x
      - .offset:         136
        .size:           8
        .value_kind:     hidden_global_offset_y
      - .offset:         144
        .size:           8
        .value_kind:     hidden_global_offset_z
      - .offset:         152
        .size:           2
        .value_kind:     hidden_grid_dims
    .group_segment_fixed_size: 0
    .kernarg_segment_align: 8
    .kernarg_segment_size: 344
    .language:       OpenCL C
    .language_version:
      - 2
      - 0
    .max_flat_workgroup_size: 1024
    .name:           _ZN9rocsolver6v33100L14set_triangularIfPfTnNSt9enable_ifIXnt18rocblas_is_complexIT_EEiE4typeELi0EEEviiT0_iilPS4_lS8_il15rocblas_direct_15rocblas_storev_b
    .private_segment_fixed_size: 0
    .sgpr_count:     27
    .sgpr_spill_count: 0
    .symbol:         _ZN9rocsolver6v33100L14set_triangularIfPfTnNSt9enable_ifIXnt18rocblas_is_complexIT_EEiE4typeELi0EEEviiT0_iilPS4_lS8_il15rocblas_direct_15rocblas_storev_b.kd
    .uniform_work_group_size: 1
    .uses_dynamic_stack: false
    .vgpr_count:     15
    .vgpr_spill_count: 0
    .wavefront_size: 64
  - .agpr_count:     0
    .args:
      - .offset:         0
        .size:           4
        .value_kind:     by_value
      - .offset:         4
        .size:           4
        .value_kind:     by_value
      - .offset:         8
        .size:           4
        .value_kind:     by_value
      - .address_space:  global
        .offset:         16
        .size:           8
        .value_kind:     global_buffer
      - .offset:         24
        .size:           4
        .value_kind:     by_value
      - .offset:         28
        .size:           4
        .value_kind:     by_value
      - .offset:         32
        .size:           8
        .value_kind:     by_value
      - .address_space:  global
        .offset:         40
        .size:           8
        .value_kind:     global_buffer
      - .offset:         48
        .size:           8
        .value_kind:     by_value
      - .address_space:  global
        .offset:         56
        .size:           8
        .value_kind:     global_buffer
      - .offset:         64
        .size:           4
        .value_kind:     by_value
      - .offset:         72
        .size:           8
        .value_kind:     by_value
      - .offset:         80
        .size:           4
        .value_kind:     hidden_block_count_x
      - .offset:         84
        .size:           4
        .value_kind:     hidden_block_count_y
      - .offset:         88
        .size:           4
        .value_kind:     hidden_block_count_z
      - .offset:         92
        .size:           2
        .value_kind:     hidden_group_size_x
      - .offset:         94
        .size:           2
        .value_kind:     hidden_group_size_y
      - .offset:         96
        .size:           2
        .value_kind:     hidden_group_size_z
      - .offset:         98
        .size:           2
        .value_kind:     hidden_remainder_x
      - .offset:         100
        .size:           2
        .value_kind:     hidden_remainder_y
      - .offset:         102
        .size:           2
        .value_kind:     hidden_remainder_z
      - .offset:         120
        .size:           8
        .value_kind:     hidden_global_offset_x
      - .offset:         128
        .size:           8
        .value_kind:     hidden_global_offset_y
      - .offset:         136
        .size:           8
        .value_kind:     hidden_global_offset_z
      - .offset:         144
        .size:           2
        .value_kind:     hidden_grid_dims
      - .offset:         200
        .size:           4
        .value_kind:     hidden_dynamic_lds_size
    .group_segment_fixed_size: 0
    .kernarg_segment_align: 8
    .kernarg_segment_size: 336
    .language:       OpenCL C
    .language_version:
      - 2
      - 0
    .max_flat_workgroup_size: 1024
    .name:           _ZN9rocsolver6v33100L20larft_kernel_forwardIfPfEEv15rocblas_storev_iiT0_iilPT_lS6_il
    .private_segment_fixed_size: 0
    .sgpr_count:     52
    .sgpr_spill_count: 0
    .symbol:         _ZN9rocsolver6v33100L20larft_kernel_forwardIfPfEEv15rocblas_storev_iiT0_iilPT_lS6_il.kd
    .uniform_work_group_size: 1
    .uses_dynamic_stack: false
    .vgpr_count:     21
    .vgpr_spill_count: 0
    .wavefront_size: 64
  - .agpr_count:     0
    .args:
      - .offset:         0
        .size:           4
        .value_kind:     by_value
      - .offset:         4
        .size:           4
        .value_kind:     by_value
      - .offset:         8
        .size:           4
        .value_kind:     by_value
      - .address_space:  global
        .offset:         16
        .size:           8
        .value_kind:     global_buffer
      - .offset:         24
        .size:           4
        .value_kind:     by_value
      - .offset:         28
        .size:           4
        .value_kind:     by_value
      - .offset:         32
        .size:           8
        .value_kind:     by_value
      - .address_space:  global
        .offset:         40
        .size:           8
        .value_kind:     global_buffer
      - .offset:         48
        .size:           8
        .value_kind:     by_value
      - .address_space:  global
        .offset:         56
        .size:           8
        .value_kind:     global_buffer
      - .offset:         64
        .size:           4
        .value_kind:     by_value
      - .offset:         72
        .size:           8
        .value_kind:     by_value
      - .offset:         80
        .size:           4
        .value_kind:     hidden_block_count_x
      - .offset:         84
        .size:           4
        .value_kind:     hidden_block_count_y
      - .offset:         88
        .size:           4
        .value_kind:     hidden_block_count_z
      - .offset:         92
        .size:           2
        .value_kind:     hidden_group_size_x
      - .offset:         94
        .size:           2
        .value_kind:     hidden_group_size_y
      - .offset:         96
        .size:           2
        .value_kind:     hidden_group_size_z
      - .offset:         98
        .size:           2
        .value_kind:     hidden_remainder_x
      - .offset:         100
        .size:           2
        .value_kind:     hidden_remainder_y
      - .offset:         102
        .size:           2
        .value_kind:     hidden_remainder_z
      - .offset:         120
        .size:           8
        .value_kind:     hidden_global_offset_x
      - .offset:         128
        .size:           8
        .value_kind:     hidden_global_offset_y
      - .offset:         136
        .size:           8
        .value_kind:     hidden_global_offset_z
      - .offset:         144
        .size:           2
        .value_kind:     hidden_grid_dims
      - .offset:         200
        .size:           4
        .value_kind:     hidden_dynamic_lds_size
    .group_segment_fixed_size: 0
    .kernarg_segment_align: 8
    .kernarg_segment_size: 336
    .language:       OpenCL C
    .language_version:
      - 2
      - 0
    .max_flat_workgroup_size: 1024
    .name:           _ZN9rocsolver6v33100L21larft_kernel_backwardIfPfEEv15rocblas_storev_iiT0_iilPT_lS6_il
    .private_segment_fixed_size: 0
    .sgpr_count:     53
    .sgpr_spill_count: 0
    .symbol:         _ZN9rocsolver6v33100L21larft_kernel_backwardIfPfEEv15rocblas_storev_iiT0_iilPT_lS6_il.kd
    .uniform_work_group_size: 1
    .uses_dynamic_stack: false
    .vgpr_count:     13
    .vgpr_spill_count: 0
    .wavefront_size: 64
  - .agpr_count:     0
    .args:
      - .offset:         0
        .size:           4
        .value_kind:     by_value
      - .offset:         4
        .size:           4
        .value_kind:     by_value
      - .address_space:  global
        .offset:         8
        .size:           8
        .value_kind:     global_buffer
      - .offset:         16
        .size:           4
        .value_kind:     by_value
      - .offset:         20
        .size:           4
        .value_kind:     by_value
      - .offset:         24
        .size:           8
        .value_kind:     by_value
      - .address_space:  global
        .offset:         32
        .size:           8
        .value_kind:     global_buffer
      - .offset:         40
        .size:           4
        .value_kind:     hidden_block_count_x
      - .offset:         44
        .size:           4
        .value_kind:     hidden_block_count_y
      - .offset:         48
        .size:           4
        .value_kind:     hidden_block_count_z
      - .offset:         52
        .size:           2
        .value_kind:     hidden_group_size_x
      - .offset:         54
        .size:           2
        .value_kind:     hidden_group_size_y
      - .offset:         56
        .size:           2
        .value_kind:     hidden_group_size_z
      - .offset:         58
        .size:           2
        .value_kind:     hidden_remainder_x
      - .offset:         60
        .size:           2
        .value_kind:     hidden_remainder_y
      - .offset:         62
        .size:           2
        .value_kind:     hidden_remainder_z
      - .offset:         80
        .size:           8
        .value_kind:     hidden_global_offset_x
      - .offset:         88
        .size:           8
        .value_kind:     hidden_global_offset_y
      - .offset:         96
        .size:           8
        .value_kind:     hidden_global_offset_z
      - .offset:         104
        .size:           2
        .value_kind:     hidden_grid_dims
    .group_segment_fixed_size: 0
    .kernarg_segment_align: 8
    .kernarg_segment_size: 296
    .language:       OpenCL C
    .language_version:
      - 2
      - 0
    .max_flat_workgroup_size: 1024
    .name:           _ZN9rocsolver6v33100L9copymatA1IfPfEEviiT0_iilPT_
    .private_segment_fixed_size: 0
    .sgpr_count:     24
    .sgpr_spill_count: 0
    .symbol:         _ZN9rocsolver6v33100L9copymatA1IfPfEEviiT0_iilPT_.kd
    .uniform_work_group_size: 1
    .uses_dynamic_stack: false
    .vgpr_count:     6
    .vgpr_spill_count: 0
    .wavefront_size: 64
  - .agpr_count:     0
    .args:
      - .offset:         0
        .size:           4
        .value_kind:     by_value
      - .offset:         4
        .size:           4
        .value_kind:     by_value
      - .address_space:  global
        .offset:         8
        .size:           8
        .value_kind:     global_buffer
      - .offset:         16
        .size:           4
        .value_kind:     by_value
      - .offset:         20
        .size:           4
        .value_kind:     by_value
      - .offset:         24
        .size:           8
        .value_kind:     by_value
      - .address_space:  global
        .offset:         32
        .size:           8
        .value_kind:     global_buffer
      - .offset:         40
        .size:           4
        .value_kind:     hidden_block_count_x
      - .offset:         44
        .size:           4
        .value_kind:     hidden_block_count_y
      - .offset:         48
        .size:           4
        .value_kind:     hidden_block_count_z
      - .offset:         52
        .size:           2
        .value_kind:     hidden_group_size_x
      - .offset:         54
        .size:           2
        .value_kind:     hidden_group_size_y
      - .offset:         56
        .size:           2
        .value_kind:     hidden_group_size_z
      - .offset:         58
        .size:           2
        .value_kind:     hidden_remainder_x
      - .offset:         60
        .size:           2
        .value_kind:     hidden_remainder_y
      - .offset:         62
        .size:           2
        .value_kind:     hidden_remainder_z
      - .offset:         80
        .size:           8
        .value_kind:     hidden_global_offset_x
      - .offset:         88
        .size:           8
        .value_kind:     hidden_global_offset_y
      - .offset:         96
        .size:           8
        .value_kind:     hidden_global_offset_z
      - .offset:         104
        .size:           2
        .value_kind:     hidden_grid_dims
    .group_segment_fixed_size: 0
    .kernarg_segment_align: 8
    .kernarg_segment_size: 296
    .language:       OpenCL C
    .language_version:
      - 2
      - 0
    .max_flat_workgroup_size: 1024
    .name:           _ZN9rocsolver6v33100L8addmatA1IfPfEEviiT0_iilPT_
    .private_segment_fixed_size: 0
    .sgpr_count:     19
    .sgpr_spill_count: 0
    .symbol:         _ZN9rocsolver6v33100L8addmatA1IfPfEEviiT0_iilPT_.kd
    .uniform_work_group_size: 1
    .uses_dynamic_stack: false
    .vgpr_count:     6
    .vgpr_spill_count: 0
    .wavefront_size: 64
  - .agpr_count:     0
    .args:
      - .offset:         0
        .size:           4
        .value_kind:     by_value
      - .offset:         4
        .size:           4
        .value_kind:     by_value
      - .offset:         8
        .size:           4
        .value_kind:     by_value
      - .address_space:  global
        .offset:         16
        .size:           8
        .value_kind:     global_buffer
      - .offset:         24
        .size:           4
        .value_kind:     by_value
      - .offset:         28
        .size:           4
        .value_kind:     by_value
      - .offset:         32
        .size:           8
        .value_kind:     by_value
      - .offset:         40
        .size:           4
        .value_kind:     hidden_block_count_x
      - .offset:         44
        .size:           4
        .value_kind:     hidden_block_count_y
      - .offset:         48
        .size:           4
        .value_kind:     hidden_block_count_z
      - .offset:         52
        .size:           2
        .value_kind:     hidden_group_size_x
      - .offset:         54
        .size:           2
        .value_kind:     hidden_group_size_y
      - .offset:         56
        .size:           2
        .value_kind:     hidden_group_size_z
      - .offset:         58
        .size:           2
        .value_kind:     hidden_remainder_x
      - .offset:         60
        .size:           2
        .value_kind:     hidden_remainder_y
      - .offset:         62
        .size:           2
        .value_kind:     hidden_remainder_z
      - .offset:         80
        .size:           8
        .value_kind:     hidden_global_offset_x
      - .offset:         88
        .size:           8
        .value_kind:     hidden_global_offset_y
      - .offset:         96
        .size:           8
        .value_kind:     hidden_global_offset_z
      - .offset:         104
        .size:           2
        .value_kind:     hidden_grid_dims
    .group_segment_fixed_size: 0
    .kernarg_segment_align: 8
    .kernarg_segment_size: 296
    .language:       OpenCL C
    .language_version:
      - 2
      - 0
    .max_flat_workgroup_size: 1024
    .name:           _ZN9rocsolver6v33100L16orgl2_init_identIfPfEEviiiT0_iil
    .private_segment_fixed_size: 0
    .sgpr_count:     20
    .sgpr_spill_count: 0
    .symbol:         _ZN9rocsolver6v33100L16orgl2_init_identIfPfEEviiiT0_iil.kd
    .uniform_work_group_size: 1
    .uses_dynamic_stack: false
    .vgpr_count:     6
    .vgpr_spill_count: 0
    .wavefront_size: 64
  - .agpr_count:     0
    .args:
      - .offset:         0
        .size:           4
        .value_kind:     by_value
      - .offset:         4
        .size:           4
        .value_kind:     by_value
      - .address_space:  global
        .offset:         8
        .size:           8
        .value_kind:     global_buffer
      - .offset:         16
        .size:           4
        .value_kind:     by_value
      - .offset:         20
        .size:           4
        .value_kind:     by_value
      - .offset:         24
        .size:           8
        .value_kind:     by_value
      - .offset:         32
        .size:           4
        .value_kind:     by_value
      - .offset:         40
        .size:           4
        .value_kind:     hidden_block_count_x
      - .offset:         44
        .size:           4
        .value_kind:     hidden_block_count_y
      - .offset:         48
        .size:           4
        .value_kind:     hidden_block_count_z
      - .offset:         52
        .size:           2
        .value_kind:     hidden_group_size_x
      - .offset:         54
        .size:           2
        .value_kind:     hidden_group_size_y
      - .offset:         56
        .size:           2
        .value_kind:     hidden_group_size_z
      - .offset:         58
        .size:           2
        .value_kind:     hidden_remainder_x
      - .offset:         60
        .size:           2
        .value_kind:     hidden_remainder_y
      - .offset:         62
        .size:           2
        .value_kind:     hidden_remainder_z
      - .offset:         80
        .size:           8
        .value_kind:     hidden_global_offset_x
      - .offset:         88
        .size:           8
        .value_kind:     hidden_global_offset_y
      - .offset:         96
        .size:           8
        .value_kind:     hidden_global_offset_z
      - .offset:         104
        .size:           2
        .value_kind:     hidden_grid_dims
    .group_segment_fixed_size: 0
    .kernarg_segment_align: 8
    .kernarg_segment_size: 296
    .language:       OpenCL C
    .language_version:
      - 2
      - 0
    .max_flat_workgroup_size: 1024
    .name:           _ZN9rocsolver6v33100L8set_zeroIfPfEEviiT0_iil13rocblas_fill_
    .private_segment_fixed_size: 0
    .sgpr_count:     13
    .sgpr_spill_count: 0
    .symbol:         _ZN9rocsolver6v33100L8set_zeroIfPfEEviiT0_iil13rocblas_fill_.kd
    .uniform_work_group_size: 1
    .uses_dynamic_stack: false
    .vgpr_count:     4
    .vgpr_spill_count: 0
    .wavefront_size: 64
  - .agpr_count:     0
    .args:
      - .address_space:  global
        .offset:         0
        .size:           8
        .value_kind:     global_buffer
      - .offset:         8
        .size:           8
        .value_kind:     by_value
      - .address_space:  global
        .offset:         16
        .size:           8
        .value_kind:     global_buffer
      - .address_space:  global
        .offset:         24
        .size:           8
        .value_kind:     global_buffer
      - .offset:         32
        .size:           8
        .value_kind:     by_value
      - .offset:         40
        .size:           8
        .value_kind:     by_value
      - .address_space:  global
        .offset:         48
        .size:           8
        .value_kind:     global_buffer
      - .offset:         56
        .size:           8
        .value_kind:     by_value
      - .offset:         64
        .size:           8
        .value_kind:     by_value
    .group_segment_fixed_size: 0
    .kernarg_segment_align: 8
    .kernarg_segment_size: 72
    .language:       OpenCL C
    .language_version:
      - 2
      - 0
    .max_flat_workgroup_size: 1024
    .name:           _ZN9rocsolver6v33100L11set_taubetaIfifPfEEvPT_lS4_T2_llPT1_ll
    .private_segment_fixed_size: 0
    .sgpr_count:     28
    .sgpr_spill_count: 0
    .symbol:         _ZN9rocsolver6v33100L11set_taubetaIfifPfEEvPT_lS4_T2_llPT1_ll.kd
    .uniform_work_group_size: 1
    .uses_dynamic_stack: false
    .vgpr_count:     8
    .vgpr_spill_count: 0
    .wavefront_size: 64
  - .agpr_count:     0
    .args:
      - .address_space:  global
        .offset:         0
        .size:           8
        .value_kind:     global_buffer
      - .offset:         8
        .size:           8
        .value_kind:     by_value
      - .offset:         16
        .size:           8
        .value_kind:     by_value
      - .address_space:  global
        .offset:         24
        .size:           8
        .value_kind:     global_buffer
      - .offset:         32
        .size:           8
        .value_kind:     by_value
      - .offset:         40
        .size:           4
        .value_kind:     by_value
      - .offset:         48
        .size:           8
        .value_kind:     by_value
      - .offset:         56
        .size:           4
        .value_kind:     by_value
      - .offset:         60
        .size:           1
        .value_kind:     by_value
      - .offset:         64
        .size:           4
        .value_kind:     hidden_block_count_x
      - .offset:         68
        .size:           4
        .value_kind:     hidden_block_count_y
      - .offset:         72
        .size:           4
        .value_kind:     hidden_block_count_z
      - .offset:         76
        .size:           2
        .value_kind:     hidden_group_size_x
      - .offset:         78
        .size:           2
        .value_kind:     hidden_group_size_y
      - .offset:         80
        .size:           2
        .value_kind:     hidden_group_size_z
      - .offset:         82
        .size:           2
        .value_kind:     hidden_remainder_x
      - .offset:         84
        .size:           2
        .value_kind:     hidden_remainder_y
      - .offset:         86
        .size:           2
        .value_kind:     hidden_remainder_z
      - .offset:         104
        .size:           8
        .value_kind:     hidden_global_offset_x
      - .offset:         112
        .size:           8
        .value_kind:     hidden_global_offset_y
      - .offset:         120
        .size:           8
        .value_kind:     hidden_global_offset_z
      - .offset:         128
        .size:           2
        .value_kind:     hidden_grid_dims
    .group_segment_fixed_size: 0
    .kernarg_segment_align: 8
    .kernarg_segment_size: 320
    .language:       OpenCL C
    .language_version:
      - 2
      - 0
    .max_flat_workgroup_size: 1024
    .name:           _ZN9rocsolver6v33100L8set_diagIfifPfTnNSt9enable_ifIXoont18rocblas_is_complexIT_E18rocblas_is_complexIT1_EEiE4typeELi0EEEvPS5_llT2_lT0_lSA_b
    .private_segment_fixed_size: 0
    .sgpr_count:     23
    .sgpr_spill_count: 0
    .symbol:         _ZN9rocsolver6v33100L8set_diagIfifPfTnNSt9enable_ifIXoont18rocblas_is_complexIT_E18rocblas_is_complexIT1_EEiE4typeELi0EEEvPS5_llT2_lT0_lSA_b.kd
    .uniform_work_group_size: 1
    .uses_dynamic_stack: false
    .vgpr_count:     6
    .vgpr_spill_count: 0
    .wavefront_size: 64
  - .agpr_count:     0
    .args:
      - .address_space:  global
        .offset:         0
        .size:           8
        .value_kind:     global_buffer
      - .offset:         8
        .size:           8
        .value_kind:     by_value
      - .offset:         16
        .size:           8
        .value_kind:     by_value
      - .address_space:  global
        .offset:         24
        .size:           8
        .value_kind:     global_buffer
      - .offset:         32
        .size:           8
        .value_kind:     by_value
      - .offset:         40
        .size:           4
        .value_kind:     by_value
      - .offset:         48
        .size:           8
        .value_kind:     by_value
      - .offset:         56
        .size:           4
        .value_kind:     by_value
      - .offset:         64
        .size:           4
        .value_kind:     hidden_block_count_x
      - .offset:         68
        .size:           4
        .value_kind:     hidden_block_count_y
      - .offset:         72
        .size:           4
        .value_kind:     hidden_block_count_z
      - .offset:         76
        .size:           2
        .value_kind:     hidden_group_size_x
      - .offset:         78
        .size:           2
        .value_kind:     hidden_group_size_y
      - .offset:         80
        .size:           2
        .value_kind:     hidden_group_size_z
      - .offset:         82
        .size:           2
        .value_kind:     hidden_remainder_x
      - .offset:         84
        .size:           2
        .value_kind:     hidden_remainder_y
      - .offset:         86
        .size:           2
        .value_kind:     hidden_remainder_z
      - .offset:         104
        .size:           8
        .value_kind:     hidden_global_offset_x
      - .offset:         112
        .size:           8
        .value_kind:     hidden_global_offset_y
      - .offset:         120
        .size:           8
        .value_kind:     hidden_global_offset_z
      - .offset:         128
        .size:           2
        .value_kind:     hidden_grid_dims
    .group_segment_fixed_size: 0
    .kernarg_segment_align: 8
    .kernarg_segment_size: 320
    .language:       OpenCL C
    .language_version:
      - 2
      - 0
    .max_flat_workgroup_size: 1024
    .name:           _ZN9rocsolver6v33100L12restore_diagIfifPfEEvPT1_llT2_lT0_lS6_
    .private_segment_fixed_size: 0
    .sgpr_count:     20
    .sgpr_spill_count: 0
    .symbol:         _ZN9rocsolver6v33100L12restore_diagIfifPfEEvPT1_llT2_lT0_lS6_.kd
    .uniform_work_group_size: 1
    .uses_dynamic_stack: false
    .vgpr_count:     5
    .vgpr_spill_count: 0
    .wavefront_size: 64
  - .agpr_count:     0
    .args:
      - .offset:         0
        .size:           4
        .value_kind:     by_value
      - .offset:         4
        .size:           4
        .value_kind:     by_value
      - .address_space:  global
        .offset:         8
        .size:           8
        .value_kind:     global_buffer
      - .offset:         16
        .size:           4
        .value_kind:     by_value
      - .offset:         20
        .size:           4
        .value_kind:     by_value
      - .offset:         24
        .size:           8
        .value_kind:     by_value
      - .address_space:  global
        .offset:         32
        .size:           8
        .value_kind:     global_buffer
      - .offset:         40
        .size:           4
        .value_kind:     by_value
      - .offset:         44
        .size:           4
        .value_kind:     by_value
      - .offset:         48
        .size:           8
        .value_kind:     by_value
      - .offset:         56
        .size:           1
        .value_kind:     by_value
      - .offset:         60
        .size:           4
        .value_kind:     by_value
      - .offset:         64
        .size:           4
        .value_kind:     by_value
      - .offset:         72
        .size:           4
        .value_kind:     hidden_block_count_x
      - .offset:         76
        .size:           4
        .value_kind:     hidden_block_count_y
      - .offset:         80
        .size:           4
        .value_kind:     hidden_block_count_z
      - .offset:         84
        .size:           2
        .value_kind:     hidden_group_size_x
      - .offset:         86
        .size:           2
        .value_kind:     hidden_group_size_y
      - .offset:         88
        .size:           2
        .value_kind:     hidden_group_size_z
      - .offset:         90
        .size:           2
        .value_kind:     hidden_remainder_x
      - .offset:         92
        .size:           2
        .value_kind:     hidden_remainder_y
      - .offset:         94
        .size:           2
        .value_kind:     hidden_remainder_z
      - .offset:         112
        .size:           8
        .value_kind:     hidden_global_offset_x
      - .offset:         120
        .size:           8
        .value_kind:     hidden_global_offset_y
      - .offset:         128
        .size:           8
        .value_kind:     hidden_global_offset_z
      - .offset:         136
        .size:           2
        .value_kind:     hidden_grid_dims
    .group_segment_fixed_size: 0
    .kernarg_segment_align: 8
    .kernarg_segment_size: 328
    .language:       OpenCL C
    .language_version:
      - 2
      - 0
    .max_flat_workgroup_size: 1024
    .name:           _ZN9rocsolver6v33100L8copy_matIfPfS2_NS0_7no_maskEEEviiT0_iilT1_iilT2_13rocblas_fill_17rocblas_diagonal_
    .private_segment_fixed_size: 0
    .sgpr_count:     24
    .sgpr_spill_count: 0
    .symbol:         _ZN9rocsolver6v33100L8copy_matIfPfS2_NS0_7no_maskEEEviiT0_iilT1_iilT2_13rocblas_fill_17rocblas_diagonal_.kd
    .uniform_work_group_size: 1
    .uses_dynamic_stack: false
    .vgpr_count:     6
    .vgpr_spill_count: 0
    .wavefront_size: 64
  - .agpr_count:     0
    .args:
      - .offset:         0
        .size:           1
        .value_kind:     by_value
      - .offset:         4
        .size:           4
        .value_kind:     by_value
      - .address_space:  global
        .offset:         8
        .size:           8
        .value_kind:     global_buffer
      - .offset:         16
        .size:           4
        .value_kind:     by_value
      - .offset:         20
        .size:           4
        .value_kind:     by_value
      - .offset:         24
        .size:           8
        .value_kind:     by_value
      - .address_space:  global
        .offset:         32
        .size:           8
        .value_kind:     global_buffer
      - .offset:         40
        .size:           4
        .value_kind:     by_value
      - .offset:         44
        .size:           4
        .value_kind:     by_value
      - .offset:         48
        .size:           8
        .value_kind:     by_value
      - .offset:         56
        .size:           4
        .value_kind:     hidden_block_count_x
      - .offset:         60
        .size:           4
        .value_kind:     hidden_block_count_y
      - .offset:         64
        .size:           4
        .value_kind:     hidden_block_count_z
      - .offset:         68
        .size:           2
        .value_kind:     hidden_group_size_x
      - .offset:         70
        .size:           2
        .value_kind:     hidden_group_size_y
      - .offset:         72
        .size:           2
        .value_kind:     hidden_group_size_z
      - .offset:         74
        .size:           2
        .value_kind:     hidden_remainder_x
      - .offset:         76
        .size:           2
        .value_kind:     hidden_remainder_y
      - .offset:         78
        .size:           2
        .value_kind:     hidden_remainder_z
      - .offset:         96
        .size:           8
        .value_kind:     hidden_global_offset_x
      - .offset:         104
        .size:           8
        .value_kind:     hidden_global_offset_y
      - .offset:         112
        .size:           8
        .value_kind:     hidden_global_offset_z
      - .offset:         120
        .size:           2
        .value_kind:     hidden_grid_dims
    .group_segment_fixed_size: 0
    .kernarg_segment_align: 8
    .kernarg_segment_size: 312
    .language:       OpenCL C
    .language_version:
      - 2
      - 0
    .max_flat_workgroup_size: 1024
    .name:           _ZN9rocsolver6v33100L15copyshift_rightIfPfEEvbiT0_iilPT_iil
    .private_segment_fixed_size: 0
    .sgpr_count:     24
    .sgpr_spill_count: 0
    .symbol:         _ZN9rocsolver6v33100L15copyshift_rightIfPfEEvbiT0_iilPT_iil.kd
    .uniform_work_group_size: 1
    .uses_dynamic_stack: false
    .vgpr_count:     8
    .vgpr_spill_count: 0
    .wavefront_size: 64
  - .agpr_count:     0
    .args:
      - .offset:         0
        .size:           1
        .value_kind:     by_value
      - .offset:         4
        .size:           4
        .value_kind:     by_value
      - .address_space:  global
        .offset:         8
        .size:           8
        .value_kind:     global_buffer
      - .offset:         16
        .size:           4
        .value_kind:     by_value
      - .offset:         20
        .size:           4
        .value_kind:     by_value
      - .offset:         24
        .size:           8
        .value_kind:     by_value
      - .address_space:  global
        .offset:         32
        .size:           8
        .value_kind:     global_buffer
      - .offset:         40
        .size:           4
        .value_kind:     by_value
      - .offset:         44
        .size:           4
        .value_kind:     by_value
      - .offset:         48
        .size:           8
        .value_kind:     by_value
      - .offset:         56
        .size:           4
        .value_kind:     hidden_block_count_x
      - .offset:         60
        .size:           4
        .value_kind:     hidden_block_count_y
      - .offset:         64
        .size:           4
        .value_kind:     hidden_block_count_z
      - .offset:         68
        .size:           2
        .value_kind:     hidden_group_size_x
      - .offset:         70
        .size:           2
        .value_kind:     hidden_group_size_y
      - .offset:         72
        .size:           2
        .value_kind:     hidden_group_size_z
      - .offset:         74
        .size:           2
        .value_kind:     hidden_remainder_x
      - .offset:         76
        .size:           2
        .value_kind:     hidden_remainder_y
      - .offset:         78
        .size:           2
        .value_kind:     hidden_remainder_z
      - .offset:         96
        .size:           8
        .value_kind:     hidden_global_offset_x
      - .offset:         104
        .size:           8
        .value_kind:     hidden_global_offset_y
      - .offset:         112
        .size:           8
        .value_kind:     hidden_global_offset_z
      - .offset:         120
        .size:           2
        .value_kind:     hidden_grid_dims
    .group_segment_fixed_size: 0
    .kernarg_segment_align: 8
    .kernarg_segment_size: 312
    .language:       OpenCL C
    .language_version:
      - 2
      - 0
    .max_flat_workgroup_size: 1024
    .name:           _ZN9rocsolver6v33100L14copyshift_downIfPfEEvbiT0_iilPT_iil
    .private_segment_fixed_size: 0
    .sgpr_count:     22
    .sgpr_spill_count: 0
    .symbol:         _ZN9rocsolver6v33100L14copyshift_downIfPfEEvbiT0_iilPT_iil.kd
    .uniform_work_group_size: 1
    .uses_dynamic_stack: false
    .vgpr_count:     10
    .vgpr_spill_count: 0
    .wavefront_size: 64
  - .agpr_count:     0
    .args:
      - .offset:         0
        .size:           4
        .value_kind:     by_value
      - .offset:         4
        .size:           4
        .value_kind:     by_value
      - .offset:         8
        .size:           4
        .value_kind:     by_value
      - .address_space:  global
        .offset:         16
        .size:           8
        .value_kind:     global_buffer
      - .offset:         24
        .size:           8
        .value_kind:     by_value
      - .address_space:  global
        .offset:         32
        .size:           8
        .value_kind:     global_buffer
      - .offset:         40
        .size:           8
        .value_kind:     by_value
      - .address_space:  global
        .offset:         48
        .size:           8
        .value_kind:     global_buffer
      - .offset:         56
        .size:           4
        .value_kind:     by_value
      - .offset:         60
        .size:           4
        .value_kind:     by_value
      - .offset:         64
        .size:           8
        .value_kind:     by_value
      - .address_space:  global
        .offset:         72
        .size:           8
        .value_kind:     global_buffer
      - .offset:         80
        .size:           4
        .value_kind:     by_value
      - .offset:         84
        .size:           4
        .value_kind:     by_value
      - .offset:         88
        .size:           8
        .value_kind:     by_value
      - .address_space:  global
        .offset:         96
        .size:           8
        .value_kind:     global_buffer
      - .address_space:  global
        .offset:         104
        .size:           8
        .value_kind:     global_buffer
      - .offset:         112
        .size:           8
        .value_kind:     by_value
      - .address_space:  global
        .offset:         120
        .size:           8
        .value_kind:     global_buffer
      - .offset:         128
        .size:           4
        .value_kind:     hidden_block_count_x
      - .offset:         132
        .size:           4
        .value_kind:     hidden_block_count_y
      - .offset:         136
        .size:           4
        .value_kind:     hidden_block_count_z
      - .offset:         140
        .size:           2
        .value_kind:     hidden_group_size_x
      - .offset:         142
        .size:           2
        .value_kind:     hidden_group_size_y
      - .offset:         144
        .size:           2
        .value_kind:     hidden_group_size_z
      - .offset:         146
        .size:           2
        .value_kind:     hidden_remainder_x
      - .offset:         148
        .size:           2
        .value_kind:     hidden_remainder_y
      - .offset:         150
        .size:           2
        .value_kind:     hidden_remainder_z
      - .offset:         168
        .size:           8
        .value_kind:     hidden_global_offset_x
      - .offset:         176
        .size:           8
        .value_kind:     hidden_global_offset_y
      - .offset:         184
        .size:           8
        .value_kind:     hidden_global_offset_z
      - .offset:         192
        .size:           2
        .value_kind:     hidden_grid_dims
    .group_segment_fixed_size: 0
    .kernarg_segment_align: 8
    .kernarg_segment_size: 384
    .language:       OpenCL C
    .language_version:
      - 2
      - 0
    .max_flat_workgroup_size: 1024
    .name:           _ZN9rocsolver6v33100L17bdsqr_lower2upperIffPfS2_EEviiiPT0_lS4_lT1_iilT2_iilPiS4_lS7_
    .private_segment_fixed_size: 0
    .sgpr_count:     40
    .sgpr_spill_count: 0
    .symbol:         _ZN9rocsolver6v33100L17bdsqr_lower2upperIffPfS2_EEviiiPT0_lS4_lT1_iilT2_iilPiS4_lS7_.kd
    .uniform_work_group_size: 1
    .uses_dynamic_stack: false
    .vgpr_count:     16
    .vgpr_spill_count: 0
    .wavefront_size: 64
  - .agpr_count:     0
    .args:
      - .offset:         0
        .size:           4
        .value_kind:     by_value
      - .offset:         4
        .size:           4
        .value_kind:     by_value
      - .offset:         8
        .size:           4
        .value_kind:     by_value
      - .offset:         12
        .size:           4
        .value_kind:     by_value
      - .address_space:  global
        .offset:         16
        .size:           8
        .value_kind:     global_buffer
      - .offset:         24
        .size:           8
        .value_kind:     by_value
      - .address_space:  global
        .offset:         32
        .size:           8
        .value_kind:     global_buffer
      - .offset:         40
        .size:           8
        .value_kind:     by_value
      - .address_space:  global
        .offset:         48
        .size:           8
        .value_kind:     global_buffer
      - .offset:         56
        .size:           4
        .value_kind:     by_value
      - .offset:         60
        .size:           4
        .value_kind:     by_value
      - .offset:         64
        .size:           8
        .value_kind:     by_value
      - .address_space:  global
        .offset:         72
        .size:           8
        .value_kind:     global_buffer
      - .offset:         80
        .size:           4
        .value_kind:     by_value
      - .offset:         84
        .size:           4
        .value_kind:     by_value
      - .offset:         88
        .size:           8
        .value_kind:     by_value
      - .address_space:  global
        .offset:         96
        .size:           8
        .value_kind:     global_buffer
      - .offset:         104
        .size:           4
        .value_kind:     by_value
      - .offset:         108
        .size:           4
        .value_kind:     by_value
      - .offset:         112
        .size:           8
        .value_kind:     by_value
      - .offset:         120
        .size:           4
        .value_kind:     by_value
      - .offset:         124
        .size:           4
        .value_kind:     by_value
      - .offset:         128
        .size:           4
        .value_kind:     by_value
      - .offset:         132
        .size:           4
        .value_kind:     by_value
      - .offset:         136
        .size:           4
        .value_kind:     by_value
      - .address_space:  global
        .offset:         144
        .size:           8
        .value_kind:     global_buffer
      - .address_space:  global
        .offset:         152
        .size:           8
        .value_kind:     global_buffer
      - .offset:         160
        .size:           4
        .value_kind:     by_value
      - .offset:         168
        .size:           8
        .value_kind:     by_value
      - .address_space:  global
        .offset:         176
        .size:           8
        .value_kind:     global_buffer
      - .offset:         184
        .size:           4
        .value_kind:     hidden_block_count_x
      - .offset:         188
        .size:           4
        .value_kind:     hidden_block_count_y
      - .offset:         192
        .size:           4
        .value_kind:     hidden_block_count_z
      - .offset:         196
        .size:           2
        .value_kind:     hidden_group_size_x
      - .offset:         198
        .size:           2
        .value_kind:     hidden_group_size_y
      - .offset:         200
        .size:           2
        .value_kind:     hidden_group_size_z
      - .offset:         202
        .size:           2
        .value_kind:     hidden_remainder_x
      - .offset:         204
        .size:           2
        .value_kind:     hidden_remainder_y
      - .offset:         206
        .size:           2
        .value_kind:     hidden_remainder_z
      - .offset:         224
        .size:           8
        .value_kind:     hidden_global_offset_x
      - .offset:         232
        .size:           8
        .value_kind:     hidden_global_offset_y
      - .offset:         240
        .size:           8
        .value_kind:     hidden_global_offset_z
      - .offset:         248
        .size:           2
        .value_kind:     hidden_grid_dims
    .group_segment_fixed_size: 1040
    .kernarg_segment_align: 8
    .kernarg_segment_size: 440
    .language:       OpenCL C
    .language_version:
      - 2
      - 0
    .max_flat_workgroup_size: 1024
    .name:           _ZN9rocsolver6v33100L13bdsqr_computeILi256EffPfS2_S2_EEviiiiPT1_lS4_lT2_iilT3_iilT4_iiliS3_S3_S3_S3_PiS4_ilS8_
    .private_segment_fixed_size: 0
    .sgpr_count:     100
    .sgpr_spill_count: 27
    .symbol:         _ZN9rocsolver6v33100L13bdsqr_computeILi256EffPfS2_S2_EEviiiiPT1_lS4_lT2_iilT3_iilT4_iiliS3_S3_S3_S3_PiS4_ilS8_.kd
    .uniform_work_group_size: 1
    .uses_dynamic_stack: false
    .vgpr_count:     32
    .vgpr_spill_count: 0
    .wavefront_size: 64
  - .agpr_count:     0
    .args:
      - .offset:         0
        .size:           4
        .value_kind:     by_value
      - .offset:         4
        .size:           4
        .value_kind:     by_value
      - .offset:         8
        .size:           4
        .value_kind:     by_value
      - .offset:         12
        .size:           4
        .value_kind:     by_value
      - .address_space:  global
        .offset:         16
        .size:           8
        .value_kind:     global_buffer
      - .offset:         24
        .size:           4
        .value_kind:     by_value
      - .offset:         28
        .size:           4
        .value_kind:     by_value
      - .offset:         32
        .size:           8
        .value_kind:     by_value
      - .address_space:  global
        .offset:         40
        .size:           8
        .value_kind:     global_buffer
      - .offset:         48
        .size:           4
        .value_kind:     by_value
      - .offset:         52
        .size:           4
        .value_kind:     by_value
      - .offset:         56
        .size:           8
        .value_kind:     by_value
      - .address_space:  global
        .offset:         64
        .size:           8
        .value_kind:     global_buffer
      - .offset:         72
        .size:           4
        .value_kind:     by_value
      - .offset:         76
        .size:           4
        .value_kind:     by_value
      - .offset:         80
        .size:           8
        .value_kind:     by_value
      - .offset:         88
        .size:           4
        .value_kind:     by_value
      - .address_space:  global
        .offset:         96
        .size:           8
        .value_kind:     global_buffer
      - .address_space:  global
        .offset:         104
        .size:           8
        .value_kind:     global_buffer
      - .offset:         112
        .size:           4
        .value_kind:     by_value
      - .offset:         120
        .size:           8
        .value_kind:     by_value
      - .address_space:  global
        .offset:         128
        .size:           8
        .value_kind:     global_buffer
      - .offset:         136
        .size:           4
        .value_kind:     hidden_block_count_x
      - .offset:         140
        .size:           4
        .value_kind:     hidden_block_count_y
      - .offset:         144
        .size:           4
        .value_kind:     hidden_block_count_z
      - .offset:         148
        .size:           2
        .value_kind:     hidden_group_size_x
      - .offset:         150
        .size:           2
        .value_kind:     hidden_group_size_y
      - .offset:         152
        .size:           2
        .value_kind:     hidden_group_size_z
      - .offset:         154
        .size:           2
        .value_kind:     hidden_remainder_x
      - .offset:         156
        .size:           2
        .value_kind:     hidden_remainder_y
      - .offset:         158
        .size:           2
        .value_kind:     hidden_remainder_z
      - .offset:         176
        .size:           8
        .value_kind:     hidden_global_offset_x
      - .offset:         184
        .size:           8
        .value_kind:     hidden_global_offset_y
      - .offset:         192
        .size:           8
        .value_kind:     hidden_global_offset_z
      - .offset:         200
        .size:           2
        .value_kind:     hidden_grid_dims
    .group_segment_fixed_size: 0
    .kernarg_segment_align: 8
    .kernarg_segment_size: 392
    .language:       OpenCL C
    .language_version:
      - 2
      - 0
    .max_flat_workgroup_size: 1024
    .name:           _ZN9rocsolver6v33100L12bdsqr_rotateIffPfS2_S2_EEviiiiT1_iilT2_iilT3_iiliPiPT0_ilS6_
    .private_segment_fixed_size: 0
    .sgpr_count:     54
    .sgpr_spill_count: 0
    .symbol:         _ZN9rocsolver6v33100L12bdsqr_rotateIffPfS2_S2_EEviiiiT1_iilT2_iilT3_iiliPiPT0_ilS6_.kd
    .uniform_work_group_size: 1
    .uses_dynamic_stack: false
    .vgpr_count:     18
    .vgpr_spill_count: 0
    .wavefront_size: 64
  - .agpr_count:     0
    .args:
      - .offset:         0
        .size:           4
        .value_kind:     by_value
      - .offset:         4
        .size:           4
        .value_kind:     by_value
      - .offset:         8
        .size:           4
        .value_kind:     by_value
      - .offset:         12
        .size:           4
        .value_kind:     by_value
      - .address_space:  global
        .offset:         16
        .size:           8
        .value_kind:     global_buffer
      - .offset:         24
        .size:           8
        .value_kind:     by_value
      - .address_space:  global
        .offset:         32
        .size:           8
        .value_kind:     global_buffer
      - .offset:         40
        .size:           8
        .value_kind:     by_value
      - .address_space:  global
        .offset:         48
        .size:           8
        .value_kind:     global_buffer
      - .offset:         56
        .size:           4
        .value_kind:     by_value
      - .offset:         60
        .size:           4
        .value_kind:     by_value
      - .offset:         64
        .size:           8
        .value_kind:     by_value
      - .address_space:  global
        .offset:         72
        .size:           8
        .value_kind:     global_buffer
      - .offset:         80
        .size:           4
        .value_kind:     by_value
      - .offset:         84
        .size:           4
        .value_kind:     by_value
      - .offset:         88
        .size:           8
        .value_kind:     by_value
      - .address_space:  global
        .offset:         96
        .size:           8
        .value_kind:     global_buffer
      - .offset:         104
        .size:           4
        .value_kind:     by_value
      - .offset:         108
        .size:           4
        .value_kind:     by_value
      - .offset:         112
        .size:           8
        .value_kind:     by_value
      - .address_space:  global
        .offset:         120
        .size:           8
        .value_kind:     global_buffer
      - .address_space:  global
        .offset:         128
        .size:           8
        .value_kind:     global_buffer
      - .address_space:  global
        .offset:         136
        .size:           8
        .value_kind:     global_buffer
      - .offset:         144
        .size:           4
        .value_kind:     hidden_block_count_x
      - .offset:         148
        .size:           4
        .value_kind:     hidden_block_count_y
      - .offset:         152
        .size:           4
        .value_kind:     hidden_block_count_z
      - .offset:         156
        .size:           2
        .value_kind:     hidden_group_size_x
      - .offset:         158
        .size:           2
        .value_kind:     hidden_group_size_y
      - .offset:         160
        .size:           2
        .value_kind:     hidden_group_size_z
      - .offset:         162
        .size:           2
        .value_kind:     hidden_remainder_x
      - .offset:         164
        .size:           2
        .value_kind:     hidden_remainder_y
      - .offset:         166
        .size:           2
        .value_kind:     hidden_remainder_z
      - .offset:         184
        .size:           8
        .value_kind:     hidden_global_offset_x
      - .offset:         192
        .size:           8
        .value_kind:     hidden_global_offset_y
      - .offset:         200
        .size:           8
        .value_kind:     hidden_global_offset_z
      - .offset:         208
        .size:           2
        .value_kind:     hidden_grid_dims
      - .offset:         224
        .size:           8
        .value_kind:     hidden_hostcall_buffer
    .group_segment_fixed_size: 0
    .kernarg_segment_align: 8
    .kernarg_segment_size: 400
    .language:       OpenCL C
    .language_version:
      - 2
      - 0
    .max_flat_workgroup_size: 1024
    .name:           _ZN9rocsolver6v33100L14bdsqr_finalizeIffPfS2_S2_EEviiiiPT0_lS4_lT1_iilT2_iilT3_iilPiS8_S8_
    .private_segment_fixed_size: 64
    .sgpr_count:     84
    .sgpr_spill_count: 0
    .symbol:         _ZN9rocsolver6v33100L14bdsqr_finalizeIffPfS2_S2_EEviiiiPT0_lS4_lT1_iilT2_iilT3_iilPiS8_S8_.kd
    .uniform_work_group_size: 1
    .uses_dynamic_stack: false
    .vgpr_count:     45
    .vgpr_spill_count: 0
    .wavefront_size: 64
  - .agpr_count:     0
    .args:
      - .offset:         0
        .size:           4
        .value_kind:     by_value
      - .offset:         4
        .size:           4
        .value_kind:     by_value
      - .address_space:  global
        .offset:         8
        .size:           8
        .value_kind:     global_buffer
      - .offset:         16
        .size:           4
        .value_kind:     by_value
      - .offset:         20
        .size:           4
        .value_kind:     by_value
      - .offset:         24
        .size:           8
        .value_kind:     by_value
      - .address_space:  global
        .offset:         32
        .size:           8
        .value_kind:     global_buffer
      - .offset:         40
        .size:           4
        .value_kind:     by_value
      - .offset:         44
        .size:           4
        .value_kind:     by_value
      - .offset:         48
        .size:           8
        .value_kind:     by_value
      - .offset:         56
        .size:           1
        .value_kind:     by_value
      - .offset:         60
        .size:           4
        .value_kind:     by_value
      - .offset:         64
        .size:           4
        .value_kind:     by_value
      - .offset:         72
        .size:           4
        .value_kind:     hidden_block_count_x
      - .offset:         76
        .size:           4
        .value_kind:     hidden_block_count_y
      - .offset:         80
        .size:           4
        .value_kind:     hidden_block_count_z
      - .offset:         84
        .size:           2
        .value_kind:     hidden_group_size_x
      - .offset:         86
        .size:           2
        .value_kind:     hidden_group_size_y
      - .offset:         88
        .size:           2
        .value_kind:     hidden_group_size_z
      - .offset:         90
        .size:           2
        .value_kind:     hidden_remainder_x
      - .offset:         92
        .size:           2
        .value_kind:     hidden_remainder_y
      - .offset:         94
        .size:           2
        .value_kind:     hidden_remainder_z
      - .offset:         112
        .size:           8
        .value_kind:     hidden_global_offset_x
      - .offset:         120
        .size:           8
        .value_kind:     hidden_global_offset_y
      - .offset:         128
        .size:           8
        .value_kind:     hidden_global_offset_z
      - .offset:         136
        .size:           2
        .value_kind:     hidden_grid_dims
    .group_segment_fixed_size: 0
    .kernarg_segment_align: 8
    .kernarg_segment_size: 328
    .language:       OpenCL C
    .language_version:
      - 2
      - 0
    .max_flat_workgroup_size: 1024
    .name:           _ZN9rocsolver6v33100L8copy_matIfPfPKS2_NS0_7no_maskEEEviiT0_iilT1_iilT2_13rocblas_fill_17rocblas_diagonal_
    .private_segment_fixed_size: 0
    .sgpr_count:     24
    .sgpr_spill_count: 0
    .symbol:         _ZN9rocsolver6v33100L8copy_matIfPfPKS2_NS0_7no_maskEEEviiT0_iilT1_iilT2_13rocblas_fill_17rocblas_diagonal_.kd
    .uniform_work_group_size: 1
    .uses_dynamic_stack: false
    .vgpr_count:     6
    .vgpr_spill_count: 0
    .wavefront_size: 64
  - .agpr_count:     0
    .args:
      - .address_space:  global
        .offset:         0
        .size:           8
        .value_kind:     global_buffer
      - .offset:         8
        .size:           4
        .value_kind:     by_value
      - .offset:         16
        .size:           8
        .value_kind:     by_value
    .group_segment_fixed_size: 0
    .kernarg_segment_align: 8
    .kernarg_segment_size: 24
    .language:       OpenCL C
    .language_version:
      - 2
      - 0
    .max_flat_workgroup_size: 32
    .name:           _ZN9rocsolver6v33100L6iota_nIdEEvPT_jS2_
    .private_segment_fixed_size: 0
    .sgpr_count:     10
    .sgpr_spill_count: 0
    .symbol:         _ZN9rocsolver6v33100L6iota_nIdEEvPT_jS2_.kd
    .uniform_work_group_size: 1
    .uses_dynamic_stack: false
    .vgpr_count:     3
    .vgpr_spill_count: 0
    .wavefront_size: 64
  - .agpr_count:     0
    .args:
      - .offset:         0
        .size:           4
        .value_kind:     by_value
      - .offset:         4
        .size:           4
        .value_kind:     by_value
      - .address_space:  global
        .offset:         8
        .size:           8
        .value_kind:     global_buffer
      - .offset:         16
        .size:           8
        .value_kind:     by_value
      - .offset:         24
        .size:           4
        .value_kind:     by_value
      - .offset:         32
        .size:           8
        .value_kind:     by_value
      - .address_space:  global
        .offset:         40
        .size:           8
        .value_kind:     global_buffer
      - .offset:         48
        .size:           8
        .value_kind:     by_value
      - .address_space:  global
        .offset:         56
        .size:           8
        .value_kind:     global_buffer
      - .offset:         64
        .size:           8
        .value_kind:     by_value
    .group_segment_fixed_size: 0
    .kernarg_segment_align: 8
    .kernarg_segment_size: 72
    .language:       OpenCL C
    .language_version:
      - 2
      - 0
    .max_flat_workgroup_size: 256
    .name:           _ZN9rocsolver6v33100L18geqr2_kernel_smallILi256EdidPKPdEEvT1_S5_T3_lS5_lPT2_lPT0_l
    .private_segment_fixed_size: 0
    .sgpr_count:     54
    .sgpr_spill_count: 0
    .symbol:         _ZN9rocsolver6v33100L18geqr2_kernel_smallILi256EdidPKPdEEvT1_S5_T3_lS5_lPT2_lPT0_l.kd
    .uniform_work_group_size: 1
    .uses_dynamic_stack: false
    .vgpr_count:     36
    .vgpr_spill_count: 0
    .wavefront_size: 64
  - .agpr_count:     0
    .args:
      - .address_space:  global
        .offset:         0
        .size:           8
        .value_kind:     global_buffer
      - .offset:         8
        .size:           8
        .value_kind:     by_value
      - .offset:         16
        .size:           4
        .value_kind:     by_value
      - .offset:         20
        .size:           4
        .value_kind:     by_value
      - .offset:         24
        .size:           4
        .value_kind:     hidden_block_count_x
      - .offset:         28
        .size:           4
        .value_kind:     hidden_block_count_y
      - .offset:         32
        .size:           4
        .value_kind:     hidden_block_count_z
      - .offset:         36
        .size:           2
        .value_kind:     hidden_group_size_x
      - .offset:         38
        .size:           2
        .value_kind:     hidden_group_size_y
      - .offset:         40
        .size:           2
        .value_kind:     hidden_group_size_z
      - .offset:         42
        .size:           2
        .value_kind:     hidden_remainder_x
      - .offset:         44
        .size:           2
        .value_kind:     hidden_remainder_y
      - .offset:         46
        .size:           2
        .value_kind:     hidden_remainder_z
      - .offset:         64
        .size:           8
        .value_kind:     hidden_global_offset_x
      - .offset:         72
        .size:           8
        .value_kind:     hidden_global_offset_y
      - .offset:         80
        .size:           8
        .value_kind:     hidden_global_offset_z
      - .offset:         88
        .size:           2
        .value_kind:     hidden_grid_dims
    .group_segment_fixed_size: 0
    .kernarg_segment_align: 8
    .kernarg_segment_size: 280
    .language:       OpenCL C
    .language_version:
      - 2
      - 0
    .max_flat_workgroup_size: 1024
    .name:           _ZN9rocsolver6v33100L16reset_batch_infoIdiiPdEEvT2_lT0_T1_
    .private_segment_fixed_size: 0
    .sgpr_count:     16
    .sgpr_spill_count: 0
    .symbol:         _ZN9rocsolver6v33100L16reset_batch_infoIdiiPdEEvT2_lT0_T1_.kd
    .uniform_work_group_size: 1
    .uses_dynamic_stack: false
    .vgpr_count:     4
    .vgpr_spill_count: 0
    .wavefront_size: 64
  - .agpr_count:     0
    .args:
      - .address_space:  global
        .offset:         0
        .size:           8
        .value_kind:     global_buffer
      - .offset:         8
        .size:           8
        .value_kind:     by_value
      - .offset:         16
        .size:           8
        .value_kind:     by_value
      - .address_space:  global
        .offset:         24
        .size:           8
        .value_kind:     global_buffer
      - .offset:         32
        .size:           8
        .value_kind:     by_value
      - .offset:         40
        .size:           4
        .value_kind:     by_value
      - .offset:         48
        .size:           8
        .value_kind:     by_value
      - .offset:         56
        .size:           4
        .value_kind:     by_value
      - .offset:         60
        .size:           1
        .value_kind:     by_value
      - .offset:         64
        .size:           4
        .value_kind:     hidden_block_count_x
      - .offset:         68
        .size:           4
        .value_kind:     hidden_block_count_y
      - .offset:         72
        .size:           4
        .value_kind:     hidden_block_count_z
      - .offset:         76
        .size:           2
        .value_kind:     hidden_group_size_x
      - .offset:         78
        .size:           2
        .value_kind:     hidden_group_size_y
      - .offset:         80
        .size:           2
        .value_kind:     hidden_group_size_z
      - .offset:         82
        .size:           2
        .value_kind:     hidden_remainder_x
      - .offset:         84
        .size:           2
        .value_kind:     hidden_remainder_y
      - .offset:         86
        .size:           2
        .value_kind:     hidden_remainder_z
      - .offset:         104
        .size:           8
        .value_kind:     hidden_global_offset_x
      - .offset:         112
        .size:           8
        .value_kind:     hidden_global_offset_y
      - .offset:         120
        .size:           8
        .value_kind:     hidden_global_offset_z
      - .offset:         128
        .size:           2
        .value_kind:     hidden_grid_dims
    .group_segment_fixed_size: 0
    .kernarg_segment_align: 8
    .kernarg_segment_size: 320
    .language:       OpenCL C
    .language_version:
      - 2
      - 0
    .max_flat_workgroup_size: 1024
    .name:           _ZN9rocsolver6v33100L8set_diagIdidPKPdTnNSt9enable_ifIXoont18rocblas_is_complexIT_E18rocblas_is_complexIT1_EEiE4typeELi0EEEvPS7_llT2_lT0_lSC_b
    .private_segment_fixed_size: 0
    .sgpr_count:     21
    .sgpr_spill_count: 0
    .symbol:         _ZN9rocsolver6v33100L8set_diagIdidPKPdTnNSt9enable_ifIXoont18rocblas_is_complexIT_E18rocblas_is_complexIT1_EEiE4typeELi0EEEvPS7_llT2_lT0_lSC_b.kd
    .uniform_work_group_size: 1
    .uses_dynamic_stack: false
    .vgpr_count:     8
    .vgpr_spill_count: 0
    .wavefront_size: 64
  - .agpr_count:     0
    .args:
      - .address_space:  global
        .offset:         0
        .size:           8
        .value_kind:     global_buffer
      - .offset:         8
        .size:           8
        .value_kind:     by_value
      - .address_space:  global
        .offset:         16
        .size:           8
        .value_kind:     global_buffer
      - .address_space:  global
        .offset:         24
        .size:           8
        .value_kind:     global_buffer
      - .offset:         32
        .size:           8
        .value_kind:     by_value
      - .offset:         40
        .size:           8
        .value_kind:     by_value
      - .address_space:  global
        .offset:         48
        .size:           8
        .value_kind:     global_buffer
      - .offset:         56
        .size:           8
        .value_kind:     by_value
      - .offset:         64
        .size:           8
        .value_kind:     by_value
    .group_segment_fixed_size: 0
    .kernarg_segment_align: 8
    .kernarg_segment_size: 72
    .language:       OpenCL C
    .language_version:
      - 2
      - 0
    .max_flat_workgroup_size: 1024
    .name:           _ZN9rocsolver6v33100L11set_taubetaIdidPKPdEEvPT_lS6_T2_llPT1_ll
    .private_segment_fixed_size: 0
    .sgpr_count:     28
    .sgpr_spill_count: 0
    .symbol:         _ZN9rocsolver6v33100L11set_taubetaIdidPKPdEEvPT_lS6_T2_llPT1_ll.kd
    .uniform_work_group_size: 1
    .uses_dynamic_stack: false
    .vgpr_count:     13
    .vgpr_spill_count: 0
    .wavefront_size: 64
  - .agpr_count:     0
    .args:
      - .offset:         0
        .size:           4
        .value_kind:     by_value
      - .offset:         4
        .size:           4
        .value_kind:     by_value
      - .address_space:  global
        .offset:         8
        .size:           8
        .value_kind:     global_buffer
      - .offset:         16
        .size:           8
        .value_kind:     by_value
      - .offset:         24
        .size:           4
        .value_kind:     by_value
      - .offset:         32
        .size:           8
        .value_kind:     by_value
    .group_segment_fixed_size: 0
    .kernarg_segment_align: 8
    .kernarg_segment_size: 40
    .language:       OpenCL C
    .language_version:
      - 2
      - 0
    .max_flat_workgroup_size: 1024
    .name:           _ZN9rocsolver6v33100L13conj_in_placeIdiPdTnNSt9enable_ifIXnt18rocblas_is_complexIT_EEiE4typeELi0EEEvT0_S7_T1_lS7_l
    .private_segment_fixed_size: 0
    .sgpr_count:     4
    .sgpr_spill_count: 0
    .symbol:         _ZN9rocsolver6v33100L13conj_in_placeIdiPdTnNSt9enable_ifIXnt18rocblas_is_complexIT_EEiE4typeELi0EEEvT0_S7_T1_lS7_l.kd
    .uniform_work_group_size: 1
    .uses_dynamic_stack: false
    .vgpr_count:     0
    .vgpr_spill_count: 0
    .wavefront_size: 64
  - .agpr_count:     0
    .args:
      - .offset:         0
        .size:           4
        .value_kind:     by_value
      - .offset:         4
        .size:           4
        .value_kind:     by_value
      - .address_space:  global
        .offset:         8
        .size:           8
        .value_kind:     global_buffer
      - .offset:         16
        .size:           8
        .value_kind:     by_value
      - .offset:         24
        .size:           4
        .value_kind:     by_value
      - .offset:         32
        .size:           8
        .value_kind:     by_value
      - .address_space:  global
        .offset:         40
        .size:           8
        .value_kind:     global_buffer
      - .offset:         48
        .size:           8
        .value_kind:     by_value
      - .address_space:  global
        .offset:         56
        .size:           8
        .value_kind:     global_buffer
      - .offset:         64
        .size:           8
        .value_kind:     by_value
      - .offset:         72
        .size:           4
        .value_kind:     by_value
      - .offset:         80
        .size:           8
        .value_kind:     by_value
    .group_segment_fixed_size: 0
    .kernarg_segment_align: 8
    .kernarg_segment_size: 88
    .language:       OpenCL C
    .language_version:
      - 2
      - 0
    .max_flat_workgroup_size: 1024
    .name:           _ZN9rocsolver6v33100L16larf_left_kernelILi1024EdiPKPdEEvT1_S5_T2_lS5_lPKT0_lS6_lS5_l
    .private_segment_fixed_size: 0
    .sgpr_count:     32
    .sgpr_spill_count: 0
    .symbol:         _ZN9rocsolver6v33100L16larf_left_kernelILi1024EdiPKPdEEvT1_S5_T2_lS5_lPKT0_lS6_lS5_l.kd
    .uniform_work_group_size: 1
    .uses_dynamic_stack: false
    .vgpr_count:     20
    .vgpr_spill_count: 0
    .wavefront_size: 64
  - .agpr_count:     0
    .args:
      - .offset:         0
        .size:           4
        .value_kind:     by_value
      - .offset:         4
        .size:           4
        .value_kind:     by_value
      - .address_space:  global
        .offset:         8
        .size:           8
        .value_kind:     global_buffer
      - .offset:         16
        .size:           8
        .value_kind:     by_value
      - .offset:         24
        .size:           4
        .value_kind:     by_value
      - .offset:         32
        .size:           8
        .value_kind:     by_value
      - .address_space:  global
        .offset:         40
        .size:           8
        .value_kind:     global_buffer
      - .offset:         48
        .size:           8
        .value_kind:     by_value
      - .address_space:  global
        .offset:         56
        .size:           8
        .value_kind:     global_buffer
      - .offset:         64
        .size:           8
        .value_kind:     by_value
      - .offset:         72
        .size:           4
        .value_kind:     by_value
      - .offset:         80
        .size:           8
        .value_kind:     by_value
    .group_segment_fixed_size: 0
    .kernarg_segment_align: 8
    .kernarg_segment_size: 88
    .language:       OpenCL C
    .language_version:
      - 2
      - 0
    .max_flat_workgroup_size: 1024
    .name:           _ZN9rocsolver6v33100L17larf_right_kernelILi1024EdiPKPdEEvT1_S5_T2_lS5_lPKT0_lS6_lS5_l
    .private_segment_fixed_size: 0
    .sgpr_count:     32
    .sgpr_spill_count: 0
    .symbol:         _ZN9rocsolver6v33100L17larf_right_kernelILi1024EdiPKPdEEvT1_S5_T2_lS5_lPKT0_lS6_lS5_l.kd
    .uniform_work_group_size: 1
    .uses_dynamic_stack: false
    .vgpr_count:     21
    .vgpr_spill_count: 0
    .wavefront_size: 64
  - .agpr_count:     0
    .args:
      - .address_space:  global
        .offset:         0
        .size:           8
        .value_kind:     global_buffer
      - .address_space:  global
        .offset:         8
        .size:           8
        .value_kind:     global_buffer
      - .offset:         16
        .size:           8
        .value_kind:     by_value
      - .offset:         24
        .size:           4
        .value_kind:     by_value
      - .offset:         32
        .size:           4
        .value_kind:     hidden_block_count_x
      - .offset:         36
        .size:           4
        .value_kind:     hidden_block_count_y
      - .offset:         40
        .size:           4
        .value_kind:     hidden_block_count_z
      - .offset:         44
        .size:           2
        .value_kind:     hidden_group_size_x
      - .offset:         46
        .size:           2
        .value_kind:     hidden_group_size_y
      - .offset:         48
        .size:           2
        .value_kind:     hidden_group_size_z
      - .offset:         50
        .size:           2
        .value_kind:     hidden_remainder_x
      - .offset:         52
        .size:           2
        .value_kind:     hidden_remainder_y
      - .offset:         54
        .size:           2
        .value_kind:     hidden_remainder_z
      - .offset:         72
        .size:           8
        .value_kind:     hidden_global_offset_x
      - .offset:         80
        .size:           8
        .value_kind:     hidden_global_offset_y
      - .offset:         88
        .size:           8
        .value_kind:     hidden_global_offset_z
      - .offset:         96
        .size:           2
        .value_kind:     hidden_grid_dims
    .group_segment_fixed_size: 0
    .kernarg_segment_align: 8
    .kernarg_segment_size: 288
    .language:       OpenCL C
    .language_version:
      - 2
      - 0
    .max_flat_workgroup_size: 1024
    .name:           _ZN9rocsolver6v33100L9get_arrayIdiEEvPPT_S3_lT0_
    .private_segment_fixed_size: 0
    .sgpr_count:     12
    .sgpr_spill_count: 0
    .symbol:         _ZN9rocsolver6v33100L9get_arrayIdiEEvPPT_S3_lT0_.kd
    .uniform_work_group_size: 1
    .uses_dynamic_stack: false
    .vgpr_count:     6
    .vgpr_spill_count: 0
    .wavefront_size: 64
  - .agpr_count:     0
    .args:
      - .address_space:  global
        .offset:         0
        .size:           8
        .value_kind:     global_buffer
      - .offset:         8
        .size:           8
        .value_kind:     by_value
      - .offset:         16
        .size:           8
        .value_kind:     by_value
      - .address_space:  global
        .offset:         24
        .size:           8
        .value_kind:     global_buffer
      - .offset:         32
        .size:           8
        .value_kind:     by_value
      - .offset:         40
        .size:           4
        .value_kind:     by_value
      - .offset:         48
        .size:           8
        .value_kind:     by_value
      - .offset:         56
        .size:           4
        .value_kind:     by_value
      - .offset:         64
        .size:           4
        .value_kind:     hidden_block_count_x
      - .offset:         68
        .size:           4
        .value_kind:     hidden_block_count_y
      - .offset:         72
        .size:           4
        .value_kind:     hidden_block_count_z
      - .offset:         76
        .size:           2
        .value_kind:     hidden_group_size_x
      - .offset:         78
        .size:           2
        .value_kind:     hidden_group_size_y
      - .offset:         80
        .size:           2
        .value_kind:     hidden_group_size_z
      - .offset:         82
        .size:           2
        .value_kind:     hidden_remainder_x
      - .offset:         84
        .size:           2
        .value_kind:     hidden_remainder_y
      - .offset:         86
        .size:           2
        .value_kind:     hidden_remainder_z
      - .offset:         104
        .size:           8
        .value_kind:     hidden_global_offset_x
      - .offset:         112
        .size:           8
        .value_kind:     hidden_global_offset_y
      - .offset:         120
        .size:           8
        .value_kind:     hidden_global_offset_z
      - .offset:         128
        .size:           2
        .value_kind:     hidden_grid_dims
    .group_segment_fixed_size: 0
    .kernarg_segment_align: 8
    .kernarg_segment_size: 320
    .language:       OpenCL C
    .language_version:
      - 2
      - 0
    .max_flat_workgroup_size: 1024
    .name:           _ZN9rocsolver6v33100L12restore_diagIdidPKPdEEvPT1_llT2_lT0_lS8_
    .private_segment_fixed_size: 0
    .sgpr_count:     21
    .sgpr_spill_count: 0
    .symbol:         _ZN9rocsolver6v33100L12restore_diagIdidPKPdEEvPT1_llT2_lT0_lS8_.kd
    .uniform_work_group_size: 1
    .uses_dynamic_stack: false
    .vgpr_count:     5
    .vgpr_spill_count: 0
    .wavefront_size: 64
  - .agpr_count:     0
    .args:
      - .offset:         0
        .size:           4
        .value_kind:     by_value
      - .offset:         4
        .size:           4
        .value_kind:     by_value
      - .address_space:  global
        .offset:         8
        .size:           8
        .value_kind:     global_buffer
      - .offset:         16
        .size:           4
        .value_kind:     by_value
      - .offset:         20
        .size:           4
        .value_kind:     by_value
      - .offset:         24
        .size:           8
        .value_kind:     by_value
      - .address_space:  global
        .offset:         32
        .size:           8
        .value_kind:     global_buffer
      - .offset:         40
        .size:           8
        .value_kind:     by_value
      - .address_space:  global
        .offset:         48
        .size:           8
        .value_kind:     global_buffer
      - .offset:         56
        .size:           4
        .value_kind:     by_value
      - .offset:         64
        .size:           8
        .value_kind:     by_value
      - .offset:         72
        .size:           4
        .value_kind:     by_value
      - .offset:         76
        .size:           4
        .value_kind:     by_value
      - .offset:         80
        .size:           1
        .value_kind:     by_value
      - .offset:         88
        .size:           4
        .value_kind:     hidden_block_count_x
      - .offset:         92
        .size:           4
        .value_kind:     hidden_block_count_y
      - .offset:         96
        .size:           4
        .value_kind:     hidden_block_count_z
      - .offset:         100
        .size:           2
        .value_kind:     hidden_group_size_x
      - .offset:         102
        .size:           2
        .value_kind:     hidden_group_size_y
      - .offset:         104
        .size:           2
        .value_kind:     hidden_group_size_z
      - .offset:         106
        .size:           2
        .value_kind:     hidden_remainder_x
      - .offset:         108
        .size:           2
        .value_kind:     hidden_remainder_y
      - .offset:         110
        .size:           2
        .value_kind:     hidden_remainder_z
      - .offset:         128
        .size:           8
        .value_kind:     hidden_global_offset_x
      - .offset:         136
        .size:           8
        .value_kind:     hidden_global_offset_y
      - .offset:         144
        .size:           8
        .value_kind:     hidden_global_offset_z
      - .offset:         152
        .size:           2
        .value_kind:     hidden_grid_dims
    .group_segment_fixed_size: 0
    .kernarg_segment_align: 8
    .kernarg_segment_size: 344
    .language:       OpenCL C
    .language_version:
      - 2
      - 0
    .max_flat_workgroup_size: 1024
    .name:           _ZN9rocsolver6v33100L14set_triangularIdPKPdTnNSt9enable_ifIXnt18rocblas_is_complexIT_EEiE4typeELi0EEEviiT0_iilPS6_lSA_il15rocblas_direct_15rocblas_storev_b
    .private_segment_fixed_size: 0
    .sgpr_count:     26
    .sgpr_spill_count: 0
    .symbol:         _ZN9rocsolver6v33100L14set_triangularIdPKPdTnNSt9enable_ifIXnt18rocblas_is_complexIT_EEiE4typeELi0EEEviiT0_iilPS6_lSA_il15rocblas_direct_15rocblas_storev_b.kd
    .uniform_work_group_size: 1
    .uses_dynamic_stack: false
    .vgpr_count:     18
    .vgpr_spill_count: 0
    .wavefront_size: 64
  - .agpr_count:     0
    .args:
      - .offset:         0
        .size:           4
        .value_kind:     by_value
      - .address_space:  global
        .offset:         8
        .size:           8
        .value_kind:     global_buffer
      - .offset:         16
        .size:           8
        .value_kind:     by_value
      - .offset:         24
        .size:           4
        .value_kind:     hidden_block_count_x
      - .offset:         28
        .size:           4
        .value_kind:     hidden_block_count_y
      - .offset:         32
        .size:           4
        .value_kind:     hidden_block_count_z
      - .offset:         36
        .size:           2
        .value_kind:     hidden_group_size_x
      - .offset:         38
        .size:           2
        .value_kind:     hidden_group_size_y
      - .offset:         40
        .size:           2
        .value_kind:     hidden_group_size_z
      - .offset:         42
        .size:           2
        .value_kind:     hidden_remainder_x
      - .offset:         44
        .size:           2
        .value_kind:     hidden_remainder_y
      - .offset:         46
        .size:           2
        .value_kind:     hidden_remainder_z
      - .offset:         64
        .size:           8
        .value_kind:     hidden_global_offset_x
      - .offset:         72
        .size:           8
        .value_kind:     hidden_global_offset_y
      - .offset:         80
        .size:           8
        .value_kind:     hidden_global_offset_z
      - .offset:         88
        .size:           2
        .value_kind:     hidden_grid_dims
    .group_segment_fixed_size: 0
    .kernarg_segment_align: 8
    .kernarg_segment_size: 280
    .language:       OpenCL C
    .language_version:
      - 2
      - 0
    .max_flat_workgroup_size: 1024
    .name:           _ZN9rocsolver6v33100L7set_tauIdEEviPT_l
    .private_segment_fixed_size: 0
    .sgpr_count:     12
    .sgpr_spill_count: 0
    .symbol:         _ZN9rocsolver6v33100L7set_tauIdEEviPT_l.kd
    .uniform_work_group_size: 1
    .uses_dynamic_stack: false
    .vgpr_count:     4
    .vgpr_spill_count: 0
    .wavefront_size: 64
  - .agpr_count:     0
    .args:
      - .offset:         0
        .size:           4
        .value_kind:     by_value
      - .offset:         4
        .size:           4
        .value_kind:     by_value
      - .offset:         8
        .size:           4
        .value_kind:     by_value
      - .address_space:  global
        .offset:         16
        .size:           8
        .value_kind:     global_buffer
      - .offset:         24
        .size:           4
        .value_kind:     by_value
      - .offset:         28
        .size:           4
        .value_kind:     by_value
      - .offset:         32
        .size:           8
        .value_kind:     by_value
      - .address_space:  global
        .offset:         40
        .size:           8
        .value_kind:     global_buffer
      - .offset:         48
        .size:           8
        .value_kind:     by_value
      - .address_space:  global
        .offset:         56
        .size:           8
        .value_kind:     global_buffer
      - .offset:         64
        .size:           4
        .value_kind:     by_value
      - .offset:         72
        .size:           8
        .value_kind:     by_value
      - .offset:         80
        .size:           4
        .value_kind:     hidden_block_count_x
      - .offset:         84
        .size:           4
        .value_kind:     hidden_block_count_y
      - .offset:         88
        .size:           4
        .value_kind:     hidden_block_count_z
      - .offset:         92
        .size:           2
        .value_kind:     hidden_group_size_x
      - .offset:         94
        .size:           2
        .value_kind:     hidden_group_size_y
      - .offset:         96
        .size:           2
        .value_kind:     hidden_group_size_z
      - .offset:         98
        .size:           2
        .value_kind:     hidden_remainder_x
      - .offset:         100
        .size:           2
        .value_kind:     hidden_remainder_y
      - .offset:         102
        .size:           2
        .value_kind:     hidden_remainder_z
      - .offset:         120
        .size:           8
        .value_kind:     hidden_global_offset_x
      - .offset:         128
        .size:           8
        .value_kind:     hidden_global_offset_y
      - .offset:         136
        .size:           8
        .value_kind:     hidden_global_offset_z
      - .offset:         144
        .size:           2
        .value_kind:     hidden_grid_dims
      - .offset:         200
        .size:           4
        .value_kind:     hidden_dynamic_lds_size
    .group_segment_fixed_size: 0
    .kernarg_segment_align: 8
    .kernarg_segment_size: 336
    .language:       OpenCL C
    .language_version:
      - 2
      - 0
    .max_flat_workgroup_size: 1024
    .name:           _ZN9rocsolver6v33100L20larft_kernel_forwardIdPKPdEEv15rocblas_storev_iiT0_iilPT_lS8_il
    .private_segment_fixed_size: 0
    .sgpr_count:     54
    .sgpr_spill_count: 0
    .symbol:         _ZN9rocsolver6v33100L20larft_kernel_forwardIdPKPdEEv15rocblas_storev_iiT0_iilPT_lS8_il.kd
    .uniform_work_group_size: 1
    .uses_dynamic_stack: false
    .vgpr_count:     20
    .vgpr_spill_count: 0
    .wavefront_size: 64
  - .agpr_count:     0
    .args:
      - .offset:         0
        .size:           4
        .value_kind:     by_value
      - .offset:         4
        .size:           4
        .value_kind:     by_value
      - .address_space:  global
        .offset:         8
        .size:           8
        .value_kind:     global_buffer
      - .offset:         16
        .size:           8
        .value_kind:     by_value
      - .offset:         24
        .size:           4
        .value_kind:     by_value
      - .offset:         32
        .size:           8
        .value_kind:     by_value
    .group_segment_fixed_size: 0
    .kernarg_segment_align: 8
    .kernarg_segment_size: 40
    .language:       OpenCL C
    .language_version:
      - 2
      - 0
    .max_flat_workgroup_size: 1024
    .name:           _ZN9rocsolver6v33100L13conj_in_placeIdiPKPdTnNSt9enable_ifIXnt18rocblas_is_complexIT_EEiE4typeELi0EEEvT0_S9_T1_lS9_l
    .private_segment_fixed_size: 0
    .sgpr_count:     4
    .sgpr_spill_count: 0
    .symbol:         _ZN9rocsolver6v33100L13conj_in_placeIdiPKPdTnNSt9enable_ifIXnt18rocblas_is_complexIT_EEiE4typeELi0EEEvT0_S9_T1_lS9_l.kd
    .uniform_work_group_size: 1
    .uses_dynamic_stack: false
    .vgpr_count:     0
    .vgpr_spill_count: 0
    .wavefront_size: 64
  - .agpr_count:     0
    .args:
      - .offset:         0
        .size:           4
        .value_kind:     by_value
      - .offset:         4
        .size:           4
        .value_kind:     by_value
      - .offset:         8
        .size:           4
        .value_kind:     by_value
      - .address_space:  global
        .offset:         16
        .size:           8
        .value_kind:     global_buffer
      - .offset:         24
        .size:           4
        .value_kind:     by_value
      - .offset:         28
        .size:           4
        .value_kind:     by_value
      - .offset:         32
        .size:           8
        .value_kind:     by_value
      - .address_space:  global
        .offset:         40
        .size:           8
        .value_kind:     global_buffer
      - .offset:         48
        .size:           8
        .value_kind:     by_value
      - .address_space:  global
        .offset:         56
        .size:           8
        .value_kind:     global_buffer
      - .offset:         64
        .size:           4
        .value_kind:     by_value
      - .offset:         72
        .size:           8
        .value_kind:     by_value
      - .offset:         80
        .size:           4
        .value_kind:     hidden_block_count_x
      - .offset:         84
        .size:           4
        .value_kind:     hidden_block_count_y
      - .offset:         88
        .size:           4
        .value_kind:     hidden_block_count_z
      - .offset:         92
        .size:           2
        .value_kind:     hidden_group_size_x
      - .offset:         94
        .size:           2
        .value_kind:     hidden_group_size_y
      - .offset:         96
        .size:           2
        .value_kind:     hidden_group_size_z
      - .offset:         98
        .size:           2
        .value_kind:     hidden_remainder_x
      - .offset:         100
        .size:           2
        .value_kind:     hidden_remainder_y
      - .offset:         102
        .size:           2
        .value_kind:     hidden_remainder_z
      - .offset:         120
        .size:           8
        .value_kind:     hidden_global_offset_x
      - .offset:         128
        .size:           8
        .value_kind:     hidden_global_offset_y
      - .offset:         136
        .size:           8
        .value_kind:     hidden_global_offset_z
      - .offset:         144
        .size:           2
        .value_kind:     hidden_grid_dims
      - .offset:         200
        .size:           4
        .value_kind:     hidden_dynamic_lds_size
    .group_segment_fixed_size: 0
    .kernarg_segment_align: 8
    .kernarg_segment_size: 336
    .language:       OpenCL C
    .language_version:
      - 2
      - 0
    .max_flat_workgroup_size: 1024
    .name:           _ZN9rocsolver6v33100L21larft_kernel_backwardIdPKPdEEv15rocblas_storev_iiT0_iilPT_lS8_il
    .private_segment_fixed_size: 0
    .sgpr_count:     56
    .sgpr_spill_count: 0
    .symbol:         _ZN9rocsolver6v33100L21larft_kernel_backwardIdPKPdEEv15rocblas_storev_iiT0_iilPT_lS8_il.kd
    .uniform_work_group_size: 1
    .uses_dynamic_stack: false
    .vgpr_count:     16
    .vgpr_spill_count: 0
    .wavefront_size: 64
  - .agpr_count:     0
    .args:
      - .offset:         0
        .size:           4
        .value_kind:     by_value
      - .offset:         4
        .size:           4
        .value_kind:     by_value
      - .address_space:  global
        .offset:         8
        .size:           8
        .value_kind:     global_buffer
      - .offset:         16
        .size:           4
        .value_kind:     by_value
      - .offset:         20
        .size:           4
        .value_kind:     by_value
      - .offset:         24
        .size:           8
        .value_kind:     by_value
      - .address_space:  global
        .offset:         32
        .size:           8
        .value_kind:     global_buffer
      - .offset:         40
        .size:           4
        .value_kind:     hidden_block_count_x
      - .offset:         44
        .size:           4
        .value_kind:     hidden_block_count_y
      - .offset:         48
        .size:           4
        .value_kind:     hidden_block_count_z
      - .offset:         52
        .size:           2
        .value_kind:     hidden_group_size_x
      - .offset:         54
        .size:           2
        .value_kind:     hidden_group_size_y
      - .offset:         56
        .size:           2
        .value_kind:     hidden_group_size_z
      - .offset:         58
        .size:           2
        .value_kind:     hidden_remainder_x
      - .offset:         60
        .size:           2
        .value_kind:     hidden_remainder_y
      - .offset:         62
        .size:           2
        .value_kind:     hidden_remainder_z
      - .offset:         80
        .size:           8
        .value_kind:     hidden_global_offset_x
      - .offset:         88
        .size:           8
        .value_kind:     hidden_global_offset_y
      - .offset:         96
        .size:           8
        .value_kind:     hidden_global_offset_z
      - .offset:         104
        .size:           2
        .value_kind:     hidden_grid_dims
    .group_segment_fixed_size: 0
    .kernarg_segment_align: 8
    .kernarg_segment_size: 296
    .language:       OpenCL C
    .language_version:
      - 2
      - 0
    .max_flat_workgroup_size: 1024
    .name:           _ZN9rocsolver6v33100L9copymatA1IdPKPdEEviiT0_iilPT_
    .private_segment_fixed_size: 0
    .sgpr_count:     20
    .sgpr_spill_count: 0
    .symbol:         _ZN9rocsolver6v33100L9copymatA1IdPKPdEEviiT0_iilPT_.kd
    .uniform_work_group_size: 1
    .uses_dynamic_stack: false
    .vgpr_count:     6
    .vgpr_spill_count: 0
    .wavefront_size: 64
  - .agpr_count:     0
    .args:
      - .offset:         0
        .size:           4
        .value_kind:     by_value
      - .offset:         4
        .size:           4
        .value_kind:     by_value
      - .address_space:  global
        .offset:         8
        .size:           8
        .value_kind:     global_buffer
      - .offset:         16
        .size:           4
        .value_kind:     by_value
      - .offset:         20
        .size:           4
        .value_kind:     by_value
      - .offset:         24
        .size:           8
        .value_kind:     by_value
      - .address_space:  global
        .offset:         32
        .size:           8
        .value_kind:     global_buffer
      - .offset:         40
        .size:           4
        .value_kind:     hidden_block_count_x
      - .offset:         44
        .size:           4
        .value_kind:     hidden_block_count_y
      - .offset:         48
        .size:           4
        .value_kind:     hidden_block_count_z
      - .offset:         52
        .size:           2
        .value_kind:     hidden_group_size_x
      - .offset:         54
        .size:           2
        .value_kind:     hidden_group_size_y
      - .offset:         56
        .size:           2
        .value_kind:     hidden_group_size_z
      - .offset:         58
        .size:           2
        .value_kind:     hidden_remainder_x
      - .offset:         60
        .size:           2
        .value_kind:     hidden_remainder_y
      - .offset:         62
        .size:           2
        .value_kind:     hidden_remainder_z
      - .offset:         80
        .size:           8
        .value_kind:     hidden_global_offset_x
      - .offset:         88
        .size:           8
        .value_kind:     hidden_global_offset_y
      - .offset:         96
        .size:           8
        .value_kind:     hidden_global_offset_z
      - .offset:         104
        .size:           2
        .value_kind:     hidden_grid_dims
    .group_segment_fixed_size: 0
    .kernarg_segment_align: 8
    .kernarg_segment_size: 296
    .language:       OpenCL C
    .language_version:
      - 2
      - 0
    .max_flat_workgroup_size: 1024
    .name:           _ZN9rocsolver6v33100L8addmatA1IdPKPdEEviiT0_iilPT_
    .private_segment_fixed_size: 0
    .sgpr_count:     18
    .sgpr_spill_count: 0
    .symbol:         _ZN9rocsolver6v33100L8addmatA1IdPKPdEEviiT0_iilPT_.kd
    .uniform_work_group_size: 1
    .uses_dynamic_stack: false
    .vgpr_count:     6
    .vgpr_spill_count: 0
    .wavefront_size: 64
  - .agpr_count:     0
    .args:
      - .offset:         0
        .size:           4
        .value_kind:     by_value
      - .offset:         4
        .size:           4
        .value_kind:     by_value
      - .address_space:  global
        .offset:         8
        .size:           8
        .value_kind:     global_buffer
      - .offset:         16
        .size:           4
        .value_kind:     by_value
      - .offset:         20
        .size:           4
        .value_kind:     by_value
      - .offset:         24
        .size:           8
        .value_kind:     by_value
      - .offset:         32
        .size:           4
        .value_kind:     by_value
      - .offset:         40
        .size:           4
        .value_kind:     hidden_block_count_x
      - .offset:         44
        .size:           4
        .value_kind:     hidden_block_count_y
      - .offset:         48
        .size:           4
        .value_kind:     hidden_block_count_z
      - .offset:         52
        .size:           2
        .value_kind:     hidden_group_size_x
      - .offset:         54
        .size:           2
        .value_kind:     hidden_group_size_y
      - .offset:         56
        .size:           2
        .value_kind:     hidden_group_size_z
      - .offset:         58
        .size:           2
        .value_kind:     hidden_remainder_x
      - .offset:         60
        .size:           2
        .value_kind:     hidden_remainder_y
      - .offset:         62
        .size:           2
        .value_kind:     hidden_remainder_z
      - .offset:         80
        .size:           8
        .value_kind:     hidden_global_offset_x
      - .offset:         88
        .size:           8
        .value_kind:     hidden_global_offset_y
      - .offset:         96
        .size:           8
        .value_kind:     hidden_global_offset_z
      - .offset:         104
        .size:           2
        .value_kind:     hidden_grid_dims
    .group_segment_fixed_size: 0
    .kernarg_segment_align: 8
    .kernarg_segment_size: 296
    .language:       OpenCL C
    .language_version:
      - 2
      - 0
    .max_flat_workgroup_size: 1024
    .name:           _ZN9rocsolver6v33100L8set_zeroIdPKPdEEviiT0_iil13rocblas_fill_
    .private_segment_fixed_size: 0
    .sgpr_count:     14
    .sgpr_spill_count: 0
    .symbol:         _ZN9rocsolver6v33100L8set_zeroIdPKPdEEviiT0_iil13rocblas_fill_.kd
    .uniform_work_group_size: 1
    .uses_dynamic_stack: false
    .vgpr_count:     4
    .vgpr_spill_count: 0
    .wavefront_size: 64
  - .agpr_count:     0
    .args:
      - .offset:         0
        .size:           4
        .value_kind:     by_value
      - .offset:         4
        .size:           4
        .value_kind:     by_value
      - .offset:         8
        .size:           4
        .value_kind:     by_value
      - .address_space:  global
        .offset:         16
        .size:           8
        .value_kind:     global_buffer
      - .offset:         24
        .size:           4
        .value_kind:     by_value
      - .offset:         28
        .size:           4
        .value_kind:     by_value
      - .offset:         32
        .size:           8
        .value_kind:     by_value
      - .offset:         40
        .size:           4
        .value_kind:     hidden_block_count_x
      - .offset:         44
        .size:           4
        .value_kind:     hidden_block_count_y
      - .offset:         48
        .size:           4
        .value_kind:     hidden_block_count_z
      - .offset:         52
        .size:           2
        .value_kind:     hidden_group_size_x
      - .offset:         54
        .size:           2
        .value_kind:     hidden_group_size_y
      - .offset:         56
        .size:           2
        .value_kind:     hidden_group_size_z
      - .offset:         58
        .size:           2
        .value_kind:     hidden_remainder_x
      - .offset:         60
        .size:           2
        .value_kind:     hidden_remainder_y
      - .offset:         62
        .size:           2
        .value_kind:     hidden_remainder_z
      - .offset:         80
        .size:           8
        .value_kind:     hidden_global_offset_x
      - .offset:         88
        .size:           8
        .value_kind:     hidden_global_offset_y
      - .offset:         96
        .size:           8
        .value_kind:     hidden_global_offset_z
      - .offset:         104
        .size:           2
        .value_kind:     hidden_grid_dims
    .group_segment_fixed_size: 0
    .kernarg_segment_align: 8
    .kernarg_segment_size: 296
    .language:       OpenCL C
    .language_version:
      - 2
      - 0
    .max_flat_workgroup_size: 1024
    .name:           _ZN9rocsolver6v33100L16org2r_init_identIdPKPdEEviiiT0_iil
    .private_segment_fixed_size: 0
    .sgpr_count:     20
    .sgpr_spill_count: 0
    .symbol:         _ZN9rocsolver6v33100L16org2r_init_identIdPKPdEEviiiT0_iil.kd
    .uniform_work_group_size: 1
    .uses_dynamic_stack: false
    .vgpr_count:     8
    .vgpr_spill_count: 0
    .wavefront_size: 64
  - .agpr_count:     0
    .args:
      - .offset:         0
        .size:           4
        .value_kind:     by_value
      - .offset:         4
        .size:           4
        .value_kind:     by_value
      - .address_space:  global
        .offset:         8
        .size:           8
        .value_kind:     global_buffer
      - .offset:         16
        .size:           4
        .value_kind:     by_value
      - .offset:         20
        .size:           4
        .value_kind:     by_value
      - .offset:         24
        .size:           8
        .value_kind:     by_value
      - .address_space:  global
        .offset:         32
        .size:           8
        .value_kind:     global_buffer
      - .offset:         40
        .size:           8
        .value_kind:     by_value
    .group_segment_fixed_size: 0
    .kernarg_segment_align: 8
    .kernarg_segment_size: 48
    .language:       OpenCL C
    .language_version:
      - 2
      - 0
    .max_flat_workgroup_size: 1024
    .name:           _ZN9rocsolver6v33100L12subtract_tauIdPKPdEEviiT0_iilPT_l
    .private_segment_fixed_size: 0
    .sgpr_count:     20
    .sgpr_spill_count: 0
    .symbol:         _ZN9rocsolver6v33100L12subtract_tauIdPKPdEEviiT0_iilPT_l.kd
    .uniform_work_group_size: 1
    .uses_dynamic_stack: false
    .vgpr_count:     3
    .vgpr_spill_count: 0
    .wavefront_size: 64
  - .agpr_count:     0
    .args:
      - .offset:         0
        .size:           4
        .value_kind:     by_value
      - .address_space:  global
        .offset:         8
        .size:           8
        .value_kind:     global_buffer
      - .offset:         16
        .size:           8
        .value_kind:     by_value
      - .offset:         24
        .size:           4
        .value_kind:     hidden_block_count_x
      - .offset:         28
        .size:           4
        .value_kind:     hidden_block_count_y
      - .offset:         32
        .size:           4
        .value_kind:     hidden_block_count_z
      - .offset:         36
        .size:           2
        .value_kind:     hidden_group_size_x
      - .offset:         38
        .size:           2
        .value_kind:     hidden_group_size_y
      - .offset:         40
        .size:           2
        .value_kind:     hidden_group_size_z
      - .offset:         42
        .size:           2
        .value_kind:     hidden_remainder_x
      - .offset:         44
        .size:           2
        .value_kind:     hidden_remainder_y
      - .offset:         46
        .size:           2
        .value_kind:     hidden_remainder_z
      - .offset:         64
        .size:           8
        .value_kind:     hidden_global_offset_x
      - .offset:         72
        .size:           8
        .value_kind:     hidden_global_offset_y
      - .offset:         80
        .size:           8
        .value_kind:     hidden_global_offset_z
      - .offset:         88
        .size:           2
        .value_kind:     hidden_grid_dims
    .group_segment_fixed_size: 0
    .kernarg_segment_align: 8
    .kernarg_segment_size: 280
    .language:       OpenCL C
    .language_version:
      - 2
      - 0
    .max_flat_workgroup_size: 1024
    .name:           _ZN9rocsolver6v33100L6restauIdEEviPT_l
    .private_segment_fixed_size: 0
    .sgpr_count:     12
    .sgpr_spill_count: 0
    .symbol:         _ZN9rocsolver6v33100L6restauIdEEviPT_l.kd
    .uniform_work_group_size: 1
    .uses_dynamic_stack: false
    .vgpr_count:     4
    .vgpr_spill_count: 0
    .wavefront_size: 64
  - .agpr_count:     0
    .args:
      - .offset:         0
        .size:           1
        .value_kind:     by_value
      - .offset:         4
        .size:           4
        .value_kind:     by_value
      - .address_space:  global
        .offset:         8
        .size:           8
        .value_kind:     global_buffer
      - .offset:         16
        .size:           4
        .value_kind:     by_value
      - .offset:         20
        .size:           4
        .value_kind:     by_value
      - .offset:         24
        .size:           8
        .value_kind:     by_value
      - .address_space:  global
        .offset:         32
        .size:           8
        .value_kind:     global_buffer
      - .offset:         40
        .size:           4
        .value_kind:     by_value
      - .offset:         44
        .size:           4
        .value_kind:     by_value
      - .offset:         48
        .size:           8
        .value_kind:     by_value
      - .offset:         56
        .size:           4
        .value_kind:     hidden_block_count_x
      - .offset:         60
        .size:           4
        .value_kind:     hidden_block_count_y
      - .offset:         64
        .size:           4
        .value_kind:     hidden_block_count_z
      - .offset:         68
        .size:           2
        .value_kind:     hidden_group_size_x
      - .offset:         70
        .size:           2
        .value_kind:     hidden_group_size_y
      - .offset:         72
        .size:           2
        .value_kind:     hidden_group_size_z
      - .offset:         74
        .size:           2
        .value_kind:     hidden_remainder_x
      - .offset:         76
        .size:           2
        .value_kind:     hidden_remainder_y
      - .offset:         78
        .size:           2
        .value_kind:     hidden_remainder_z
      - .offset:         96
        .size:           8
        .value_kind:     hidden_global_offset_x
      - .offset:         104
        .size:           8
        .value_kind:     hidden_global_offset_y
      - .offset:         112
        .size:           8
        .value_kind:     hidden_global_offset_z
      - .offset:         120
        .size:           2
        .value_kind:     hidden_grid_dims
    .group_segment_fixed_size: 0
    .kernarg_segment_align: 8
    .kernarg_segment_size: 312
    .language:       OpenCL C
    .language_version:
      - 2
      - 0
    .max_flat_workgroup_size: 1024
    .name:           _ZN9rocsolver6v33100L15copyshift_rightIdPKPdEEvbiT0_iilPT_iil
    .private_segment_fixed_size: 0
    .sgpr_count:     21
    .sgpr_spill_count: 0
    .symbol:         _ZN9rocsolver6v33100L15copyshift_rightIdPKPdEEvbiT0_iilPT_iil.kd
    .uniform_work_group_size: 1
    .uses_dynamic_stack: false
    .vgpr_count:     9
    .vgpr_spill_count: 0
    .wavefront_size: 64
  - .agpr_count:     0
    .args:
      - .offset:         0
        .size:           4
        .value_kind:     by_value
      - .offset:         4
        .size:           4
        .value_kind:     by_value
      - .offset:         8
        .size:           4
        .value_kind:     by_value
      - .address_space:  global
        .offset:         16
        .size:           8
        .value_kind:     global_buffer
      - .offset:         24
        .size:           4
        .value_kind:     by_value
      - .offset:         28
        .size:           4
        .value_kind:     by_value
      - .offset:         32
        .size:           8
        .value_kind:     by_value
      - .offset:         40
        .size:           4
        .value_kind:     hidden_block_count_x
      - .offset:         44
        .size:           4
        .value_kind:     hidden_block_count_y
      - .offset:         48
        .size:           4
        .value_kind:     hidden_block_count_z
      - .offset:         52
        .size:           2
        .value_kind:     hidden_group_size_x
      - .offset:         54
        .size:           2
        .value_kind:     hidden_group_size_y
      - .offset:         56
        .size:           2
        .value_kind:     hidden_group_size_z
      - .offset:         58
        .size:           2
        .value_kind:     hidden_remainder_x
      - .offset:         60
        .size:           2
        .value_kind:     hidden_remainder_y
      - .offset:         62
        .size:           2
        .value_kind:     hidden_remainder_z
      - .offset:         80
        .size:           8
        .value_kind:     hidden_global_offset_x
      - .offset:         88
        .size:           8
        .value_kind:     hidden_global_offset_y
      - .offset:         96
        .size:           8
        .value_kind:     hidden_global_offset_z
      - .offset:         104
        .size:           2
        .value_kind:     hidden_grid_dims
    .group_segment_fixed_size: 0
    .kernarg_segment_align: 8
    .kernarg_segment_size: 296
    .language:       OpenCL C
    .language_version:
      - 2
      - 0
    .max_flat_workgroup_size: 1024
    .name:           _ZN9rocsolver6v33100L16orgl2_init_identIdPKPdEEviiiT0_iil
    .private_segment_fixed_size: 0
    .sgpr_count:     20
    .sgpr_spill_count: 0
    .symbol:         _ZN9rocsolver6v33100L16orgl2_init_identIdPKPdEEviiiT0_iil.kd
    .uniform_work_group_size: 1
    .uses_dynamic_stack: false
    .vgpr_count:     8
    .vgpr_spill_count: 0
    .wavefront_size: 64
  - .agpr_count:     0
    .args:
      - .offset:         0
        .size:           1
        .value_kind:     by_value
      - .offset:         4
        .size:           4
        .value_kind:     by_value
      - .address_space:  global
        .offset:         8
        .size:           8
        .value_kind:     global_buffer
      - .offset:         16
        .size:           4
        .value_kind:     by_value
      - .offset:         20
        .size:           4
        .value_kind:     by_value
      - .offset:         24
        .size:           8
        .value_kind:     by_value
      - .address_space:  global
        .offset:         32
        .size:           8
        .value_kind:     global_buffer
      - .offset:         40
        .size:           4
        .value_kind:     by_value
      - .offset:         44
        .size:           4
        .value_kind:     by_value
      - .offset:         48
        .size:           8
        .value_kind:     by_value
      - .offset:         56
        .size:           4
        .value_kind:     hidden_block_count_x
      - .offset:         60
        .size:           4
        .value_kind:     hidden_block_count_y
      - .offset:         64
        .size:           4
        .value_kind:     hidden_block_count_z
      - .offset:         68
        .size:           2
        .value_kind:     hidden_group_size_x
      - .offset:         70
        .size:           2
        .value_kind:     hidden_group_size_y
      - .offset:         72
        .size:           2
        .value_kind:     hidden_group_size_z
      - .offset:         74
        .size:           2
        .value_kind:     hidden_remainder_x
      - .offset:         76
        .size:           2
        .value_kind:     hidden_remainder_y
      - .offset:         78
        .size:           2
        .value_kind:     hidden_remainder_z
      - .offset:         96
        .size:           8
        .value_kind:     hidden_global_offset_x
      - .offset:         104
        .size:           8
        .value_kind:     hidden_global_offset_y
      - .offset:         112
        .size:           8
        .value_kind:     hidden_global_offset_z
      - .offset:         120
        .size:           2
        .value_kind:     hidden_grid_dims
    .group_segment_fixed_size: 0
    .kernarg_segment_align: 8
    .kernarg_segment_size: 312
    .language:       OpenCL C
    .language_version:
      - 2
      - 0
    .max_flat_workgroup_size: 1024
    .name:           _ZN9rocsolver6v33100L14copyshift_downIdPKPdEEvbiT0_iilPT_iil
    .private_segment_fixed_size: 0
    .sgpr_count:     21
    .sgpr_spill_count: 0
    .symbol:         _ZN9rocsolver6v33100L14copyshift_downIdPKPdEEvbiT0_iilPT_iil.kd
    .uniform_work_group_size: 1
    .uses_dynamic_stack: false
    .vgpr_count:     11
    .vgpr_spill_count: 0
    .wavefront_size: 64
  - .agpr_count:     0
    .args:
      - .offset:         0
        .size:           4
        .value_kind:     by_value
      - .address_space:  global
        .offset:         8
        .size:           8
        .value_kind:     global_buffer
      - .offset:         16
        .size:           8
        .value_kind:     by_value
      - .address_space:  global
        .offset:         24
        .size:           8
        .value_kind:     global_buffer
      - .offset:         32
        .size:           8
        .value_kind:     by_value
      - .address_space:  global
        .offset:         40
        .size:           8
        .value_kind:     global_buffer
      - .offset:         48
        .size:           4
        .value_kind:     by_value
      - .offset:         56
        .size:           8
        .value_kind:     by_value
      - .offset:         64
        .size:           8
        .value_kind:     by_value
      - .address_space:  global
        .offset:         72
        .size:           8
        .value_kind:     global_buffer
      - .address_space:  global
        .offset:         80
        .size:           8
        .value_kind:     global_buffer
      - .offset:         88
        .size:           8
        .value_kind:     by_value
      - .address_space:  global
        .offset:         96
        .size:           8
        .value_kind:     global_buffer
    .group_segment_fixed_size: 0
    .kernarg_segment_align: 8
    .kernarg_segment_size: 104
    .language:       OpenCL C
    .language_version:
      - 2
      - 0
    .max_flat_workgroup_size: 1024
    .name:           _ZN9rocsolver6v33100L10bdsqr_initIddEEviPT0_lS3_lPiiS2_S2_S4_S3_lS4_
    .private_segment_fixed_size: 0
    .sgpr_count:     40
    .sgpr_spill_count: 0
    .symbol:         _ZN9rocsolver6v33100L10bdsqr_initIddEEviPT0_lS3_lPiiS2_S2_S4_S3_lS4_.kd
    .uniform_work_group_size: 1
    .uses_dynamic_stack: false
    .vgpr_count:     16
    .vgpr_spill_count: 0
    .wavefront_size: 64
  - .agpr_count:     0
    .args:
      - .offset:         0
        .size:           4
        .value_kind:     by_value
      - .address_space:  global
        .offset:         8
        .size:           8
        .value_kind:     global_buffer
      - .offset:         16
        .size:           4
        .value_kind:     by_value
      - .address_space:  global
        .offset:         24
        .size:           8
        .value_kind:     global_buffer
      - .offset:         32
        .size:           4
        .value_kind:     by_value
      - .offset:         40
        .size:           4
        .value_kind:     hidden_block_count_x
      - .offset:         44
        .size:           4
        .value_kind:     hidden_block_count_y
      - .offset:         48
        .size:           4
        .value_kind:     hidden_block_count_z
      - .offset:         52
        .size:           2
        .value_kind:     hidden_group_size_x
      - .offset:         54
        .size:           2
        .value_kind:     hidden_group_size_y
      - .offset:         56
        .size:           2
        .value_kind:     hidden_group_size_z
      - .offset:         58
        .size:           2
        .value_kind:     hidden_remainder_x
      - .offset:         60
        .size:           2
        .value_kind:     hidden_remainder_y
      - .offset:         62
        .size:           2
        .value_kind:     hidden_remainder_z
      - .offset:         80
        .size:           8
        .value_kind:     hidden_global_offset_x
      - .offset:         88
        .size:           8
        .value_kind:     hidden_global_offset_y
      - .offset:         96
        .size:           8
        .value_kind:     hidden_global_offset_z
      - .offset:         104
        .size:           2
        .value_kind:     hidden_grid_dims
    .group_segment_fixed_size: 0
    .kernarg_segment_align: 8
    .kernarg_segment_size: 296
    .language:       OpenCL C
    .language_version:
      - 2
      - 0
    .max_flat_workgroup_size: 1024
    .name:           _ZN9rocsolver6v33100L11swap_kernelIdiEEvT0_PT_S2_S4_S2_
    .private_segment_fixed_size: 0
    .sgpr_count:     21
    .sgpr_spill_count: 0
    .symbol:         _ZN9rocsolver6v33100L11swap_kernelIdiEEvT0_PT_S2_S4_S2_.kd
    .uniform_work_group_size: 1
    .uses_dynamic_stack: false
    .vgpr_count:     14
    .vgpr_spill_count: 0
    .wavefront_size: 64
  - .agpr_count:     0
    .args:
      - .offset:         0
        .size:           4
        .value_kind:     by_value
      - .address_space:  global
        .offset:         8
        .size:           8
        .value_kind:     global_buffer
      - .offset:         16
        .size:           4
        .value_kind:     by_value
      - .address_space:  global
        .offset:         24
        .size:           8
        .value_kind:     global_buffer
      - .offset:         32
        .size:           4
        .value_kind:     by_value
      - .offset:         40
        .size:           8
        .value_kind:     by_value
      - .offset:         48
        .size:           8
        .value_kind:     by_value
      - .offset:         56
        .size:           4
        .value_kind:     hidden_block_count_x
      - .offset:         60
        .size:           4
        .value_kind:     hidden_block_count_y
      - .offset:         64
        .size:           4
        .value_kind:     hidden_block_count_z
      - .offset:         68
        .size:           2
        .value_kind:     hidden_group_size_x
      - .offset:         70
        .size:           2
        .value_kind:     hidden_group_size_y
      - .offset:         72
        .size:           2
        .value_kind:     hidden_group_size_z
      - .offset:         74
        .size:           2
        .value_kind:     hidden_remainder_x
      - .offset:         76
        .size:           2
        .value_kind:     hidden_remainder_y
      - .offset:         78
        .size:           2
        .value_kind:     hidden_remainder_z
      - .offset:         96
        .size:           8
        .value_kind:     hidden_global_offset_x
      - .offset:         104
        .size:           8
        .value_kind:     hidden_global_offset_y
      - .offset:         112
        .size:           8
        .value_kind:     hidden_global_offset_z
      - .offset:         120
        .size:           2
        .value_kind:     hidden_grid_dims
    .group_segment_fixed_size: 0
    .kernarg_segment_align: 8
    .kernarg_segment_size: 312
    .language:       OpenCL C
    .language_version:
      - 2
      - 0
    .max_flat_workgroup_size: 1024
    .name:           _ZN9rocsolver6v33100L10rot_kernelIddiEEvT1_PT0_S2_S4_S2_T_S5_
    .private_segment_fixed_size: 0
    .sgpr_count:     25
    .sgpr_spill_count: 0
    .symbol:         _ZN9rocsolver6v33100L10rot_kernelIddiEEvT1_PT0_S2_S4_S2_T_S5_.kd
    .uniform_work_group_size: 1
    .uses_dynamic_stack: false
    .vgpr_count:     18
    .vgpr_spill_count: 0
    .wavefront_size: 64
  - .agpr_count:     0
    .args:
      - .offset:         0
        .size:           4
        .value_kind:     by_value
      - .offset:         4
        .size:           4
        .value_kind:     by_value
      - .offset:         8
        .size:           4
        .value_kind:     by_value
      - .offset:         12
        .size:           4
        .value_kind:     by_value
      - .offset:         16
        .size:           4
        .value_kind:     by_value
      - .address_space:  global
        .offset:         24
        .size:           8
        .value_kind:     global_buffer
      - .offset:         32
        .size:           8
        .value_kind:     by_value
      - .address_space:  global
        .offset:         40
        .size:           8
        .value_kind:     global_buffer
      - .offset:         48
        .size:           8
        .value_kind:     by_value
      - .address_space:  global
        .offset:         56
        .size:           8
        .value_kind:     global_buffer
      - .offset:         64
        .size:           8
        .value_kind:     by_value
      - .offset:         72
        .size:           4
        .value_kind:     by_value
      - .offset:         80
        .size:           8
        .value_kind:     by_value
      - .offset:         88
        .size:           4
        .value_kind:     by_value
      - .offset:         96
        .size:           4
        .value_kind:     hidden_block_count_x
      - .offset:         100
        .size:           4
        .value_kind:     hidden_block_count_y
      - .offset:         104
        .size:           4
        .value_kind:     hidden_block_count_z
      - .offset:         108
        .size:           2
        .value_kind:     hidden_group_size_x
      - .offset:         110
        .size:           2
        .value_kind:     hidden_group_size_y
      - .offset:         112
        .size:           2
        .value_kind:     hidden_group_size_z
      - .offset:         114
        .size:           2
        .value_kind:     hidden_remainder_x
      - .offset:         116
        .size:           2
        .value_kind:     hidden_remainder_y
      - .offset:         118
        .size:           2
        .value_kind:     hidden_remainder_z
      - .offset:         136
        .size:           8
        .value_kind:     hidden_global_offset_x
      - .offset:         144
        .size:           8
        .value_kind:     hidden_global_offset_y
      - .offset:         152
        .size:           8
        .value_kind:     hidden_global_offset_z
      - .offset:         160
        .size:           2
        .value_kind:     hidden_grid_dims
    .group_segment_fixed_size: 0
    .kernarg_segment_align: 8
    .kernarg_segment_size: 352
    .language:       OpenCL C
    .language_version:
      - 2
      - 0
    .max_flat_workgroup_size: 64
    .name:           _ZN9rocsolver6v33100L11lasr_kernelIddPdiEEv13rocblas_side_14rocblas_pivot_15rocblas_direct_T2_S6_PT0_lS8_lT1_lS6_lS6_
    .private_segment_fixed_size: 0
    .sgpr_count:     100
    .sgpr_spill_count: 10
    .symbol:         _ZN9rocsolver6v33100L11lasr_kernelIddPdiEEv13rocblas_side_14rocblas_pivot_15rocblas_direct_T2_S6_PT0_lS8_lT1_lS6_lS6_.kd
    .uniform_work_group_size: 1
    .uses_dynamic_stack: false
    .vgpr_count:     50
    .vgpr_spill_count: 0
    .wavefront_size: 64
  - .agpr_count:     0
    .args:
      - .offset:         0
        .size:           4
        .value_kind:     by_value
      - .offset:         8
        .size:           8
        .value_kind:     by_value
      - .address_space:  global
        .offset:         16
        .size:           8
        .value_kind:     global_buffer
      - .offset:         24
        .size:           4
        .value_kind:     by_value
      - .offset:         32
        .size:           4
        .value_kind:     hidden_block_count_x
      - .offset:         36
        .size:           4
        .value_kind:     hidden_block_count_y
      - .offset:         40
        .size:           4
        .value_kind:     hidden_block_count_z
      - .offset:         44
        .size:           2
        .value_kind:     hidden_group_size_x
      - .offset:         46
        .size:           2
        .value_kind:     hidden_group_size_y
      - .offset:         48
        .size:           2
        .value_kind:     hidden_group_size_z
      - .offset:         50
        .size:           2
        .value_kind:     hidden_remainder_x
      - .offset:         52
        .size:           2
        .value_kind:     hidden_remainder_y
      - .offset:         54
        .size:           2
        .value_kind:     hidden_remainder_z
      - .offset:         72
        .size:           8
        .value_kind:     hidden_global_offset_x
      - .offset:         80
        .size:           8
        .value_kind:     hidden_global_offset_y
      - .offset:         88
        .size:           8
        .value_kind:     hidden_global_offset_z
      - .offset:         96
        .size:           2
        .value_kind:     hidden_grid_dims
    .group_segment_fixed_size: 0
    .kernarg_segment_align: 8
    .kernarg_segment_size: 288
    .language:       OpenCL C
    .language_version:
      - 2
      - 0
    .max_flat_workgroup_size: 1024
    .name:           _ZN9rocsolver6v33100L11scal_kernelIddiEEvT1_T_PT0_S2_
    .private_segment_fixed_size: 0
    .sgpr_count:     19
    .sgpr_spill_count: 0
    .symbol:         _ZN9rocsolver6v33100L11scal_kernelIddiEEvT1_T_PT0_S2_.kd
    .uniform_work_group_size: 1
    .uses_dynamic_stack: false
    .vgpr_count:     8
    .vgpr_spill_count: 0
    .wavefront_size: 64
  - .agpr_count:     0
    .args:
      - .offset:         0
        .size:           4
        .value_kind:     by_value
      - .offset:         4
        .size:           4
        .value_kind:     by_value
      - .offset:         8
        .size:           4
        .value_kind:     by_value
      - .address_space:  global
        .offset:         16
        .size:           8
        .value_kind:     global_buffer
      - .offset:         24
        .size:           8
        .value_kind:     by_value
      - .address_space:  global
        .offset:         32
        .size:           8
        .value_kind:     global_buffer
      - .offset:         40
        .size:           8
        .value_kind:     by_value
      - .address_space:  global
        .offset:         48
        .size:           8
        .value_kind:     global_buffer
      - .offset:         56
        .size:           4
        .value_kind:     by_value
      - .offset:         60
        .size:           4
        .value_kind:     by_value
      - .offset:         64
        .size:           8
        .value_kind:     by_value
      - .address_space:  global
        .offset:         72
        .size:           8
        .value_kind:     global_buffer
      - .offset:         80
        .size:           4
        .value_kind:     by_value
      - .offset:         84
        .size:           4
        .value_kind:     by_value
      - .offset:         88
        .size:           8
        .value_kind:     by_value
      - .address_space:  global
        .offset:         96
        .size:           8
        .value_kind:     global_buffer
      - .address_space:  global
        .offset:         104
        .size:           8
        .value_kind:     global_buffer
      - .offset:         112
        .size:           8
        .value_kind:     by_value
      - .address_space:  global
        .offset:         120
        .size:           8
        .value_kind:     global_buffer
      - .offset:         128
        .size:           4
        .value_kind:     hidden_block_count_x
      - .offset:         132
        .size:           4
        .value_kind:     hidden_block_count_y
      - .offset:         136
        .size:           4
        .value_kind:     hidden_block_count_z
      - .offset:         140
        .size:           2
        .value_kind:     hidden_group_size_x
      - .offset:         142
        .size:           2
        .value_kind:     hidden_group_size_y
      - .offset:         144
        .size:           2
        .value_kind:     hidden_group_size_z
      - .offset:         146
        .size:           2
        .value_kind:     hidden_remainder_x
      - .offset:         148
        .size:           2
        .value_kind:     hidden_remainder_y
      - .offset:         150
        .size:           2
        .value_kind:     hidden_remainder_z
      - .offset:         168
        .size:           8
        .value_kind:     hidden_global_offset_x
      - .offset:         176
        .size:           8
        .value_kind:     hidden_global_offset_y
      - .offset:         184
        .size:           8
        .value_kind:     hidden_global_offset_z
      - .offset:         192
        .size:           2
        .value_kind:     hidden_grid_dims
    .group_segment_fixed_size: 0
    .kernarg_segment_align: 8
    .kernarg_segment_size: 384
    .language:       OpenCL C
    .language_version:
      - 2
      - 0
    .max_flat_workgroup_size: 1024
    .name:           _ZN9rocsolver6v33100L17bdsqr_lower2upperIddPdPKS2_EEviiiPT0_lS6_lT1_iilT2_iilPiS6_lS9_
    .private_segment_fixed_size: 0
    .sgpr_count:     42
    .sgpr_spill_count: 0
    .symbol:         _ZN9rocsolver6v33100L17bdsqr_lower2upperIddPdPKS2_EEviiiPT0_lS6_lT1_iilT2_iilPiS6_lS9_.kd
    .uniform_work_group_size: 1
    .uses_dynamic_stack: false
    .vgpr_count:     22
    .vgpr_spill_count: 0
    .wavefront_size: 64
  - .agpr_count:     0
    .args:
      - .offset:         0
        .size:           4
        .value_kind:     by_value
      - .offset:         4
        .size:           4
        .value_kind:     by_value
      - .offset:         8
        .size:           4
        .value_kind:     by_value
      - .offset:         12
        .size:           4
        .value_kind:     by_value
      - .address_space:  global
        .offset:         16
        .size:           8
        .value_kind:     global_buffer
      - .offset:         24
        .size:           8
        .value_kind:     by_value
      - .address_space:  global
        .offset:         32
        .size:           8
        .value_kind:     global_buffer
      - .offset:         40
        .size:           8
        .value_kind:     by_value
      - .address_space:  global
        .offset:         48
        .size:           8
        .value_kind:     global_buffer
      - .offset:         56
        .size:           4
        .value_kind:     by_value
      - .offset:         60
        .size:           4
        .value_kind:     by_value
      - .offset:         64
        .size:           8
        .value_kind:     by_value
      - .address_space:  global
        .offset:         72
        .size:           8
        .value_kind:     global_buffer
      - .offset:         80
        .size:           4
        .value_kind:     by_value
      - .offset:         84
        .size:           4
        .value_kind:     by_value
      - .offset:         88
        .size:           8
        .value_kind:     by_value
      - .address_space:  global
        .offset:         96
        .size:           8
        .value_kind:     global_buffer
      - .offset:         104
        .size:           4
        .value_kind:     by_value
      - .offset:         108
        .size:           4
        .value_kind:     by_value
      - .offset:         112
        .size:           8
        .value_kind:     by_value
      - .offset:         120
        .size:           4
        .value_kind:     by_value
      - .offset:         128
        .size:           8
        .value_kind:     by_value
      - .offset:         136
        .size:           8
        .value_kind:     by_value
      - .offset:         144
        .size:           8
        .value_kind:     by_value
      - .offset:         152
        .size:           8
        .value_kind:     by_value
      - .address_space:  global
        .offset:         160
        .size:           8
        .value_kind:     global_buffer
      - .address_space:  global
        .offset:         168
        .size:           8
        .value_kind:     global_buffer
      - .offset:         176
        .size:           4
        .value_kind:     by_value
      - .offset:         184
        .size:           8
        .value_kind:     by_value
      - .address_space:  global
        .offset:         192
        .size:           8
        .value_kind:     global_buffer
      - .offset:         200
        .size:           4
        .value_kind:     hidden_block_count_x
      - .offset:         204
        .size:           4
        .value_kind:     hidden_block_count_y
      - .offset:         208
        .size:           4
        .value_kind:     hidden_block_count_z
      - .offset:         212
        .size:           2
        .value_kind:     hidden_group_size_x
      - .offset:         214
        .size:           2
        .value_kind:     hidden_group_size_y
      - .offset:         216
        .size:           2
        .value_kind:     hidden_group_size_z
      - .offset:         218
        .size:           2
        .value_kind:     hidden_remainder_x
      - .offset:         220
        .size:           2
        .value_kind:     hidden_remainder_y
      - .offset:         222
        .size:           2
        .value_kind:     hidden_remainder_z
      - .offset:         240
        .size:           8
        .value_kind:     hidden_global_offset_x
      - .offset:         248
        .size:           8
        .value_kind:     hidden_global_offset_y
      - .offset:         256
        .size:           8
        .value_kind:     hidden_global_offset_z
      - .offset:         264
        .size:           2
        .value_kind:     hidden_grid_dims
    .group_segment_fixed_size: 2072
    .kernarg_segment_align: 8
    .kernarg_segment_size: 456
    .language:       OpenCL C
    .language_version:
      - 2
      - 0
    .max_flat_workgroup_size: 1024
    .name:           _ZN9rocsolver6v33100L13bdsqr_computeILi256EddPKPdS2_S4_EEviiiiPT1_lS6_lT2_iilT3_iilT4_iiliS5_S5_S5_S5_PiS6_ilSA_
    .private_segment_fixed_size: 0
    .sgpr_count:     100
    .sgpr_spill_count: 31
    .symbol:         _ZN9rocsolver6v33100L13bdsqr_computeILi256EddPKPdS2_S4_EEviiiiPT1_lS6_lT2_iilT3_iilT4_iiliS5_S5_S5_S5_PiS6_ilSA_.kd
    .uniform_work_group_size: 1
    .uses_dynamic_stack: false
    .vgpr_count:     37
    .vgpr_spill_count: 0
    .wavefront_size: 64
  - .agpr_count:     0
    .args:
      - .offset:         0
        .size:           4
        .value_kind:     by_value
      - .offset:         4
        .size:           4
        .value_kind:     by_value
      - .offset:         8
        .size:           4
        .value_kind:     by_value
      - .offset:         12
        .size:           4
        .value_kind:     by_value
      - .address_space:  global
        .offset:         16
        .size:           8
        .value_kind:     global_buffer
      - .offset:         24
        .size:           4
        .value_kind:     by_value
      - .offset:         28
        .size:           4
        .value_kind:     by_value
      - .offset:         32
        .size:           8
        .value_kind:     by_value
      - .address_space:  global
        .offset:         40
        .size:           8
        .value_kind:     global_buffer
      - .offset:         48
        .size:           4
        .value_kind:     by_value
      - .offset:         52
        .size:           4
        .value_kind:     by_value
      - .offset:         56
        .size:           8
        .value_kind:     by_value
      - .address_space:  global
        .offset:         64
        .size:           8
        .value_kind:     global_buffer
      - .offset:         72
        .size:           4
        .value_kind:     by_value
      - .offset:         76
        .size:           4
        .value_kind:     by_value
      - .offset:         80
        .size:           8
        .value_kind:     by_value
      - .offset:         88
        .size:           4
        .value_kind:     by_value
      - .address_space:  global
        .offset:         96
        .size:           8
        .value_kind:     global_buffer
      - .address_space:  global
        .offset:         104
        .size:           8
        .value_kind:     global_buffer
      - .offset:         112
        .size:           4
        .value_kind:     by_value
      - .offset:         120
        .size:           8
        .value_kind:     by_value
      - .address_space:  global
        .offset:         128
        .size:           8
        .value_kind:     global_buffer
      - .offset:         136
        .size:           4
        .value_kind:     hidden_block_count_x
      - .offset:         140
        .size:           4
        .value_kind:     hidden_block_count_y
      - .offset:         144
        .size:           4
        .value_kind:     hidden_block_count_z
      - .offset:         148
        .size:           2
        .value_kind:     hidden_group_size_x
      - .offset:         150
        .size:           2
        .value_kind:     hidden_group_size_y
      - .offset:         152
        .size:           2
        .value_kind:     hidden_group_size_z
      - .offset:         154
        .size:           2
        .value_kind:     hidden_remainder_x
      - .offset:         156
        .size:           2
        .value_kind:     hidden_remainder_y
      - .offset:         158
        .size:           2
        .value_kind:     hidden_remainder_z
      - .offset:         176
        .size:           8
        .value_kind:     hidden_global_offset_x
      - .offset:         184
        .size:           8
        .value_kind:     hidden_global_offset_y
      - .offset:         192
        .size:           8
        .value_kind:     hidden_global_offset_z
      - .offset:         200
        .size:           2
        .value_kind:     hidden_grid_dims
    .group_segment_fixed_size: 0
    .kernarg_segment_align: 8
    .kernarg_segment_size: 392
    .language:       OpenCL C
    .language_version:
      - 2
      - 0
    .max_flat_workgroup_size: 1024
    .name:           _ZN9rocsolver6v33100L12bdsqr_rotateIddPKPdS2_S4_EEviiiiT1_iilT2_iilT3_iiliPiPT0_ilS8_
    .private_segment_fixed_size: 0
    .sgpr_count:     54
    .sgpr_spill_count: 0
    .symbol:         _ZN9rocsolver6v33100L12bdsqr_rotateIddPKPdS2_S4_EEviiiiT1_iilT2_iilT3_iiliPiPT0_ilS8_.kd
    .uniform_work_group_size: 1
    .uses_dynamic_stack: false
    .vgpr_count:     24
    .vgpr_spill_count: 0
    .wavefront_size: 64
  - .agpr_count:     0
    .args:
      - .offset:         0
        .size:           4
        .value_kind:     by_value
      - .address_space:  global
        .offset:         8
        .size:           8
        .value_kind:     global_buffer
      - .offset:         16
        .size:           8
        .value_kind:     by_value
      - .address_space:  global
        .offset:         24
        .size:           8
        .value_kind:     global_buffer
      - .address_space:  global
        .offset:         32
        .size:           8
        .value_kind:     global_buffer
      - .offset:         40
        .size:           8
        .value_kind:     by_value
      - .address_space:  global
        .offset:         48
        .size:           8
        .value_kind:     global_buffer
      - .offset:         56
        .size:           4
        .value_kind:     hidden_block_count_x
      - .offset:         60
        .size:           4
        .value_kind:     hidden_block_count_y
      - .offset:         64
        .size:           4
        .value_kind:     hidden_block_count_z
      - .offset:         68
        .size:           2
        .value_kind:     hidden_group_size_x
      - .offset:         70
        .size:           2
        .value_kind:     hidden_group_size_y
      - .offset:         72
        .size:           2
        .value_kind:     hidden_group_size_z
      - .offset:         74
        .size:           2
        .value_kind:     hidden_remainder_x
      - .offset:         76
        .size:           2
        .value_kind:     hidden_remainder_y
      - .offset:         78
        .size:           2
        .value_kind:     hidden_remainder_z
      - .offset:         96
        .size:           8
        .value_kind:     hidden_global_offset_x
      - .offset:         104
        .size:           8
        .value_kind:     hidden_global_offset_y
      - .offset:         112
        .size:           8
        .value_kind:     hidden_global_offset_z
      - .offset:         120
        .size:           2
        .value_kind:     hidden_grid_dims
    .group_segment_fixed_size: 0
    .kernarg_segment_align: 8
    .kernarg_segment_size: 312
    .language:       OpenCL C
    .language_version:
      - 2
      - 0
    .max_flat_workgroup_size: 1024
    .name:           _ZN9rocsolver6v33100L22bdsqr_update_endpointsIddEEviPT0_lPiS3_lS4_
    .private_segment_fixed_size: 0
    .sgpr_count:     30
    .sgpr_spill_count: 0
    .symbol:         _ZN9rocsolver6v33100L22bdsqr_update_endpointsIddEEviPT0_lPiS3_lS4_.kd
    .uniform_work_group_size: 1
    .uses_dynamic_stack: false
    .vgpr_count:     16
    .vgpr_spill_count: 0
    .wavefront_size: 64
  - .agpr_count:     0
    .args:
      - .offset:         0
        .size:           4
        .value_kind:     by_value
      - .offset:         4
        .size:           4
        .value_kind:     by_value
      - .address_space:  global
        .offset:         8
        .size:           8
        .value_kind:     global_buffer
      - .address_space:  global
        .offset:         16
        .size:           8
        .value_kind:     global_buffer
      - .offset:         24
        .size:           8
        .value_kind:     by_value
      - .address_space:  global
        .offset:         32
        .size:           8
        .value_kind:     global_buffer
    .group_segment_fixed_size: 0
    .kernarg_segment_align: 8
    .kernarg_segment_size: 40
    .language:       OpenCL C
    .language_version:
      - 2
      - 0
    .max_flat_workgroup_size: 1024
    .name:           _ZN9rocsolver6v33100L19bdsqr_chk_completedIddEEviiPiPT0_lS2_
    .private_segment_fixed_size: 0
    .sgpr_count:     24
    .sgpr_spill_count: 0
    .symbol:         _ZN9rocsolver6v33100L19bdsqr_chk_completedIddEEviiPiPT0_lS2_.kd
    .uniform_work_group_size: 1
    .uses_dynamic_stack: false
    .vgpr_count:     6
    .vgpr_spill_count: 0
    .wavefront_size: 64
  - .agpr_count:     0
    .args:
      - .offset:         0
        .size:           4
        .value_kind:     by_value
      - .offset:         4
        .size:           4
        .value_kind:     by_value
      - .offset:         8
        .size:           4
        .value_kind:     by_value
      - .offset:         12
        .size:           4
        .value_kind:     by_value
      - .address_space:  global
        .offset:         16
        .size:           8
        .value_kind:     global_buffer
      - .offset:         24
        .size:           8
        .value_kind:     by_value
      - .address_space:  global
        .offset:         32
        .size:           8
        .value_kind:     global_buffer
      - .offset:         40
        .size:           8
        .value_kind:     by_value
      - .address_space:  global
        .offset:         48
        .size:           8
        .value_kind:     global_buffer
      - .offset:         56
        .size:           4
        .value_kind:     by_value
      - .offset:         60
        .size:           4
        .value_kind:     by_value
      - .offset:         64
        .size:           8
        .value_kind:     by_value
      - .address_space:  global
        .offset:         72
        .size:           8
        .value_kind:     global_buffer
      - .offset:         80
        .size:           4
        .value_kind:     by_value
      - .offset:         84
        .size:           4
        .value_kind:     by_value
      - .offset:         88
        .size:           8
        .value_kind:     by_value
      - .address_space:  global
        .offset:         96
        .size:           8
        .value_kind:     global_buffer
      - .offset:         104
        .size:           4
        .value_kind:     by_value
      - .offset:         108
        .size:           4
        .value_kind:     by_value
      - .offset:         112
        .size:           8
        .value_kind:     by_value
      - .address_space:  global
        .offset:         120
        .size:           8
        .value_kind:     global_buffer
      - .address_space:  global
        .offset:         128
        .size:           8
        .value_kind:     global_buffer
      - .address_space:  global
        .offset:         136
        .size:           8
        .value_kind:     global_buffer
      - .offset:         144
        .size:           4
        .value_kind:     hidden_block_count_x
      - .offset:         148
        .size:           4
        .value_kind:     hidden_block_count_y
      - .offset:         152
        .size:           4
        .value_kind:     hidden_block_count_z
      - .offset:         156
        .size:           2
        .value_kind:     hidden_group_size_x
      - .offset:         158
        .size:           2
        .value_kind:     hidden_group_size_y
      - .offset:         160
        .size:           2
        .value_kind:     hidden_group_size_z
      - .offset:         162
        .size:           2
        .value_kind:     hidden_remainder_x
      - .offset:         164
        .size:           2
        .value_kind:     hidden_remainder_y
      - .offset:         166
        .size:           2
        .value_kind:     hidden_remainder_z
      - .offset:         184
        .size:           8
        .value_kind:     hidden_global_offset_x
      - .offset:         192
        .size:           8
        .value_kind:     hidden_global_offset_y
      - .offset:         200
        .size:           8
        .value_kind:     hidden_global_offset_z
      - .offset:         208
        .size:           2
        .value_kind:     hidden_grid_dims
      - .offset:         224
        .size:           8
        .value_kind:     hidden_hostcall_buffer
    .group_segment_fixed_size: 0
    .kernarg_segment_align: 8
    .kernarg_segment_size: 400
    .language:       OpenCL C
    .language_version:
      - 2
      - 0
    .max_flat_workgroup_size: 1024
    .name:           _ZN9rocsolver6v33100L14bdsqr_finalizeIddPKPdS2_S4_EEviiiiPT0_lS6_lT1_iilT2_iilT3_iilPiSA_SA_
    .private_segment_fixed_size: 64
    .sgpr_count:     84
    .sgpr_spill_count: 0
    .symbol:         _ZN9rocsolver6v33100L14bdsqr_finalizeIddPKPdS2_S4_EEviiiiPT0_lS6_lT1_iilT2_iilT3_iilPiSA_SA_.kd
    .uniform_work_group_size: 1
    .uses_dynamic_stack: false
    .vgpr_count:     45
    .vgpr_spill_count: 0
    .wavefront_size: 64
  - .agpr_count:     0
    .args:
      - .offset:         0
        .size:           4
        .value_kind:     by_value
      - .offset:         4
        .size:           4
        .value_kind:     by_value
      - .offset:         8
        .size:           4
        .value_kind:     by_value
      - .address_space:  global
        .offset:         16
        .size:           8
        .value_kind:     global_buffer
      - .offset:         24
        .size:           8
        .value_kind:     by_value
      - .address_space:  global
        .offset:         32
        .size:           8
        .value_kind:     global_buffer
      - .offset:         40
        .size:           8
        .value_kind:     by_value
      - .address_space:  global
        .offset:         48
        .size:           8
        .value_kind:     global_buffer
      - .offset:         56
        .size:           4
        .value_kind:     by_value
      - .offset:         60
        .size:           4
        .value_kind:     by_value
      - .offset:         64
        .size:           8
        .value_kind:     by_value
      - .address_space:  global
        .offset:         72
        .size:           8
        .value_kind:     global_buffer
      - .offset:         80
        .size:           4
        .value_kind:     by_value
      - .offset:         84
        .size:           4
        .value_kind:     by_value
      - .offset:         88
        .size:           8
        .value_kind:     by_value
      - .address_space:  global
        .offset:         96
        .size:           8
        .value_kind:     global_buffer
      - .address_space:  global
        .offset:         104
        .size:           8
        .value_kind:     global_buffer
      - .offset:         112
        .size:           8
        .value_kind:     by_value
      - .address_space:  global
        .offset:         120
        .size:           8
        .value_kind:     global_buffer
      - .offset:         128
        .size:           4
        .value_kind:     hidden_block_count_x
      - .offset:         132
        .size:           4
        .value_kind:     hidden_block_count_y
      - .offset:         136
        .size:           4
        .value_kind:     hidden_block_count_z
      - .offset:         140
        .size:           2
        .value_kind:     hidden_group_size_x
      - .offset:         142
        .size:           2
        .value_kind:     hidden_group_size_y
      - .offset:         144
        .size:           2
        .value_kind:     hidden_group_size_z
      - .offset:         146
        .size:           2
        .value_kind:     hidden_remainder_x
      - .offset:         148
        .size:           2
        .value_kind:     hidden_remainder_y
      - .offset:         150
        .size:           2
        .value_kind:     hidden_remainder_z
      - .offset:         168
        .size:           8
        .value_kind:     hidden_global_offset_x
      - .offset:         176
        .size:           8
        .value_kind:     hidden_global_offset_y
      - .offset:         184
        .size:           8
        .value_kind:     hidden_global_offset_z
      - .offset:         192
        .size:           2
        .value_kind:     hidden_grid_dims
    .group_segment_fixed_size: 0
    .kernarg_segment_align: 8
    .kernarg_segment_size: 384
    .language:       OpenCL C
    .language_version:
      - 2
      - 0
    .max_flat_workgroup_size: 1024
    .name:           _ZN9rocsolver6v33100L17bdsqr_lower2upperIddPKPdS4_EEviiiPT0_lS6_lT1_iilT2_iilPiS6_lS9_
    .private_segment_fixed_size: 0
    .sgpr_count:     42
    .sgpr_spill_count: 0
    .symbol:         _ZN9rocsolver6v33100L17bdsqr_lower2upperIddPKPdS4_EEviiiPT0_lS6_lT1_iilT2_iilPiS6_lS9_.kd
    .uniform_work_group_size: 1
    .uses_dynamic_stack: false
    .vgpr_count:     22
    .vgpr_spill_count: 0
    .wavefront_size: 64
  - .agpr_count:     0
    .args:
      - .offset:         0
        .size:           4
        .value_kind:     by_value
      - .offset:         4
        .size:           4
        .value_kind:     by_value
      - .offset:         8
        .size:           4
        .value_kind:     by_value
      - .offset:         12
        .size:           4
        .value_kind:     by_value
      - .address_space:  global
        .offset:         16
        .size:           8
        .value_kind:     global_buffer
      - .offset:         24
        .size:           8
        .value_kind:     by_value
      - .address_space:  global
        .offset:         32
        .size:           8
        .value_kind:     global_buffer
      - .offset:         40
        .size:           8
        .value_kind:     by_value
      - .address_space:  global
        .offset:         48
        .size:           8
        .value_kind:     global_buffer
      - .offset:         56
        .size:           4
        .value_kind:     by_value
      - .offset:         60
        .size:           4
        .value_kind:     by_value
      - .offset:         64
        .size:           8
        .value_kind:     by_value
      - .address_space:  global
        .offset:         72
        .size:           8
        .value_kind:     global_buffer
      - .offset:         80
        .size:           4
        .value_kind:     by_value
      - .offset:         84
        .size:           4
        .value_kind:     by_value
      - .offset:         88
        .size:           8
        .value_kind:     by_value
      - .address_space:  global
        .offset:         96
        .size:           8
        .value_kind:     global_buffer
      - .offset:         104
        .size:           4
        .value_kind:     by_value
      - .offset:         108
        .size:           4
        .value_kind:     by_value
      - .offset:         112
        .size:           8
        .value_kind:     by_value
      - .offset:         120
        .size:           4
        .value_kind:     by_value
      - .offset:         128
        .size:           8
        .value_kind:     by_value
      - .offset:         136
        .size:           8
        .value_kind:     by_value
      - .offset:         144
        .size:           8
        .value_kind:     by_value
      - .offset:         152
        .size:           8
        .value_kind:     by_value
      - .address_space:  global
        .offset:         160
        .size:           8
        .value_kind:     global_buffer
      - .address_space:  global
        .offset:         168
        .size:           8
        .value_kind:     global_buffer
      - .offset:         176
        .size:           4
        .value_kind:     by_value
      - .offset:         184
        .size:           8
        .value_kind:     by_value
      - .address_space:  global
        .offset:         192
        .size:           8
        .value_kind:     global_buffer
      - .offset:         200
        .size:           4
        .value_kind:     hidden_block_count_x
      - .offset:         204
        .size:           4
        .value_kind:     hidden_block_count_y
      - .offset:         208
        .size:           4
        .value_kind:     hidden_block_count_z
      - .offset:         212
        .size:           2
        .value_kind:     hidden_group_size_x
      - .offset:         214
        .size:           2
        .value_kind:     hidden_group_size_y
      - .offset:         216
        .size:           2
        .value_kind:     hidden_group_size_z
      - .offset:         218
        .size:           2
        .value_kind:     hidden_remainder_x
      - .offset:         220
        .size:           2
        .value_kind:     hidden_remainder_y
      - .offset:         222
        .size:           2
        .value_kind:     hidden_remainder_z
      - .offset:         240
        .size:           8
        .value_kind:     hidden_global_offset_x
      - .offset:         248
        .size:           8
        .value_kind:     hidden_global_offset_y
      - .offset:         256
        .size:           8
        .value_kind:     hidden_global_offset_z
      - .offset:         264
        .size:           2
        .value_kind:     hidden_grid_dims
    .group_segment_fixed_size: 2072
    .kernarg_segment_align: 8
    .kernarg_segment_size: 456
    .language:       OpenCL C
    .language_version:
      - 2
      - 0
    .max_flat_workgroup_size: 1024
    .name:           _ZN9rocsolver6v33100L13bdsqr_computeILi256EddPdPKS2_S4_EEviiiiPT1_lS6_lT2_iilT3_iilT4_iiliS5_S5_S5_S5_PiS6_ilSA_
    .private_segment_fixed_size: 0
    .sgpr_count:     100
    .sgpr_spill_count: 33
    .symbol:         _ZN9rocsolver6v33100L13bdsqr_computeILi256EddPdPKS2_S4_EEviiiiPT1_lS6_lT2_iilT3_iilT4_iiliS5_S5_S5_S5_PiS6_ilSA_.kd
    .uniform_work_group_size: 1
    .uses_dynamic_stack: false
    .vgpr_count:     37
    .vgpr_spill_count: 0
    .wavefront_size: 64
  - .agpr_count:     0
    .args:
      - .offset:         0
        .size:           4
        .value_kind:     by_value
      - .offset:         4
        .size:           4
        .value_kind:     by_value
      - .offset:         8
        .size:           4
        .value_kind:     by_value
      - .offset:         12
        .size:           4
        .value_kind:     by_value
      - .address_space:  global
        .offset:         16
        .size:           8
        .value_kind:     global_buffer
      - .offset:         24
        .size:           4
        .value_kind:     by_value
      - .offset:         28
        .size:           4
        .value_kind:     by_value
      - .offset:         32
        .size:           8
        .value_kind:     by_value
      - .address_space:  global
        .offset:         40
        .size:           8
        .value_kind:     global_buffer
      - .offset:         48
        .size:           4
        .value_kind:     by_value
      - .offset:         52
        .size:           4
        .value_kind:     by_value
      - .offset:         56
        .size:           8
        .value_kind:     by_value
      - .address_space:  global
        .offset:         64
        .size:           8
        .value_kind:     global_buffer
      - .offset:         72
        .size:           4
        .value_kind:     by_value
      - .offset:         76
        .size:           4
        .value_kind:     by_value
      - .offset:         80
        .size:           8
        .value_kind:     by_value
      - .offset:         88
        .size:           4
        .value_kind:     by_value
      - .address_space:  global
        .offset:         96
        .size:           8
        .value_kind:     global_buffer
      - .address_space:  global
        .offset:         104
        .size:           8
        .value_kind:     global_buffer
      - .offset:         112
        .size:           4
        .value_kind:     by_value
      - .offset:         120
        .size:           8
        .value_kind:     by_value
      - .address_space:  global
        .offset:         128
        .size:           8
        .value_kind:     global_buffer
      - .offset:         136
        .size:           4
        .value_kind:     hidden_block_count_x
      - .offset:         140
        .size:           4
        .value_kind:     hidden_block_count_y
      - .offset:         144
        .size:           4
        .value_kind:     hidden_block_count_z
      - .offset:         148
        .size:           2
        .value_kind:     hidden_group_size_x
      - .offset:         150
        .size:           2
        .value_kind:     hidden_group_size_y
      - .offset:         152
        .size:           2
        .value_kind:     hidden_group_size_z
      - .offset:         154
        .size:           2
        .value_kind:     hidden_remainder_x
      - .offset:         156
        .size:           2
        .value_kind:     hidden_remainder_y
      - .offset:         158
        .size:           2
        .value_kind:     hidden_remainder_z
      - .offset:         176
        .size:           8
        .value_kind:     hidden_global_offset_x
      - .offset:         184
        .size:           8
        .value_kind:     hidden_global_offset_y
      - .offset:         192
        .size:           8
        .value_kind:     hidden_global_offset_z
      - .offset:         200
        .size:           2
        .value_kind:     hidden_grid_dims
    .group_segment_fixed_size: 0
    .kernarg_segment_align: 8
    .kernarg_segment_size: 392
    .language:       OpenCL C
    .language_version:
      - 2
      - 0
    .max_flat_workgroup_size: 1024
    .name:           _ZN9rocsolver6v33100L12bdsqr_rotateIddPdPKS2_S4_EEviiiiT1_iilT2_iilT3_iiliPiPT0_ilS8_
    .private_segment_fixed_size: 0
    .sgpr_count:     54
    .sgpr_spill_count: 0
    .symbol:         _ZN9rocsolver6v33100L12bdsqr_rotateIddPdPKS2_S4_EEviiiiT1_iilT2_iilT3_iiliPiPT0_ilS8_.kd
    .uniform_work_group_size: 1
    .uses_dynamic_stack: false
    .vgpr_count:     24
    .vgpr_spill_count: 0
    .wavefront_size: 64
  - .agpr_count:     0
    .args:
      - .offset:         0
        .size:           4
        .value_kind:     by_value
      - .offset:         4
        .size:           4
        .value_kind:     by_value
      - .offset:         8
        .size:           4
        .value_kind:     by_value
      - .offset:         12
        .size:           4
        .value_kind:     by_value
      - .address_space:  global
        .offset:         16
        .size:           8
        .value_kind:     global_buffer
      - .offset:         24
        .size:           8
        .value_kind:     by_value
      - .address_space:  global
        .offset:         32
        .size:           8
        .value_kind:     global_buffer
      - .offset:         40
        .size:           8
        .value_kind:     by_value
      - .address_space:  global
        .offset:         48
        .size:           8
        .value_kind:     global_buffer
      - .offset:         56
        .size:           4
        .value_kind:     by_value
      - .offset:         60
        .size:           4
        .value_kind:     by_value
      - .offset:         64
        .size:           8
        .value_kind:     by_value
      - .address_space:  global
        .offset:         72
        .size:           8
        .value_kind:     global_buffer
      - .offset:         80
        .size:           4
        .value_kind:     by_value
      - .offset:         84
        .size:           4
        .value_kind:     by_value
      - .offset:         88
        .size:           8
        .value_kind:     by_value
      - .address_space:  global
        .offset:         96
        .size:           8
        .value_kind:     global_buffer
      - .offset:         104
        .size:           4
        .value_kind:     by_value
      - .offset:         108
        .size:           4
        .value_kind:     by_value
      - .offset:         112
        .size:           8
        .value_kind:     by_value
      - .address_space:  global
        .offset:         120
        .size:           8
        .value_kind:     global_buffer
      - .address_space:  global
        .offset:         128
        .size:           8
        .value_kind:     global_buffer
      - .address_space:  global
        .offset:         136
        .size:           8
        .value_kind:     global_buffer
      - .offset:         144
        .size:           4
        .value_kind:     hidden_block_count_x
      - .offset:         148
        .size:           4
        .value_kind:     hidden_block_count_y
      - .offset:         152
        .size:           4
        .value_kind:     hidden_block_count_z
      - .offset:         156
        .size:           2
        .value_kind:     hidden_group_size_x
      - .offset:         158
        .size:           2
        .value_kind:     hidden_group_size_y
      - .offset:         160
        .size:           2
        .value_kind:     hidden_group_size_z
      - .offset:         162
        .size:           2
        .value_kind:     hidden_remainder_x
      - .offset:         164
        .size:           2
        .value_kind:     hidden_remainder_y
      - .offset:         166
        .size:           2
        .value_kind:     hidden_remainder_z
      - .offset:         184
        .size:           8
        .value_kind:     hidden_global_offset_x
      - .offset:         192
        .size:           8
        .value_kind:     hidden_global_offset_y
      - .offset:         200
        .size:           8
        .value_kind:     hidden_global_offset_z
      - .offset:         208
        .size:           2
        .value_kind:     hidden_grid_dims
      - .offset:         224
        .size:           8
        .value_kind:     hidden_hostcall_buffer
    .group_segment_fixed_size: 0
    .kernarg_segment_align: 8
    .kernarg_segment_size: 400
    .language:       OpenCL C
    .language_version:
      - 2
      - 0
    .max_flat_workgroup_size: 1024
    .name:           _ZN9rocsolver6v33100L14bdsqr_finalizeIddPdPKS2_S4_EEviiiiPT0_lS6_lT1_iilT2_iilT3_iilPiSA_SA_
    .private_segment_fixed_size: 64
    .sgpr_count:     84
    .sgpr_spill_count: 0
    .symbol:         _ZN9rocsolver6v33100L14bdsqr_finalizeIddPdPKS2_S4_EEviiiiPT0_lS6_lT1_iilT2_iilT3_iilPiSA_SA_.kd
    .uniform_work_group_size: 1
    .uses_dynamic_stack: false
    .vgpr_count:     45
    .vgpr_spill_count: 0
    .wavefront_size: 64
  - .agpr_count:     0
    .args:
      - .offset:         0
        .size:           4
        .value_kind:     by_value
      - .offset:         4
        .size:           4
        .value_kind:     by_value
      - .address_space:  global
        .offset:         8
        .size:           8
        .value_kind:     global_buffer
      - .offset:         16
        .size:           4
        .value_kind:     by_value
      - .offset:         20
        .size:           4
        .value_kind:     by_value
      - .offset:         24
        .size:           8
        .value_kind:     by_value
      - .address_space:  global
        .offset:         32
        .size:           8
        .value_kind:     global_buffer
      - .offset:         40
        .size:           4
        .value_kind:     by_value
      - .offset:         44
        .size:           4
        .value_kind:     by_value
      - .offset:         48
        .size:           8
        .value_kind:     by_value
      - .offset:         56
        .size:           1
        .value_kind:     by_value
      - .offset:         60
        .size:           4
        .value_kind:     by_value
      - .offset:         64
        .size:           4
        .value_kind:     by_value
      - .offset:         72
        .size:           4
        .value_kind:     hidden_block_count_x
      - .offset:         76
        .size:           4
        .value_kind:     hidden_block_count_y
      - .offset:         80
        .size:           4
        .value_kind:     hidden_block_count_z
      - .offset:         84
        .size:           2
        .value_kind:     hidden_group_size_x
      - .offset:         86
        .size:           2
        .value_kind:     hidden_group_size_y
      - .offset:         88
        .size:           2
        .value_kind:     hidden_group_size_z
      - .offset:         90
        .size:           2
        .value_kind:     hidden_remainder_x
      - .offset:         92
        .size:           2
        .value_kind:     hidden_remainder_y
      - .offset:         94
        .size:           2
        .value_kind:     hidden_remainder_z
      - .offset:         112
        .size:           8
        .value_kind:     hidden_global_offset_x
      - .offset:         120
        .size:           8
        .value_kind:     hidden_global_offset_y
      - .offset:         128
        .size:           8
        .value_kind:     hidden_global_offset_z
      - .offset:         136
        .size:           2
        .value_kind:     hidden_grid_dims
    .group_segment_fixed_size: 0
    .kernarg_segment_align: 8
    .kernarg_segment_size: 328
    .language:       OpenCL C
    .language_version:
      - 2
      - 0
    .max_flat_workgroup_size: 1024
    .name:           _ZN9rocsolver6v33100L8copy_matIdPKPdS2_NS0_7no_maskEEEviiT0_iilT1_iilT2_13rocblas_fill_17rocblas_diagonal_
    .private_segment_fixed_size: 0
    .sgpr_count:     20
    .sgpr_spill_count: 0
    .symbol:         _ZN9rocsolver6v33100L8copy_matIdPKPdS2_NS0_7no_maskEEEviiT0_iilT1_iilT2_13rocblas_fill_17rocblas_diagonal_.kd
    .uniform_work_group_size: 1
    .uses_dynamic_stack: false
    .vgpr_count:     6
    .vgpr_spill_count: 0
    .wavefront_size: 64
  - .agpr_count:     0
    .args:
      - .offset:         0
        .size:           4
        .value_kind:     by_value
      - .offset:         4
        .size:           4
        .value_kind:     by_value
      - .offset:         8
        .size:           4
        .value_kind:     by_value
      - .address_space:  global
        .offset:         16
        .size:           8
        .value_kind:     global_buffer
      - .offset:         24
        .size:           4
        .value_kind:     by_value
      - .offset:         28
        .size:           4
        .value_kind:     by_value
      - .offset:         32
        .size:           8
        .value_kind:     by_value
      - .offset:         40
        .size:           4
        .value_kind:     hidden_block_count_x
      - .offset:         44
        .size:           4
        .value_kind:     hidden_block_count_y
      - .offset:         48
        .size:           4
        .value_kind:     hidden_block_count_z
      - .offset:         52
        .size:           2
        .value_kind:     hidden_group_size_x
      - .offset:         54
        .size:           2
        .value_kind:     hidden_group_size_y
      - .offset:         56
        .size:           2
        .value_kind:     hidden_group_size_z
      - .offset:         58
        .size:           2
        .value_kind:     hidden_remainder_x
      - .offset:         60
        .size:           2
        .value_kind:     hidden_remainder_y
      - .offset:         62
        .size:           2
        .value_kind:     hidden_remainder_z
      - .offset:         80
        .size:           8
        .value_kind:     hidden_global_offset_x
      - .offset:         88
        .size:           8
        .value_kind:     hidden_global_offset_y
      - .offset:         96
        .size:           8
        .value_kind:     hidden_global_offset_z
      - .offset:         104
        .size:           2
        .value_kind:     hidden_grid_dims
    .group_segment_fixed_size: 0
    .kernarg_segment_align: 8
    .kernarg_segment_size: 296
    .language:       OpenCL C
    .language_version:
      - 2
      - 0
    .max_flat_workgroup_size: 1024
    .name:           _ZN9rocsolver6v33100L16org2r_init_identIdPdEEviiiT0_iil
    .private_segment_fixed_size: 0
    .sgpr_count:     20
    .sgpr_spill_count: 0
    .symbol:         _ZN9rocsolver6v33100L16org2r_init_identIdPdEEviiiT0_iil.kd
    .uniform_work_group_size: 1
    .uses_dynamic_stack: false
    .vgpr_count:     8
    .vgpr_spill_count: 0
    .wavefront_size: 64
  - .agpr_count:     0
    .args:
      - .offset:         0
        .size:           4
        .value_kind:     by_value
      - .offset:         4
        .size:           4
        .value_kind:     by_value
      - .address_space:  global
        .offset:         8
        .size:           8
        .value_kind:     global_buffer
      - .offset:         16
        .size:           8
        .value_kind:     by_value
      - .offset:         24
        .size:           4
        .value_kind:     by_value
      - .offset:         32
        .size:           8
        .value_kind:     by_value
      - .address_space:  global
        .offset:         40
        .size:           8
        .value_kind:     global_buffer
      - .offset:         48
        .size:           8
        .value_kind:     by_value
      - .address_space:  global
        .offset:         56
        .size:           8
        .value_kind:     global_buffer
      - .offset:         64
        .size:           8
        .value_kind:     by_value
      - .offset:         72
        .size:           4
        .value_kind:     by_value
      - .offset:         80
        .size:           8
        .value_kind:     by_value
    .group_segment_fixed_size: 0
    .kernarg_segment_align: 8
    .kernarg_segment_size: 88
    .language:       OpenCL C
    .language_version:
      - 2
      - 0
    .max_flat_workgroup_size: 1024
    .name:           _ZN9rocsolver6v33100L16larf_left_kernelILi1024EdiPdEEvT1_S3_T2_lS3_lPKT0_lS4_lS3_l
    .private_segment_fixed_size: 0
    .sgpr_count:     40
    .sgpr_spill_count: 0
    .symbol:         _ZN9rocsolver6v33100L16larf_left_kernelILi1024EdiPdEEvT1_S3_T2_lS3_lPKT0_lS4_lS3_l.kd
    .uniform_work_group_size: 1
    .uses_dynamic_stack: false
    .vgpr_count:     20
    .vgpr_spill_count: 0
    .wavefront_size: 64
  - .agpr_count:     0
    .args:
      - .offset:         0
        .size:           4
        .value_kind:     by_value
      - .offset:         4
        .size:           4
        .value_kind:     by_value
      - .address_space:  global
        .offset:         8
        .size:           8
        .value_kind:     global_buffer
      - .offset:         16
        .size:           8
        .value_kind:     by_value
      - .offset:         24
        .size:           4
        .value_kind:     by_value
      - .offset:         32
        .size:           8
        .value_kind:     by_value
      - .address_space:  global
        .offset:         40
        .size:           8
        .value_kind:     global_buffer
      - .offset:         48
        .size:           8
        .value_kind:     by_value
      - .address_space:  global
        .offset:         56
        .size:           8
        .value_kind:     global_buffer
      - .offset:         64
        .size:           8
        .value_kind:     by_value
      - .offset:         72
        .size:           4
        .value_kind:     by_value
      - .offset:         80
        .size:           8
        .value_kind:     by_value
    .group_segment_fixed_size: 0
    .kernarg_segment_align: 8
    .kernarg_segment_size: 88
    .language:       OpenCL C
    .language_version:
      - 2
      - 0
    .max_flat_workgroup_size: 1024
    .name:           _ZN9rocsolver6v33100L17larf_right_kernelILi1024EdiPdEEvT1_S3_T2_lS3_lPKT0_lS4_lS3_l
    .private_segment_fixed_size: 0
    .sgpr_count:     40
    .sgpr_spill_count: 0
    .symbol:         _ZN9rocsolver6v33100L17larf_right_kernelILi1024EdiPdEEvT1_S3_T2_lS3_lPKT0_lS4_lS3_l.kd
    .uniform_work_group_size: 1
    .uses_dynamic_stack: false
    .vgpr_count:     21
    .vgpr_spill_count: 0
    .wavefront_size: 64
  - .agpr_count:     0
    .args:
      - .offset:         0
        .size:           4
        .value_kind:     by_value
      - .offset:         4
        .size:           4
        .value_kind:     by_value
      - .address_space:  global
        .offset:         8
        .size:           8
        .value_kind:     global_buffer
      - .offset:         16
        .size:           4
        .value_kind:     by_value
      - .offset:         20
        .size:           4
        .value_kind:     by_value
      - .offset:         24
        .size:           8
        .value_kind:     by_value
      - .address_space:  global
        .offset:         32
        .size:           8
        .value_kind:     global_buffer
      - .offset:         40
        .size:           8
        .value_kind:     by_value
    .group_segment_fixed_size: 0
    .kernarg_segment_align: 8
    .kernarg_segment_size: 48
    .language:       OpenCL C
    .language_version:
      - 2
      - 0
    .max_flat_workgroup_size: 1024
    .name:           _ZN9rocsolver6v33100L12subtract_tauIdPdEEviiT0_iilPT_l
    .private_segment_fixed_size: 0
    .sgpr_count:     20
    .sgpr_spill_count: 0
    .symbol:         _ZN9rocsolver6v33100L12subtract_tauIdPdEEviiT0_iilPT_l.kd
    .uniform_work_group_size: 1
    .uses_dynamic_stack: false
    .vgpr_count:     3
    .vgpr_spill_count: 0
    .wavefront_size: 64
  - .agpr_count:     0
    .args:
      - .offset:         0
        .size:           4
        .value_kind:     by_value
      - .offset:         4
        .size:           4
        .value_kind:     by_value
      - .address_space:  global
        .offset:         8
        .size:           8
        .value_kind:     global_buffer
      - .offset:         16
        .size:           4
        .value_kind:     by_value
      - .offset:         20
        .size:           4
        .value_kind:     by_value
      - .offset:         24
        .size:           8
        .value_kind:     by_value
      - .address_space:  global
        .offset:         32
        .size:           8
        .value_kind:     global_buffer
      - .offset:         40
        .size:           8
        .value_kind:     by_value
      - .address_space:  global
        .offset:         48
        .size:           8
        .value_kind:     global_buffer
      - .offset:         56
        .size:           4
        .value_kind:     by_value
      - .offset:         64
        .size:           8
        .value_kind:     by_value
      - .offset:         72
        .size:           4
        .value_kind:     by_value
      - .offset:         76
        .size:           4
        .value_kind:     by_value
      - .offset:         80
        .size:           1
        .value_kind:     by_value
      - .offset:         88
        .size:           4
        .value_kind:     hidden_block_count_x
      - .offset:         92
        .size:           4
        .value_kind:     hidden_block_count_y
      - .offset:         96
        .size:           4
        .value_kind:     hidden_block_count_z
      - .offset:         100
        .size:           2
        .value_kind:     hidden_group_size_x
      - .offset:         102
        .size:           2
        .value_kind:     hidden_group_size_y
      - .offset:         104
        .size:           2
        .value_kind:     hidden_group_size_z
      - .offset:         106
        .size:           2
        .value_kind:     hidden_remainder_x
      - .offset:         108
        .size:           2
        .value_kind:     hidden_remainder_y
      - .offset:         110
        .size:           2
        .value_kind:     hidden_remainder_z
      - .offset:         128
        .size:           8
        .value_kind:     hidden_global_offset_x
      - .offset:         136
        .size:           8
        .value_kind:     hidden_global_offset_y
      - .offset:         144
        .size:           8
        .value_kind:     hidden_global_offset_z
      - .offset:         152
        .size:           2
        .value_kind:     hidden_grid_dims
    .group_segment_fixed_size: 0
    .kernarg_segment_align: 8
    .kernarg_segment_size: 344
    .language:       OpenCL C
    .language_version:
      - 2
      - 0
    .max_flat_workgroup_size: 1024
    .name:           _ZN9rocsolver6v33100L14set_triangularIdPdTnNSt9enable_ifIXnt18rocblas_is_complexIT_EEiE4typeELi0EEEviiT0_iilPS4_lS8_il15rocblas_direct_15rocblas_storev_b
    .private_segment_fixed_size: 0
    .sgpr_count:     27
    .sgpr_spill_count: 0
    .symbol:         _ZN9rocsolver6v33100L14set_triangularIdPdTnNSt9enable_ifIXnt18rocblas_is_complexIT_EEiE4typeELi0EEEviiT0_iilPS4_lS8_il15rocblas_direct_15rocblas_storev_b.kd
    .uniform_work_group_size: 1
    .uses_dynamic_stack: false
    .vgpr_count:     18
    .vgpr_spill_count: 0
    .wavefront_size: 64
  - .agpr_count:     0
    .args:
      - .offset:         0
        .size:           4
        .value_kind:     by_value
      - .offset:         4
        .size:           4
        .value_kind:     by_value
      - .offset:         8
        .size:           4
        .value_kind:     by_value
      - .address_space:  global
        .offset:         16
        .size:           8
        .value_kind:     global_buffer
      - .offset:         24
        .size:           4
        .value_kind:     by_value
      - .offset:         28
        .size:           4
        .value_kind:     by_value
      - .offset:         32
        .size:           8
        .value_kind:     by_value
      - .address_space:  global
        .offset:         40
        .size:           8
        .value_kind:     global_buffer
      - .offset:         48
        .size:           8
        .value_kind:     by_value
      - .address_space:  global
        .offset:         56
        .size:           8
        .value_kind:     global_buffer
      - .offset:         64
        .size:           4
        .value_kind:     by_value
      - .offset:         72
        .size:           8
        .value_kind:     by_value
      - .offset:         80
        .size:           4
        .value_kind:     hidden_block_count_x
      - .offset:         84
        .size:           4
        .value_kind:     hidden_block_count_y
      - .offset:         88
        .size:           4
        .value_kind:     hidden_block_count_z
      - .offset:         92
        .size:           2
        .value_kind:     hidden_group_size_x
      - .offset:         94
        .size:           2
        .value_kind:     hidden_group_size_y
      - .offset:         96
        .size:           2
        .value_kind:     hidden_group_size_z
      - .offset:         98
        .size:           2
        .value_kind:     hidden_remainder_x
      - .offset:         100
        .size:           2
        .value_kind:     hidden_remainder_y
      - .offset:         102
        .size:           2
        .value_kind:     hidden_remainder_z
      - .offset:         120
        .size:           8
        .value_kind:     hidden_global_offset_x
      - .offset:         128
        .size:           8
        .value_kind:     hidden_global_offset_y
      - .offset:         136
        .size:           8
        .value_kind:     hidden_global_offset_z
      - .offset:         144
        .size:           2
        .value_kind:     hidden_grid_dims
      - .offset:         200
        .size:           4
        .value_kind:     hidden_dynamic_lds_size
    .group_segment_fixed_size: 0
    .kernarg_segment_align: 8
    .kernarg_segment_size: 336
    .language:       OpenCL C
    .language_version:
      - 2
      - 0
    .max_flat_workgroup_size: 1024
    .name:           _ZN9rocsolver6v33100L20larft_kernel_forwardIdPdEEv15rocblas_storev_iiT0_iilPT_lS6_il
    .private_segment_fixed_size: 0
    .sgpr_count:     54
    .sgpr_spill_count: 0
    .symbol:         _ZN9rocsolver6v33100L20larft_kernel_forwardIdPdEEv15rocblas_storev_iiT0_iilPT_lS6_il.kd
    .uniform_work_group_size: 1
    .uses_dynamic_stack: false
    .vgpr_count:     20
    .vgpr_spill_count: 0
    .wavefront_size: 64
  - .agpr_count:     0
    .args:
      - .offset:         0
        .size:           4
        .value_kind:     by_value
      - .offset:         4
        .size:           4
        .value_kind:     by_value
      - .offset:         8
        .size:           4
        .value_kind:     by_value
      - .address_space:  global
        .offset:         16
        .size:           8
        .value_kind:     global_buffer
      - .offset:         24
        .size:           4
        .value_kind:     by_value
      - .offset:         28
        .size:           4
        .value_kind:     by_value
      - .offset:         32
        .size:           8
        .value_kind:     by_value
      - .address_space:  global
        .offset:         40
        .size:           8
        .value_kind:     global_buffer
      - .offset:         48
        .size:           8
        .value_kind:     by_value
      - .address_space:  global
        .offset:         56
        .size:           8
        .value_kind:     global_buffer
      - .offset:         64
        .size:           4
        .value_kind:     by_value
      - .offset:         72
        .size:           8
        .value_kind:     by_value
      - .offset:         80
        .size:           4
        .value_kind:     hidden_block_count_x
      - .offset:         84
        .size:           4
        .value_kind:     hidden_block_count_y
      - .offset:         88
        .size:           4
        .value_kind:     hidden_block_count_z
      - .offset:         92
        .size:           2
        .value_kind:     hidden_group_size_x
      - .offset:         94
        .size:           2
        .value_kind:     hidden_group_size_y
      - .offset:         96
        .size:           2
        .value_kind:     hidden_group_size_z
      - .offset:         98
        .size:           2
        .value_kind:     hidden_remainder_x
      - .offset:         100
        .size:           2
        .value_kind:     hidden_remainder_y
      - .offset:         102
        .size:           2
        .value_kind:     hidden_remainder_z
      - .offset:         120
        .size:           8
        .value_kind:     hidden_global_offset_x
      - .offset:         128
        .size:           8
        .value_kind:     hidden_global_offset_y
      - .offset:         136
        .size:           8
        .value_kind:     hidden_global_offset_z
      - .offset:         144
        .size:           2
        .value_kind:     hidden_grid_dims
      - .offset:         200
        .size:           4
        .value_kind:     hidden_dynamic_lds_size
    .group_segment_fixed_size: 0
    .kernarg_segment_align: 8
    .kernarg_segment_size: 336
    .language:       OpenCL C
    .language_version:
      - 2
      - 0
    .max_flat_workgroup_size: 1024
    .name:           _ZN9rocsolver6v33100L21larft_kernel_backwardIdPdEEv15rocblas_storev_iiT0_iilPT_lS6_il
    .private_segment_fixed_size: 0
    .sgpr_count:     56
    .sgpr_spill_count: 0
    .symbol:         _ZN9rocsolver6v33100L21larft_kernel_backwardIdPdEEv15rocblas_storev_iiT0_iilPT_lS6_il.kd
    .uniform_work_group_size: 1
    .uses_dynamic_stack: false
    .vgpr_count:     16
    .vgpr_spill_count: 0
    .wavefront_size: 64
  - .agpr_count:     0
    .args:
      - .offset:         0
        .size:           4
        .value_kind:     by_value
      - .offset:         4
        .size:           4
        .value_kind:     by_value
      - .address_space:  global
        .offset:         8
        .size:           8
        .value_kind:     global_buffer
      - .offset:         16
        .size:           4
        .value_kind:     by_value
      - .offset:         20
        .size:           4
        .value_kind:     by_value
      - .offset:         24
        .size:           8
        .value_kind:     by_value
      - .address_space:  global
        .offset:         32
        .size:           8
        .value_kind:     global_buffer
      - .offset:         40
        .size:           4
        .value_kind:     hidden_block_count_x
      - .offset:         44
        .size:           4
        .value_kind:     hidden_block_count_y
      - .offset:         48
        .size:           4
        .value_kind:     hidden_block_count_z
      - .offset:         52
        .size:           2
        .value_kind:     hidden_group_size_x
      - .offset:         54
        .size:           2
        .value_kind:     hidden_group_size_y
      - .offset:         56
        .size:           2
        .value_kind:     hidden_group_size_z
      - .offset:         58
        .size:           2
        .value_kind:     hidden_remainder_x
      - .offset:         60
        .size:           2
        .value_kind:     hidden_remainder_y
      - .offset:         62
        .size:           2
        .value_kind:     hidden_remainder_z
      - .offset:         80
        .size:           8
        .value_kind:     hidden_global_offset_x
      - .offset:         88
        .size:           8
        .value_kind:     hidden_global_offset_y
      - .offset:         96
        .size:           8
        .value_kind:     hidden_global_offset_z
      - .offset:         104
        .size:           2
        .value_kind:     hidden_grid_dims
    .group_segment_fixed_size: 0
    .kernarg_segment_align: 8
    .kernarg_segment_size: 296
    .language:       OpenCL C
    .language_version:
      - 2
      - 0
    .max_flat_workgroup_size: 1024
    .name:           _ZN9rocsolver6v33100L9copymatA1IdPdEEviiT0_iilPT_
    .private_segment_fixed_size: 0
    .sgpr_count:     24
    .sgpr_spill_count: 0
    .symbol:         _ZN9rocsolver6v33100L9copymatA1IdPdEEviiT0_iilPT_.kd
    .uniform_work_group_size: 1
    .uses_dynamic_stack: false
    .vgpr_count:     6
    .vgpr_spill_count: 0
    .wavefront_size: 64
  - .agpr_count:     0
    .args:
      - .offset:         0
        .size:           4
        .value_kind:     by_value
      - .offset:         4
        .size:           4
        .value_kind:     by_value
      - .address_space:  global
        .offset:         8
        .size:           8
        .value_kind:     global_buffer
      - .offset:         16
        .size:           4
        .value_kind:     by_value
      - .offset:         20
        .size:           4
        .value_kind:     by_value
      - .offset:         24
        .size:           8
        .value_kind:     by_value
      - .address_space:  global
        .offset:         32
        .size:           8
        .value_kind:     global_buffer
      - .offset:         40
        .size:           4
        .value_kind:     hidden_block_count_x
      - .offset:         44
        .size:           4
        .value_kind:     hidden_block_count_y
      - .offset:         48
        .size:           4
        .value_kind:     hidden_block_count_z
      - .offset:         52
        .size:           2
        .value_kind:     hidden_group_size_x
      - .offset:         54
        .size:           2
        .value_kind:     hidden_group_size_y
      - .offset:         56
        .size:           2
        .value_kind:     hidden_group_size_z
      - .offset:         58
        .size:           2
        .value_kind:     hidden_remainder_x
      - .offset:         60
        .size:           2
        .value_kind:     hidden_remainder_y
      - .offset:         62
        .size:           2
        .value_kind:     hidden_remainder_z
      - .offset:         80
        .size:           8
        .value_kind:     hidden_global_offset_x
      - .offset:         88
        .size:           8
        .value_kind:     hidden_global_offset_y
      - .offset:         96
        .size:           8
        .value_kind:     hidden_global_offset_z
      - .offset:         104
        .size:           2
        .value_kind:     hidden_grid_dims
    .group_segment_fixed_size: 0
    .kernarg_segment_align: 8
    .kernarg_segment_size: 296
    .language:       OpenCL C
    .language_version:
      - 2
      - 0
    .max_flat_workgroup_size: 1024
    .name:           _ZN9rocsolver6v33100L8addmatA1IdPdEEviiT0_iilPT_
    .private_segment_fixed_size: 0
    .sgpr_count:     19
    .sgpr_spill_count: 0
    .symbol:         _ZN9rocsolver6v33100L8addmatA1IdPdEEviiT0_iilPT_.kd
    .uniform_work_group_size: 1
    .uses_dynamic_stack: false
    .vgpr_count:     6
    .vgpr_spill_count: 0
    .wavefront_size: 64
  - .agpr_count:     0
    .args:
      - .offset:         0
        .size:           4
        .value_kind:     by_value
      - .offset:         4
        .size:           4
        .value_kind:     by_value
      - .offset:         8
        .size:           4
        .value_kind:     by_value
      - .address_space:  global
        .offset:         16
        .size:           8
        .value_kind:     global_buffer
      - .offset:         24
        .size:           4
        .value_kind:     by_value
      - .offset:         28
        .size:           4
        .value_kind:     by_value
      - .offset:         32
        .size:           8
        .value_kind:     by_value
      - .offset:         40
        .size:           4
        .value_kind:     hidden_block_count_x
      - .offset:         44
        .size:           4
        .value_kind:     hidden_block_count_y
      - .offset:         48
        .size:           4
        .value_kind:     hidden_block_count_z
      - .offset:         52
        .size:           2
        .value_kind:     hidden_group_size_x
      - .offset:         54
        .size:           2
        .value_kind:     hidden_group_size_y
      - .offset:         56
        .size:           2
        .value_kind:     hidden_group_size_z
      - .offset:         58
        .size:           2
        .value_kind:     hidden_remainder_x
      - .offset:         60
        .size:           2
        .value_kind:     hidden_remainder_y
      - .offset:         62
        .size:           2
        .value_kind:     hidden_remainder_z
      - .offset:         80
        .size:           8
        .value_kind:     hidden_global_offset_x
      - .offset:         88
        .size:           8
        .value_kind:     hidden_global_offset_y
      - .offset:         96
        .size:           8
        .value_kind:     hidden_global_offset_z
      - .offset:         104
        .size:           2
        .value_kind:     hidden_grid_dims
    .group_segment_fixed_size: 0
    .kernarg_segment_align: 8
    .kernarg_segment_size: 296
    .language:       OpenCL C
    .language_version:
      - 2
      - 0
    .max_flat_workgroup_size: 1024
    .name:           _ZN9rocsolver6v33100L16orgl2_init_identIdPdEEviiiT0_iil
    .private_segment_fixed_size: 0
    .sgpr_count:     20
    .sgpr_spill_count: 0
    .symbol:         _ZN9rocsolver6v33100L16orgl2_init_identIdPdEEviiiT0_iil.kd
    .uniform_work_group_size: 1
    .uses_dynamic_stack: false
    .vgpr_count:     8
    .vgpr_spill_count: 0
    .wavefront_size: 64
  - .agpr_count:     0
    .args:
      - .offset:         0
        .size:           4
        .value_kind:     by_value
      - .offset:         4
        .size:           4
        .value_kind:     by_value
      - .address_space:  global
        .offset:         8
        .size:           8
        .value_kind:     global_buffer
      - .offset:         16
        .size:           4
        .value_kind:     by_value
      - .offset:         20
        .size:           4
        .value_kind:     by_value
      - .offset:         24
        .size:           8
        .value_kind:     by_value
      - .offset:         32
        .size:           4
        .value_kind:     by_value
      - .offset:         40
        .size:           4
        .value_kind:     hidden_block_count_x
      - .offset:         44
        .size:           4
        .value_kind:     hidden_block_count_y
      - .offset:         48
        .size:           4
        .value_kind:     hidden_block_count_z
      - .offset:         52
        .size:           2
        .value_kind:     hidden_group_size_x
      - .offset:         54
        .size:           2
        .value_kind:     hidden_group_size_y
      - .offset:         56
        .size:           2
        .value_kind:     hidden_group_size_z
      - .offset:         58
        .size:           2
        .value_kind:     hidden_remainder_x
      - .offset:         60
        .size:           2
        .value_kind:     hidden_remainder_y
      - .offset:         62
        .size:           2
        .value_kind:     hidden_remainder_z
      - .offset:         80
        .size:           8
        .value_kind:     hidden_global_offset_x
      - .offset:         88
        .size:           8
        .value_kind:     hidden_global_offset_y
      - .offset:         96
        .size:           8
        .value_kind:     hidden_global_offset_z
      - .offset:         104
        .size:           2
        .value_kind:     hidden_grid_dims
    .group_segment_fixed_size: 0
    .kernarg_segment_align: 8
    .kernarg_segment_size: 296
    .language:       OpenCL C
    .language_version:
      - 2
      - 0
    .max_flat_workgroup_size: 1024
    .name:           _ZN9rocsolver6v33100L8set_zeroIdPdEEviiT0_iil13rocblas_fill_
    .private_segment_fixed_size: 0
    .sgpr_count:     13
    .sgpr_spill_count: 0
    .symbol:         _ZN9rocsolver6v33100L8set_zeroIdPdEEviiT0_iil13rocblas_fill_.kd
    .uniform_work_group_size: 1
    .uses_dynamic_stack: false
    .vgpr_count:     4
    .vgpr_spill_count: 0
    .wavefront_size: 64
  - .agpr_count:     0
    .args:
      - .address_space:  global
        .offset:         0
        .size:           8
        .value_kind:     global_buffer
      - .offset:         8
        .size:           8
        .value_kind:     by_value
      - .address_space:  global
        .offset:         16
        .size:           8
        .value_kind:     global_buffer
      - .address_space:  global
        .offset:         24
        .size:           8
        .value_kind:     global_buffer
      - .offset:         32
        .size:           8
        .value_kind:     by_value
      - .offset:         40
        .size:           8
        .value_kind:     by_value
      - .address_space:  global
        .offset:         48
        .size:           8
        .value_kind:     global_buffer
      - .offset:         56
        .size:           8
        .value_kind:     by_value
      - .offset:         64
        .size:           8
        .value_kind:     by_value
    .group_segment_fixed_size: 0
    .kernarg_segment_align: 8
    .kernarg_segment_size: 72
    .language:       OpenCL C
    .language_version:
      - 2
      - 0
    .max_flat_workgroup_size: 1024
    .name:           _ZN9rocsolver6v33100L11set_taubetaIdidPdEEvPT_lS4_T2_llPT1_ll
    .private_segment_fixed_size: 0
    .sgpr_count:     30
    .sgpr_spill_count: 0
    .symbol:         _ZN9rocsolver6v33100L11set_taubetaIdidPdEEvPT_lS4_T2_llPT1_ll.kd
    .uniform_work_group_size: 1
    .uses_dynamic_stack: false
    .vgpr_count:     13
    .vgpr_spill_count: 0
    .wavefront_size: 64
  - .agpr_count:     0
    .args:
      - .address_space:  global
        .offset:         0
        .size:           8
        .value_kind:     global_buffer
      - .offset:         8
        .size:           8
        .value_kind:     by_value
      - .offset:         16
        .size:           8
        .value_kind:     by_value
      - .address_space:  global
        .offset:         24
        .size:           8
        .value_kind:     global_buffer
      - .offset:         32
        .size:           8
        .value_kind:     by_value
      - .offset:         40
        .size:           4
        .value_kind:     by_value
      - .offset:         48
        .size:           8
        .value_kind:     by_value
      - .offset:         56
        .size:           4
        .value_kind:     by_value
      - .offset:         60
        .size:           1
        .value_kind:     by_value
      - .offset:         64
        .size:           4
        .value_kind:     hidden_block_count_x
      - .offset:         68
        .size:           4
        .value_kind:     hidden_block_count_y
      - .offset:         72
        .size:           4
        .value_kind:     hidden_block_count_z
      - .offset:         76
        .size:           2
        .value_kind:     hidden_group_size_x
      - .offset:         78
        .size:           2
        .value_kind:     hidden_group_size_y
      - .offset:         80
        .size:           2
        .value_kind:     hidden_group_size_z
      - .offset:         82
        .size:           2
        .value_kind:     hidden_remainder_x
      - .offset:         84
        .size:           2
        .value_kind:     hidden_remainder_y
      - .offset:         86
        .size:           2
        .value_kind:     hidden_remainder_z
      - .offset:         104
        .size:           8
        .value_kind:     hidden_global_offset_x
      - .offset:         112
        .size:           8
        .value_kind:     hidden_global_offset_y
      - .offset:         120
        .size:           8
        .value_kind:     hidden_global_offset_z
      - .offset:         128
        .size:           2
        .value_kind:     hidden_grid_dims
    .group_segment_fixed_size: 0
    .kernarg_segment_align: 8
    .kernarg_segment_size: 320
    .language:       OpenCL C
    .language_version:
      - 2
      - 0
    .max_flat_workgroup_size: 1024
    .name:           _ZN9rocsolver6v33100L8set_diagIdidPdTnNSt9enable_ifIXoont18rocblas_is_complexIT_E18rocblas_is_complexIT1_EEiE4typeELi0EEEvPS5_llT2_lT0_lSA_b
    .private_segment_fixed_size: 0
    .sgpr_count:     22
    .sgpr_spill_count: 0
    .symbol:         _ZN9rocsolver6v33100L8set_diagIdidPdTnNSt9enable_ifIXoont18rocblas_is_complexIT_E18rocblas_is_complexIT1_EEiE4typeELi0EEEvPS5_llT2_lT0_lSA_b.kd
    .uniform_work_group_size: 1
    .uses_dynamic_stack: false
    .vgpr_count:     8
    .vgpr_spill_count: 0
    .wavefront_size: 64
  - .agpr_count:     0
    .args:
      - .address_space:  global
        .offset:         0
        .size:           8
        .value_kind:     global_buffer
      - .offset:         8
        .size:           8
        .value_kind:     by_value
      - .offset:         16
        .size:           8
        .value_kind:     by_value
      - .address_space:  global
        .offset:         24
        .size:           8
        .value_kind:     global_buffer
      - .offset:         32
        .size:           8
        .value_kind:     by_value
      - .offset:         40
        .size:           4
        .value_kind:     by_value
      - .offset:         48
        .size:           8
        .value_kind:     by_value
      - .offset:         56
        .size:           4
        .value_kind:     by_value
      - .offset:         64
        .size:           4
        .value_kind:     hidden_block_count_x
      - .offset:         68
        .size:           4
        .value_kind:     hidden_block_count_y
      - .offset:         72
        .size:           4
        .value_kind:     hidden_block_count_z
      - .offset:         76
        .size:           2
        .value_kind:     hidden_group_size_x
      - .offset:         78
        .size:           2
        .value_kind:     hidden_group_size_y
      - .offset:         80
        .size:           2
        .value_kind:     hidden_group_size_z
      - .offset:         82
        .size:           2
        .value_kind:     hidden_remainder_x
      - .offset:         84
        .size:           2
        .value_kind:     hidden_remainder_y
      - .offset:         86
        .size:           2
        .value_kind:     hidden_remainder_z
      - .offset:         104
        .size:           8
        .value_kind:     hidden_global_offset_x
      - .offset:         112
        .size:           8
        .value_kind:     hidden_global_offset_y
      - .offset:         120
        .size:           8
        .value_kind:     hidden_global_offset_z
      - .offset:         128
        .size:           2
        .value_kind:     hidden_grid_dims
    .group_segment_fixed_size: 0
    .kernarg_segment_align: 8
    .kernarg_segment_size: 320
    .language:       OpenCL C
    .language_version:
      - 2
      - 0
    .max_flat_workgroup_size: 1024
    .name:           _ZN9rocsolver6v33100L12restore_diagIdidPdEEvPT1_llT2_lT0_lS6_
    .private_segment_fixed_size: 0
    .sgpr_count:     20
    .sgpr_spill_count: 0
    .symbol:         _ZN9rocsolver6v33100L12restore_diagIdidPdEEvPT1_llT2_lT0_lS6_.kd
    .uniform_work_group_size: 1
    .uses_dynamic_stack: false
    .vgpr_count:     5
    .vgpr_spill_count: 0
    .wavefront_size: 64
  - .agpr_count:     0
    .args:
      - .offset:         0
        .size:           4
        .value_kind:     by_value
      - .offset:         4
        .size:           4
        .value_kind:     by_value
      - .address_space:  global
        .offset:         8
        .size:           8
        .value_kind:     global_buffer
      - .offset:         16
        .size:           4
        .value_kind:     by_value
      - .offset:         20
        .size:           4
        .value_kind:     by_value
      - .offset:         24
        .size:           8
        .value_kind:     by_value
      - .address_space:  global
        .offset:         32
        .size:           8
        .value_kind:     global_buffer
      - .offset:         40
        .size:           4
        .value_kind:     by_value
      - .offset:         44
        .size:           4
        .value_kind:     by_value
      - .offset:         48
        .size:           8
        .value_kind:     by_value
      - .offset:         56
        .size:           1
        .value_kind:     by_value
      - .offset:         60
        .size:           4
        .value_kind:     by_value
      - .offset:         64
        .size:           4
        .value_kind:     by_value
      - .offset:         72
        .size:           4
        .value_kind:     hidden_block_count_x
      - .offset:         76
        .size:           4
        .value_kind:     hidden_block_count_y
      - .offset:         80
        .size:           4
        .value_kind:     hidden_block_count_z
      - .offset:         84
        .size:           2
        .value_kind:     hidden_group_size_x
      - .offset:         86
        .size:           2
        .value_kind:     hidden_group_size_y
      - .offset:         88
        .size:           2
        .value_kind:     hidden_group_size_z
      - .offset:         90
        .size:           2
        .value_kind:     hidden_remainder_x
      - .offset:         92
        .size:           2
        .value_kind:     hidden_remainder_y
      - .offset:         94
        .size:           2
        .value_kind:     hidden_remainder_z
      - .offset:         112
        .size:           8
        .value_kind:     hidden_global_offset_x
      - .offset:         120
        .size:           8
        .value_kind:     hidden_global_offset_y
      - .offset:         128
        .size:           8
        .value_kind:     hidden_global_offset_z
      - .offset:         136
        .size:           2
        .value_kind:     hidden_grid_dims
    .group_segment_fixed_size: 0
    .kernarg_segment_align: 8
    .kernarg_segment_size: 328
    .language:       OpenCL C
    .language_version:
      - 2
      - 0
    .max_flat_workgroup_size: 1024
    .name:           _ZN9rocsolver6v33100L8copy_matIdPdS2_NS0_7no_maskEEEviiT0_iilT1_iilT2_13rocblas_fill_17rocblas_diagonal_
    .private_segment_fixed_size: 0
    .sgpr_count:     24
    .sgpr_spill_count: 0
    .symbol:         _ZN9rocsolver6v33100L8copy_matIdPdS2_NS0_7no_maskEEEviiT0_iilT1_iilT2_13rocblas_fill_17rocblas_diagonal_.kd
    .uniform_work_group_size: 1
    .uses_dynamic_stack: false
    .vgpr_count:     6
    .vgpr_spill_count: 0
    .wavefront_size: 64
  - .agpr_count:     0
    .args:
      - .offset:         0
        .size:           1
        .value_kind:     by_value
      - .offset:         4
        .size:           4
        .value_kind:     by_value
      - .address_space:  global
        .offset:         8
        .size:           8
        .value_kind:     global_buffer
      - .offset:         16
        .size:           4
        .value_kind:     by_value
      - .offset:         20
        .size:           4
        .value_kind:     by_value
      - .offset:         24
        .size:           8
        .value_kind:     by_value
      - .address_space:  global
        .offset:         32
        .size:           8
        .value_kind:     global_buffer
      - .offset:         40
        .size:           4
        .value_kind:     by_value
      - .offset:         44
        .size:           4
        .value_kind:     by_value
      - .offset:         48
        .size:           8
        .value_kind:     by_value
      - .offset:         56
        .size:           4
        .value_kind:     hidden_block_count_x
      - .offset:         60
        .size:           4
        .value_kind:     hidden_block_count_y
      - .offset:         64
        .size:           4
        .value_kind:     hidden_block_count_z
      - .offset:         68
        .size:           2
        .value_kind:     hidden_group_size_x
      - .offset:         70
        .size:           2
        .value_kind:     hidden_group_size_y
      - .offset:         72
        .size:           2
        .value_kind:     hidden_group_size_z
      - .offset:         74
        .size:           2
        .value_kind:     hidden_remainder_x
      - .offset:         76
        .size:           2
        .value_kind:     hidden_remainder_y
      - .offset:         78
        .size:           2
        .value_kind:     hidden_remainder_z
      - .offset:         96
        .size:           8
        .value_kind:     hidden_global_offset_x
      - .offset:         104
        .size:           8
        .value_kind:     hidden_global_offset_y
      - .offset:         112
        .size:           8
        .value_kind:     hidden_global_offset_z
      - .offset:         120
        .size:           2
        .value_kind:     hidden_grid_dims
    .group_segment_fixed_size: 0
    .kernarg_segment_align: 8
    .kernarg_segment_size: 312
    .language:       OpenCL C
    .language_version:
      - 2
      - 0
    .max_flat_workgroup_size: 1024
    .name:           _ZN9rocsolver6v33100L15copyshift_rightIdPdEEvbiT0_iilPT_iil
    .private_segment_fixed_size: 0
    .sgpr_count:     24
    .sgpr_spill_count: 0
    .symbol:         _ZN9rocsolver6v33100L15copyshift_rightIdPdEEvbiT0_iilPT_iil.kd
    .uniform_work_group_size: 1
    .uses_dynamic_stack: false
    .vgpr_count:     9
    .vgpr_spill_count: 0
    .wavefront_size: 64
  - .agpr_count:     0
    .args:
      - .offset:         0
        .size:           1
        .value_kind:     by_value
      - .offset:         4
        .size:           4
        .value_kind:     by_value
      - .address_space:  global
        .offset:         8
        .size:           8
        .value_kind:     global_buffer
      - .offset:         16
        .size:           4
        .value_kind:     by_value
      - .offset:         20
        .size:           4
        .value_kind:     by_value
      - .offset:         24
        .size:           8
        .value_kind:     by_value
      - .address_space:  global
        .offset:         32
        .size:           8
        .value_kind:     global_buffer
      - .offset:         40
        .size:           4
        .value_kind:     by_value
      - .offset:         44
        .size:           4
        .value_kind:     by_value
      - .offset:         48
        .size:           8
        .value_kind:     by_value
      - .offset:         56
        .size:           4
        .value_kind:     hidden_block_count_x
      - .offset:         60
        .size:           4
        .value_kind:     hidden_block_count_y
      - .offset:         64
        .size:           4
        .value_kind:     hidden_block_count_z
      - .offset:         68
        .size:           2
        .value_kind:     hidden_group_size_x
      - .offset:         70
        .size:           2
        .value_kind:     hidden_group_size_y
      - .offset:         72
        .size:           2
        .value_kind:     hidden_group_size_z
      - .offset:         74
        .size:           2
        .value_kind:     hidden_remainder_x
      - .offset:         76
        .size:           2
        .value_kind:     hidden_remainder_y
      - .offset:         78
        .size:           2
        .value_kind:     hidden_remainder_z
      - .offset:         96
        .size:           8
        .value_kind:     hidden_global_offset_x
      - .offset:         104
        .size:           8
        .value_kind:     hidden_global_offset_y
      - .offset:         112
        .size:           8
        .value_kind:     hidden_global_offset_z
      - .offset:         120
        .size:           2
        .value_kind:     hidden_grid_dims
    .group_segment_fixed_size: 0
    .kernarg_segment_align: 8
    .kernarg_segment_size: 312
    .language:       OpenCL C
    .language_version:
      - 2
      - 0
    .max_flat_workgroup_size: 1024
    .name:           _ZN9rocsolver6v33100L14copyshift_downIdPdEEvbiT0_iilPT_iil
    .private_segment_fixed_size: 0
    .sgpr_count:     22
    .sgpr_spill_count: 0
    .symbol:         _ZN9rocsolver6v33100L14copyshift_downIdPdEEvbiT0_iilPT_iil.kd
    .uniform_work_group_size: 1
    .uses_dynamic_stack: false
    .vgpr_count:     11
    .vgpr_spill_count: 0
    .wavefront_size: 64
  - .agpr_count:     0
    .args:
      - .offset:         0
        .size:           4
        .value_kind:     by_value
      - .offset:         4
        .size:           4
        .value_kind:     by_value
      - .offset:         8
        .size:           4
        .value_kind:     by_value
      - .address_space:  global
        .offset:         16
        .size:           8
        .value_kind:     global_buffer
      - .offset:         24
        .size:           8
        .value_kind:     by_value
      - .address_space:  global
        .offset:         32
        .size:           8
        .value_kind:     global_buffer
      - .offset:         40
        .size:           8
        .value_kind:     by_value
      - .address_space:  global
        .offset:         48
        .size:           8
        .value_kind:     global_buffer
      - .offset:         56
        .size:           4
        .value_kind:     by_value
      - .offset:         60
        .size:           4
        .value_kind:     by_value
      - .offset:         64
        .size:           8
        .value_kind:     by_value
      - .address_space:  global
        .offset:         72
        .size:           8
        .value_kind:     global_buffer
      - .offset:         80
        .size:           4
        .value_kind:     by_value
      - .offset:         84
        .size:           4
        .value_kind:     by_value
      - .offset:         88
        .size:           8
        .value_kind:     by_value
      - .address_space:  global
        .offset:         96
        .size:           8
        .value_kind:     global_buffer
      - .address_space:  global
        .offset:         104
        .size:           8
        .value_kind:     global_buffer
      - .offset:         112
        .size:           8
        .value_kind:     by_value
      - .address_space:  global
        .offset:         120
        .size:           8
        .value_kind:     global_buffer
      - .offset:         128
        .size:           4
        .value_kind:     hidden_block_count_x
      - .offset:         132
        .size:           4
        .value_kind:     hidden_block_count_y
      - .offset:         136
        .size:           4
        .value_kind:     hidden_block_count_z
      - .offset:         140
        .size:           2
        .value_kind:     hidden_group_size_x
      - .offset:         142
        .size:           2
        .value_kind:     hidden_group_size_y
      - .offset:         144
        .size:           2
        .value_kind:     hidden_group_size_z
      - .offset:         146
        .size:           2
        .value_kind:     hidden_remainder_x
      - .offset:         148
        .size:           2
        .value_kind:     hidden_remainder_y
      - .offset:         150
        .size:           2
        .value_kind:     hidden_remainder_z
      - .offset:         168
        .size:           8
        .value_kind:     hidden_global_offset_x
      - .offset:         176
        .size:           8
        .value_kind:     hidden_global_offset_y
      - .offset:         184
        .size:           8
        .value_kind:     hidden_global_offset_z
      - .offset:         192
        .size:           2
        .value_kind:     hidden_grid_dims
    .group_segment_fixed_size: 0
    .kernarg_segment_align: 8
    .kernarg_segment_size: 384
    .language:       OpenCL C
    .language_version:
      - 2
      - 0
    .max_flat_workgroup_size: 1024
    .name:           _ZN9rocsolver6v33100L17bdsqr_lower2upperIddPdS2_EEviiiPT0_lS4_lT1_iilT2_iilPiS4_lS7_
    .private_segment_fixed_size: 0
    .sgpr_count:     42
    .sgpr_spill_count: 0
    .symbol:         _ZN9rocsolver6v33100L17bdsqr_lower2upperIddPdS2_EEviiiPT0_lS4_lT1_iilT2_iilPiS4_lS7_.kd
    .uniform_work_group_size: 1
    .uses_dynamic_stack: false
    .vgpr_count:     22
    .vgpr_spill_count: 0
    .wavefront_size: 64
  - .agpr_count:     0
    .args:
      - .offset:         0
        .size:           4
        .value_kind:     by_value
      - .offset:         4
        .size:           4
        .value_kind:     by_value
      - .offset:         8
        .size:           4
        .value_kind:     by_value
      - .offset:         12
        .size:           4
        .value_kind:     by_value
      - .address_space:  global
        .offset:         16
        .size:           8
        .value_kind:     global_buffer
      - .offset:         24
        .size:           8
        .value_kind:     by_value
      - .address_space:  global
        .offset:         32
        .size:           8
        .value_kind:     global_buffer
      - .offset:         40
        .size:           8
        .value_kind:     by_value
      - .address_space:  global
        .offset:         48
        .size:           8
        .value_kind:     global_buffer
      - .offset:         56
        .size:           4
        .value_kind:     by_value
      - .offset:         60
        .size:           4
        .value_kind:     by_value
      - .offset:         64
        .size:           8
        .value_kind:     by_value
      - .address_space:  global
        .offset:         72
        .size:           8
        .value_kind:     global_buffer
      - .offset:         80
        .size:           4
        .value_kind:     by_value
      - .offset:         84
        .size:           4
        .value_kind:     by_value
      - .offset:         88
        .size:           8
        .value_kind:     by_value
      - .address_space:  global
        .offset:         96
        .size:           8
        .value_kind:     global_buffer
      - .offset:         104
        .size:           4
        .value_kind:     by_value
      - .offset:         108
        .size:           4
        .value_kind:     by_value
      - .offset:         112
        .size:           8
        .value_kind:     by_value
      - .offset:         120
        .size:           4
        .value_kind:     by_value
      - .offset:         128
        .size:           8
        .value_kind:     by_value
      - .offset:         136
        .size:           8
        .value_kind:     by_value
      - .offset:         144
        .size:           8
        .value_kind:     by_value
      - .offset:         152
        .size:           8
        .value_kind:     by_value
      - .address_space:  global
        .offset:         160
        .size:           8
        .value_kind:     global_buffer
      - .address_space:  global
        .offset:         168
        .size:           8
        .value_kind:     global_buffer
      - .offset:         176
        .size:           4
        .value_kind:     by_value
      - .offset:         184
        .size:           8
        .value_kind:     by_value
      - .address_space:  global
        .offset:         192
        .size:           8
        .value_kind:     global_buffer
      - .offset:         200
        .size:           4
        .value_kind:     hidden_block_count_x
      - .offset:         204
        .size:           4
        .value_kind:     hidden_block_count_y
      - .offset:         208
        .size:           4
        .value_kind:     hidden_block_count_z
      - .offset:         212
        .size:           2
        .value_kind:     hidden_group_size_x
      - .offset:         214
        .size:           2
        .value_kind:     hidden_group_size_y
      - .offset:         216
        .size:           2
        .value_kind:     hidden_group_size_z
      - .offset:         218
        .size:           2
        .value_kind:     hidden_remainder_x
      - .offset:         220
        .size:           2
        .value_kind:     hidden_remainder_y
      - .offset:         222
        .size:           2
        .value_kind:     hidden_remainder_z
      - .offset:         240
        .size:           8
        .value_kind:     hidden_global_offset_x
      - .offset:         248
        .size:           8
        .value_kind:     hidden_global_offset_y
      - .offset:         256
        .size:           8
        .value_kind:     hidden_global_offset_z
      - .offset:         264
        .size:           2
        .value_kind:     hidden_grid_dims
    .group_segment_fixed_size: 2072
    .kernarg_segment_align: 8
    .kernarg_segment_size: 456
    .language:       OpenCL C
    .language_version:
      - 2
      - 0
    .max_flat_workgroup_size: 1024
    .name:           _ZN9rocsolver6v33100L13bdsqr_computeILi256EddPdS2_S2_EEviiiiPT1_lS4_lT2_iilT3_iilT4_iiliS3_S3_S3_S3_PiS4_ilS8_
    .private_segment_fixed_size: 0
    .sgpr_count:     100
    .sgpr_spill_count: 33
    .symbol:         _ZN9rocsolver6v33100L13bdsqr_computeILi256EddPdS2_S2_EEviiiiPT1_lS4_lT2_iilT3_iilT4_iiliS3_S3_S3_S3_PiS4_ilS8_.kd
    .uniform_work_group_size: 1
    .uses_dynamic_stack: false
    .vgpr_count:     37
    .vgpr_spill_count: 0
    .wavefront_size: 64
  - .agpr_count:     0
    .args:
      - .offset:         0
        .size:           4
        .value_kind:     by_value
      - .offset:         4
        .size:           4
        .value_kind:     by_value
      - .offset:         8
        .size:           4
        .value_kind:     by_value
      - .offset:         12
        .size:           4
        .value_kind:     by_value
      - .address_space:  global
        .offset:         16
        .size:           8
        .value_kind:     global_buffer
      - .offset:         24
        .size:           4
        .value_kind:     by_value
      - .offset:         28
        .size:           4
        .value_kind:     by_value
      - .offset:         32
        .size:           8
        .value_kind:     by_value
      - .address_space:  global
        .offset:         40
        .size:           8
        .value_kind:     global_buffer
      - .offset:         48
        .size:           4
        .value_kind:     by_value
      - .offset:         52
        .size:           4
        .value_kind:     by_value
      - .offset:         56
        .size:           8
        .value_kind:     by_value
      - .address_space:  global
        .offset:         64
        .size:           8
        .value_kind:     global_buffer
      - .offset:         72
        .size:           4
        .value_kind:     by_value
      - .offset:         76
        .size:           4
        .value_kind:     by_value
      - .offset:         80
        .size:           8
        .value_kind:     by_value
      - .offset:         88
        .size:           4
        .value_kind:     by_value
      - .address_space:  global
        .offset:         96
        .size:           8
        .value_kind:     global_buffer
      - .address_space:  global
        .offset:         104
        .size:           8
        .value_kind:     global_buffer
      - .offset:         112
        .size:           4
        .value_kind:     by_value
      - .offset:         120
        .size:           8
        .value_kind:     by_value
      - .address_space:  global
        .offset:         128
        .size:           8
        .value_kind:     global_buffer
      - .offset:         136
        .size:           4
        .value_kind:     hidden_block_count_x
      - .offset:         140
        .size:           4
        .value_kind:     hidden_block_count_y
      - .offset:         144
        .size:           4
        .value_kind:     hidden_block_count_z
      - .offset:         148
        .size:           2
        .value_kind:     hidden_group_size_x
      - .offset:         150
        .size:           2
        .value_kind:     hidden_group_size_y
      - .offset:         152
        .size:           2
        .value_kind:     hidden_group_size_z
      - .offset:         154
        .size:           2
        .value_kind:     hidden_remainder_x
      - .offset:         156
        .size:           2
        .value_kind:     hidden_remainder_y
      - .offset:         158
        .size:           2
        .value_kind:     hidden_remainder_z
      - .offset:         176
        .size:           8
        .value_kind:     hidden_global_offset_x
      - .offset:         184
        .size:           8
        .value_kind:     hidden_global_offset_y
      - .offset:         192
        .size:           8
        .value_kind:     hidden_global_offset_z
      - .offset:         200
        .size:           2
        .value_kind:     hidden_grid_dims
    .group_segment_fixed_size: 0
    .kernarg_segment_align: 8
    .kernarg_segment_size: 392
    .language:       OpenCL C
    .language_version:
      - 2
      - 0
    .max_flat_workgroup_size: 1024
    .name:           _ZN9rocsolver6v33100L12bdsqr_rotateIddPdS2_S2_EEviiiiT1_iilT2_iilT3_iiliPiPT0_ilS6_
    .private_segment_fixed_size: 0
    .sgpr_count:     54
    .sgpr_spill_count: 0
    .symbol:         _ZN9rocsolver6v33100L12bdsqr_rotateIddPdS2_S2_EEviiiiT1_iilT2_iilT3_iiliPiPT0_ilS6_.kd
    .uniform_work_group_size: 1
    .uses_dynamic_stack: false
    .vgpr_count:     24
    .vgpr_spill_count: 0
    .wavefront_size: 64
  - .agpr_count:     0
    .args:
      - .offset:         0
        .size:           4
        .value_kind:     by_value
      - .offset:         4
        .size:           4
        .value_kind:     by_value
      - .offset:         8
        .size:           4
        .value_kind:     by_value
      - .offset:         12
        .size:           4
        .value_kind:     by_value
      - .address_space:  global
        .offset:         16
        .size:           8
        .value_kind:     global_buffer
      - .offset:         24
        .size:           8
        .value_kind:     by_value
      - .address_space:  global
        .offset:         32
        .size:           8
        .value_kind:     global_buffer
      - .offset:         40
        .size:           8
        .value_kind:     by_value
      - .address_space:  global
        .offset:         48
        .size:           8
        .value_kind:     global_buffer
      - .offset:         56
        .size:           4
        .value_kind:     by_value
      - .offset:         60
        .size:           4
        .value_kind:     by_value
      - .offset:         64
        .size:           8
        .value_kind:     by_value
      - .address_space:  global
        .offset:         72
        .size:           8
        .value_kind:     global_buffer
      - .offset:         80
        .size:           4
        .value_kind:     by_value
      - .offset:         84
        .size:           4
        .value_kind:     by_value
      - .offset:         88
        .size:           8
        .value_kind:     by_value
      - .address_space:  global
        .offset:         96
        .size:           8
        .value_kind:     global_buffer
      - .offset:         104
        .size:           4
        .value_kind:     by_value
      - .offset:         108
        .size:           4
        .value_kind:     by_value
      - .offset:         112
        .size:           8
        .value_kind:     by_value
      - .address_space:  global
        .offset:         120
        .size:           8
        .value_kind:     global_buffer
      - .address_space:  global
        .offset:         128
        .size:           8
        .value_kind:     global_buffer
      - .address_space:  global
        .offset:         136
        .size:           8
        .value_kind:     global_buffer
      - .offset:         144
        .size:           4
        .value_kind:     hidden_block_count_x
      - .offset:         148
        .size:           4
        .value_kind:     hidden_block_count_y
      - .offset:         152
        .size:           4
        .value_kind:     hidden_block_count_z
      - .offset:         156
        .size:           2
        .value_kind:     hidden_group_size_x
      - .offset:         158
        .size:           2
        .value_kind:     hidden_group_size_y
      - .offset:         160
        .size:           2
        .value_kind:     hidden_group_size_z
      - .offset:         162
        .size:           2
        .value_kind:     hidden_remainder_x
      - .offset:         164
        .size:           2
        .value_kind:     hidden_remainder_y
      - .offset:         166
        .size:           2
        .value_kind:     hidden_remainder_z
      - .offset:         184
        .size:           8
        .value_kind:     hidden_global_offset_x
      - .offset:         192
        .size:           8
        .value_kind:     hidden_global_offset_y
      - .offset:         200
        .size:           8
        .value_kind:     hidden_global_offset_z
      - .offset:         208
        .size:           2
        .value_kind:     hidden_grid_dims
      - .offset:         224
        .size:           8
        .value_kind:     hidden_hostcall_buffer
    .group_segment_fixed_size: 0
    .kernarg_segment_align: 8
    .kernarg_segment_size: 400
    .language:       OpenCL C
    .language_version:
      - 2
      - 0
    .max_flat_workgroup_size: 1024
    .name:           _ZN9rocsolver6v33100L14bdsqr_finalizeIddPdS2_S2_EEviiiiPT0_lS4_lT1_iilT2_iilT3_iilPiS8_S8_
    .private_segment_fixed_size: 64
    .sgpr_count:     84
    .sgpr_spill_count: 0
    .symbol:         _ZN9rocsolver6v33100L14bdsqr_finalizeIddPdS2_S2_EEviiiiPT0_lS4_lT1_iilT2_iilT3_iilPiS8_S8_.kd
    .uniform_work_group_size: 1
    .uses_dynamic_stack: false
    .vgpr_count:     45
    .vgpr_spill_count: 0
    .wavefront_size: 64
  - .agpr_count:     0
    .args:
      - .offset:         0
        .size:           4
        .value_kind:     by_value
      - .offset:         4
        .size:           4
        .value_kind:     by_value
      - .address_space:  global
        .offset:         8
        .size:           8
        .value_kind:     global_buffer
      - .offset:         16
        .size:           4
        .value_kind:     by_value
      - .offset:         20
        .size:           4
        .value_kind:     by_value
      - .offset:         24
        .size:           8
        .value_kind:     by_value
      - .address_space:  global
        .offset:         32
        .size:           8
        .value_kind:     global_buffer
      - .offset:         40
        .size:           4
        .value_kind:     by_value
      - .offset:         44
        .size:           4
        .value_kind:     by_value
      - .offset:         48
        .size:           8
        .value_kind:     by_value
      - .offset:         56
        .size:           1
        .value_kind:     by_value
      - .offset:         60
        .size:           4
        .value_kind:     by_value
      - .offset:         64
        .size:           4
        .value_kind:     by_value
      - .offset:         72
        .size:           4
        .value_kind:     hidden_block_count_x
      - .offset:         76
        .size:           4
        .value_kind:     hidden_block_count_y
      - .offset:         80
        .size:           4
        .value_kind:     hidden_block_count_z
      - .offset:         84
        .size:           2
        .value_kind:     hidden_group_size_x
      - .offset:         86
        .size:           2
        .value_kind:     hidden_group_size_y
      - .offset:         88
        .size:           2
        .value_kind:     hidden_group_size_z
      - .offset:         90
        .size:           2
        .value_kind:     hidden_remainder_x
      - .offset:         92
        .size:           2
        .value_kind:     hidden_remainder_y
      - .offset:         94
        .size:           2
        .value_kind:     hidden_remainder_z
      - .offset:         112
        .size:           8
        .value_kind:     hidden_global_offset_x
      - .offset:         120
        .size:           8
        .value_kind:     hidden_global_offset_y
      - .offset:         128
        .size:           8
        .value_kind:     hidden_global_offset_z
      - .offset:         136
        .size:           2
        .value_kind:     hidden_grid_dims
    .group_segment_fixed_size: 0
    .kernarg_segment_align: 8
    .kernarg_segment_size: 328
    .language:       OpenCL C
    .language_version:
      - 2
      - 0
    .max_flat_workgroup_size: 1024
    .name:           _ZN9rocsolver6v33100L8copy_matIdPdPKS2_NS0_7no_maskEEEviiT0_iilT1_iilT2_13rocblas_fill_17rocblas_diagonal_
    .private_segment_fixed_size: 0
    .sgpr_count:     24
    .sgpr_spill_count: 0
    .symbol:         _ZN9rocsolver6v33100L8copy_matIdPdPKS2_NS0_7no_maskEEEviiT0_iilT1_iilT2_13rocblas_fill_17rocblas_diagonal_.kd
    .uniform_work_group_size: 1
    .uses_dynamic_stack: false
    .vgpr_count:     6
    .vgpr_spill_count: 0
    .wavefront_size: 64
  - .agpr_count:     0
    .args:
      - .address_space:  global
        .offset:         0
        .size:           8
        .value_kind:     global_buffer
      - .offset:         8
        .size:           4
        .value_kind:     by_value
      - .offset:         12
        .size:           8
        .value_kind:     by_value
    .group_segment_fixed_size: 0
    .kernarg_segment_align: 8
    .kernarg_segment_size: 20
    .language:       OpenCL C
    .language_version:
      - 2
      - 0
    .max_flat_workgroup_size: 32
    .name:           _ZN9rocsolver6v33100L6iota_nI19rocblas_complex_numIfEEEvPT_jS4_
    .private_segment_fixed_size: 0
    .sgpr_count:     10
    .sgpr_spill_count: 0
    .symbol:         _ZN9rocsolver6v33100L6iota_nI19rocblas_complex_numIfEEEvPT_jS4_.kd
    .uniform_work_group_size: 1
    .uses_dynamic_stack: false
    .vgpr_count:     5
    .vgpr_spill_count: 0
    .wavefront_size: 64
  - .agpr_count:     0
    .args:
      - .offset:         0
        .size:           4
        .value_kind:     by_value
      - .offset:         4
        .size:           4
        .value_kind:     by_value
      - .address_space:  global
        .offset:         8
        .size:           8
        .value_kind:     global_buffer
      - .offset:         16
        .size:           8
        .value_kind:     by_value
      - .offset:         24
        .size:           4
        .value_kind:     by_value
      - .offset:         32
        .size:           8
        .value_kind:     by_value
      - .address_space:  global
        .offset:         40
        .size:           8
        .value_kind:     global_buffer
      - .offset:         48
        .size:           8
        .value_kind:     by_value
      - .address_space:  global
        .offset:         56
        .size:           8
        .value_kind:     global_buffer
      - .offset:         64
        .size:           8
        .value_kind:     by_value
    .group_segment_fixed_size: 0
    .kernarg_segment_align: 8
    .kernarg_segment_size: 72
    .language:       OpenCL C
    .language_version:
      - 2
      - 0
    .max_flat_workgroup_size: 256
    .name:           _ZN9rocsolver6v33100L18geqr2_kernel_smallILi256E19rocblas_complex_numIfEifPKPS3_EEvT1_S7_T3_lS7_lPT2_lPT0_l
    .private_segment_fixed_size: 0
    .sgpr_count:     53
    .sgpr_spill_count: 0
    .symbol:         _ZN9rocsolver6v33100L18geqr2_kernel_smallILi256E19rocblas_complex_numIfEifPKPS3_EEvT1_S7_T3_lS7_lPT2_lPT0_l.kd
    .uniform_work_group_size: 1
    .uses_dynamic_stack: false
    .vgpr_count:     32
    .vgpr_spill_count: 0
    .wavefront_size: 64
  - .agpr_count:     0
    .args:
      - .address_space:  global
        .offset:         0
        .size:           8
        .value_kind:     global_buffer
      - .offset:         8
        .size:           8
        .value_kind:     by_value
      - .offset:         16
        .size:           4
        .value_kind:     by_value
      - .offset:         20
        .size:           4
        .value_kind:     by_value
      - .offset:         24
        .size:           4
        .value_kind:     hidden_block_count_x
      - .offset:         28
        .size:           4
        .value_kind:     hidden_block_count_y
      - .offset:         32
        .size:           4
        .value_kind:     hidden_block_count_z
      - .offset:         36
        .size:           2
        .value_kind:     hidden_group_size_x
      - .offset:         38
        .size:           2
        .value_kind:     hidden_group_size_y
      - .offset:         40
        .size:           2
        .value_kind:     hidden_group_size_z
      - .offset:         42
        .size:           2
        .value_kind:     hidden_remainder_x
      - .offset:         44
        .size:           2
        .value_kind:     hidden_remainder_y
      - .offset:         46
        .size:           2
        .value_kind:     hidden_remainder_z
      - .offset:         64
        .size:           8
        .value_kind:     hidden_global_offset_x
      - .offset:         72
        .size:           8
        .value_kind:     hidden_global_offset_y
      - .offset:         80
        .size:           8
        .value_kind:     hidden_global_offset_z
      - .offset:         88
        .size:           2
        .value_kind:     hidden_grid_dims
    .group_segment_fixed_size: 0
    .kernarg_segment_align: 8
    .kernarg_segment_size: 280
    .language:       OpenCL C
    .language_version:
      - 2
      - 0
    .max_flat_workgroup_size: 1024
    .name:           _ZN9rocsolver6v33100L16reset_batch_infoI19rocblas_complex_numIfEiiPS3_EEvT2_lT0_T1_
    .private_segment_fixed_size: 0
    .sgpr_count:     16
    .sgpr_spill_count: 0
    .symbol:         _ZN9rocsolver6v33100L16reset_batch_infoI19rocblas_complex_numIfEiiPS3_EEvT2_lT0_T1_.kd
    .uniform_work_group_size: 1
    .uses_dynamic_stack: false
    .vgpr_count:     4
    .vgpr_spill_count: 0
    .wavefront_size: 64
  - .agpr_count:     0
    .args:
      - .address_space:  global
        .offset:         0
        .size:           8
        .value_kind:     global_buffer
      - .offset:         8
        .size:           8
        .value_kind:     by_value
      - .offset:         16
        .size:           8
        .value_kind:     by_value
      - .address_space:  global
        .offset:         24
        .size:           8
        .value_kind:     global_buffer
      - .offset:         32
        .size:           8
        .value_kind:     by_value
      - .offset:         40
        .size:           4
        .value_kind:     by_value
      - .offset:         48
        .size:           8
        .value_kind:     by_value
      - .offset:         56
        .size:           4
        .value_kind:     by_value
      - .offset:         60
        .size:           1
        .value_kind:     by_value
      - .offset:         64
        .size:           4
        .value_kind:     hidden_block_count_x
      - .offset:         68
        .size:           4
        .value_kind:     hidden_block_count_y
      - .offset:         72
        .size:           4
        .value_kind:     hidden_block_count_z
      - .offset:         76
        .size:           2
        .value_kind:     hidden_group_size_x
      - .offset:         78
        .size:           2
        .value_kind:     hidden_group_size_y
      - .offset:         80
        .size:           2
        .value_kind:     hidden_group_size_z
      - .offset:         82
        .size:           2
        .value_kind:     hidden_remainder_x
      - .offset:         84
        .size:           2
        .value_kind:     hidden_remainder_y
      - .offset:         86
        .size:           2
        .value_kind:     hidden_remainder_z
      - .offset:         104
        .size:           8
        .value_kind:     hidden_global_offset_x
      - .offset:         112
        .size:           8
        .value_kind:     hidden_global_offset_y
      - .offset:         120
        .size:           8
        .value_kind:     hidden_global_offset_z
      - .offset:         128
        .size:           2
        .value_kind:     hidden_grid_dims
    .group_segment_fixed_size: 0
    .kernarg_segment_align: 8
    .kernarg_segment_size: 320
    .language:       OpenCL C
    .language_version:
      - 2
      - 0
    .max_flat_workgroup_size: 1024
    .name:           _ZN9rocsolver6v33100L8set_diagI19rocblas_complex_numIfEifPKPS3_TnNSt9enable_ifIXaa18rocblas_is_complexIT_Ent18rocblas_is_complexIT1_EEiE4typeELi0EEEvPS9_llT2_lT0_lSE_b
    .private_segment_fixed_size: 0
    .sgpr_count:     23
    .sgpr_spill_count: 0
    .symbol:         _ZN9rocsolver6v33100L8set_diagI19rocblas_complex_numIfEifPKPS3_TnNSt9enable_ifIXaa18rocblas_is_complexIT_Ent18rocblas_is_complexIT1_EEiE4typeELi0EEEvPS9_llT2_lT0_lSE_b.kd
    .uniform_work_group_size: 1
    .uses_dynamic_stack: false
    .vgpr_count:     6
    .vgpr_spill_count: 0
    .wavefront_size: 64
  - .agpr_count:     0
    .args:
      - .address_space:  global
        .offset:         0
        .size:           8
        .value_kind:     global_buffer
      - .offset:         8
        .size:           8
        .value_kind:     by_value
      - .address_space:  global
        .offset:         16
        .size:           8
        .value_kind:     global_buffer
      - .address_space:  global
        .offset:         24
        .size:           8
        .value_kind:     global_buffer
      - .offset:         32
        .size:           8
        .value_kind:     by_value
      - .offset:         40
        .size:           8
        .value_kind:     by_value
      - .address_space:  global
        .offset:         48
        .size:           8
        .value_kind:     global_buffer
      - .offset:         56
        .size:           8
        .value_kind:     by_value
      - .offset:         64
        .size:           8
        .value_kind:     by_value
    .group_segment_fixed_size: 0
    .kernarg_segment_align: 8
    .kernarg_segment_size: 72
    .language:       OpenCL C
    .language_version:
      - 2
      - 0
    .max_flat_workgroup_size: 1024
    .name:           _ZN9rocsolver6v33100L11set_taubetaI19rocblas_complex_numIfEifPKPS3_EEvPT_lS8_T2_llPT1_ll
    .private_segment_fixed_size: 0
    .sgpr_count:     28
    .sgpr_spill_count: 0
    .symbol:         _ZN9rocsolver6v33100L11set_taubetaI19rocblas_complex_numIfEifPKPS3_EEvPT_lS8_T2_llPT1_ll.kd
    .uniform_work_group_size: 1
    .uses_dynamic_stack: false
    .vgpr_count:     8
    .vgpr_spill_count: 0
    .wavefront_size: 64
  - .agpr_count:     0
    .args:
      - .offset:         0
        .size:           4
        .value_kind:     by_value
      - .offset:         4
        .size:           4
        .value_kind:     by_value
      - .address_space:  global
        .offset:         8
        .size:           8
        .value_kind:     global_buffer
      - .offset:         16
        .size:           8
        .value_kind:     by_value
      - .offset:         24
        .size:           4
        .value_kind:     by_value
      - .offset:         32
        .size:           8
        .value_kind:     by_value
      - .offset:         40
        .size:           4
        .value_kind:     hidden_block_count_x
      - .offset:         44
        .size:           4
        .value_kind:     hidden_block_count_y
      - .offset:         48
        .size:           4
        .value_kind:     hidden_block_count_z
      - .offset:         52
        .size:           2
        .value_kind:     hidden_group_size_x
      - .offset:         54
        .size:           2
        .value_kind:     hidden_group_size_y
      - .offset:         56
        .size:           2
        .value_kind:     hidden_group_size_z
      - .offset:         58
        .size:           2
        .value_kind:     hidden_remainder_x
      - .offset:         60
        .size:           2
        .value_kind:     hidden_remainder_y
      - .offset:         62
        .size:           2
        .value_kind:     hidden_remainder_z
      - .offset:         80
        .size:           8
        .value_kind:     hidden_global_offset_x
      - .offset:         88
        .size:           8
        .value_kind:     hidden_global_offset_y
      - .offset:         96
        .size:           8
        .value_kind:     hidden_global_offset_z
      - .offset:         104
        .size:           2
        .value_kind:     hidden_grid_dims
    .group_segment_fixed_size: 0
    .kernarg_segment_align: 8
    .kernarg_segment_size: 296
    .language:       OpenCL C
    .language_version:
      - 2
      - 0
    .max_flat_workgroup_size: 1024
    .name:           _ZN9rocsolver6v33100L13conj_in_placeI19rocblas_complex_numIfEiPS3_TnNSt9enable_ifIX18rocblas_is_complexIT_EEiE4typeELi0EEEvT0_S9_T1_lS9_l
    .private_segment_fixed_size: 0
    .sgpr_count:     14
    .sgpr_spill_count: 0
    .symbol:         _ZN9rocsolver6v33100L13conj_in_placeI19rocblas_complex_numIfEiPS3_TnNSt9enable_ifIX18rocblas_is_complexIT_EEiE4typeELi0EEEvT0_S9_T1_lS9_l.kd
    .uniform_work_group_size: 1
    .uses_dynamic_stack: false
    .vgpr_count:     7
    .vgpr_spill_count: 0
    .wavefront_size: 64
  - .agpr_count:     0
    .args:
      - .offset:         0
        .size:           4
        .value_kind:     by_value
      - .offset:         4
        .size:           4
        .value_kind:     by_value
      - .address_space:  global
        .offset:         8
        .size:           8
        .value_kind:     global_buffer
      - .offset:         16
        .size:           8
        .value_kind:     by_value
      - .offset:         24
        .size:           4
        .value_kind:     by_value
      - .offset:         32
        .size:           8
        .value_kind:     by_value
      - .address_space:  global
        .offset:         40
        .size:           8
        .value_kind:     global_buffer
      - .offset:         48
        .size:           8
        .value_kind:     by_value
      - .address_space:  global
        .offset:         56
        .size:           8
        .value_kind:     global_buffer
      - .offset:         64
        .size:           8
        .value_kind:     by_value
      - .offset:         72
        .size:           4
        .value_kind:     by_value
      - .offset:         80
        .size:           8
        .value_kind:     by_value
    .group_segment_fixed_size: 0
    .kernarg_segment_align: 8
    .kernarg_segment_size: 88
    .language:       OpenCL C
    .language_version:
      - 2
      - 0
    .max_flat_workgroup_size: 1024
    .name:           _ZN9rocsolver6v33100L16larf_left_kernelILi1024E19rocblas_complex_numIfEiPKPS3_EEvT1_S7_T2_lS7_lPKT0_lS8_lS7_l
    .private_segment_fixed_size: 0
    .sgpr_count:     32
    .sgpr_spill_count: 0
    .symbol:         _ZN9rocsolver6v33100L16larf_left_kernelILi1024E19rocblas_complex_numIfEiPKPS3_EEvT1_S7_T2_lS7_lPKT0_lS8_lS7_l.kd
    .uniform_work_group_size: 1
    .uses_dynamic_stack: false
    .vgpr_count:     30
    .vgpr_spill_count: 0
    .wavefront_size: 64
  - .agpr_count:     0
    .args:
      - .offset:         0
        .size:           4
        .value_kind:     by_value
      - .offset:         4
        .size:           4
        .value_kind:     by_value
      - .address_space:  global
        .offset:         8
        .size:           8
        .value_kind:     global_buffer
      - .offset:         16
        .size:           8
        .value_kind:     by_value
      - .offset:         24
        .size:           4
        .value_kind:     by_value
      - .offset:         32
        .size:           8
        .value_kind:     by_value
      - .address_space:  global
        .offset:         40
        .size:           8
        .value_kind:     global_buffer
      - .offset:         48
        .size:           8
        .value_kind:     by_value
      - .address_space:  global
        .offset:         56
        .size:           8
        .value_kind:     global_buffer
      - .offset:         64
        .size:           8
        .value_kind:     by_value
      - .offset:         72
        .size:           4
        .value_kind:     by_value
      - .offset:         80
        .size:           8
        .value_kind:     by_value
    .group_segment_fixed_size: 0
    .kernarg_segment_align: 8
    .kernarg_segment_size: 88
    .language:       OpenCL C
    .language_version:
      - 2
      - 0
    .max_flat_workgroup_size: 1024
    .name:           _ZN9rocsolver6v33100L17larf_right_kernelILi1024E19rocblas_complex_numIfEiPKPS3_EEvT1_S7_T2_lS7_lPKT0_lS8_lS7_l
    .private_segment_fixed_size: 0
    .sgpr_count:     32
    .sgpr_spill_count: 0
    .symbol:         _ZN9rocsolver6v33100L17larf_right_kernelILi1024E19rocblas_complex_numIfEiPKPS3_EEvT1_S7_T2_lS7_lPKT0_lS8_lS7_l.kd
    .uniform_work_group_size: 1
    .uses_dynamic_stack: false
    .vgpr_count:     21
    .vgpr_spill_count: 0
    .wavefront_size: 64
  - .agpr_count:     0
    .args:
      - .address_space:  global
        .offset:         0
        .size:           8
        .value_kind:     global_buffer
      - .address_space:  global
        .offset:         8
        .size:           8
        .value_kind:     global_buffer
      - .offset:         16
        .size:           8
        .value_kind:     by_value
      - .offset:         24
        .size:           4
        .value_kind:     by_value
      - .offset:         32
        .size:           4
        .value_kind:     hidden_block_count_x
      - .offset:         36
        .size:           4
        .value_kind:     hidden_block_count_y
      - .offset:         40
        .size:           4
        .value_kind:     hidden_block_count_z
      - .offset:         44
        .size:           2
        .value_kind:     hidden_group_size_x
      - .offset:         46
        .size:           2
        .value_kind:     hidden_group_size_y
      - .offset:         48
        .size:           2
        .value_kind:     hidden_group_size_z
      - .offset:         50
        .size:           2
        .value_kind:     hidden_remainder_x
      - .offset:         52
        .size:           2
        .value_kind:     hidden_remainder_y
      - .offset:         54
        .size:           2
        .value_kind:     hidden_remainder_z
      - .offset:         72
        .size:           8
        .value_kind:     hidden_global_offset_x
      - .offset:         80
        .size:           8
        .value_kind:     hidden_global_offset_y
      - .offset:         88
        .size:           8
        .value_kind:     hidden_global_offset_z
      - .offset:         96
        .size:           2
        .value_kind:     hidden_grid_dims
    .group_segment_fixed_size: 0
    .kernarg_segment_align: 8
    .kernarg_segment_size: 288
    .language:       OpenCL C
    .language_version:
      - 2
      - 0
    .max_flat_workgroup_size: 1024
    .name:           _ZN9rocsolver6v33100L9get_arrayI19rocblas_complex_numIfEiEEvPPT_S5_lT0_
    .private_segment_fixed_size: 0
    .sgpr_count:     12
    .sgpr_spill_count: 0
    .symbol:         _ZN9rocsolver6v33100L9get_arrayI19rocblas_complex_numIfEiEEvPPT_S5_lT0_.kd
    .uniform_work_group_size: 1
    .uses_dynamic_stack: false
    .vgpr_count:     6
    .vgpr_spill_count: 0
    .wavefront_size: 64
  - .agpr_count:     0
    .args:
      - .address_space:  global
        .offset:         0
        .size:           8
        .value_kind:     global_buffer
      - .offset:         8
        .size:           8
        .value_kind:     by_value
      - .offset:         16
        .size:           8
        .value_kind:     by_value
      - .address_space:  global
        .offset:         24
        .size:           8
        .value_kind:     global_buffer
      - .offset:         32
        .size:           8
        .value_kind:     by_value
      - .offset:         40
        .size:           4
        .value_kind:     by_value
      - .offset:         48
        .size:           8
        .value_kind:     by_value
      - .offset:         56
        .size:           4
        .value_kind:     by_value
      - .offset:         64
        .size:           4
        .value_kind:     hidden_block_count_x
      - .offset:         68
        .size:           4
        .value_kind:     hidden_block_count_y
      - .offset:         72
        .size:           4
        .value_kind:     hidden_block_count_z
      - .offset:         76
        .size:           2
        .value_kind:     hidden_group_size_x
      - .offset:         78
        .size:           2
        .value_kind:     hidden_group_size_y
      - .offset:         80
        .size:           2
        .value_kind:     hidden_group_size_z
      - .offset:         82
        .size:           2
        .value_kind:     hidden_remainder_x
      - .offset:         84
        .size:           2
        .value_kind:     hidden_remainder_y
      - .offset:         86
        .size:           2
        .value_kind:     hidden_remainder_z
      - .offset:         104
        .size:           8
        .value_kind:     hidden_global_offset_x
      - .offset:         112
        .size:           8
        .value_kind:     hidden_global_offset_y
      - .offset:         120
        .size:           8
        .value_kind:     hidden_global_offset_z
      - .offset:         128
        .size:           2
        .value_kind:     hidden_grid_dims
    .group_segment_fixed_size: 0
    .kernarg_segment_align: 8
    .kernarg_segment_size: 320
    .language:       OpenCL C
    .language_version:
      - 2
      - 0
    .max_flat_workgroup_size: 1024
    .name:           _ZN9rocsolver6v33100L12restore_diagI19rocblas_complex_numIfEifPKPS3_EEvPT1_llT2_lT0_lSA_
    .private_segment_fixed_size: 0
    .sgpr_count:     21
    .sgpr_spill_count: 0
    .symbol:         _ZN9rocsolver6v33100L12restore_diagI19rocblas_complex_numIfEifPKPS3_EEvPT1_llT2_lT0_lSA_.kd
    .uniform_work_group_size: 1
    .uses_dynamic_stack: false
    .vgpr_count:     4
    .vgpr_spill_count: 0
    .wavefront_size: 64
  - .agpr_count:     0
    .args:
      - .offset:         0
        .size:           4
        .value_kind:     by_value
      - .offset:         4
        .size:           4
        .value_kind:     by_value
      - .address_space:  global
        .offset:         8
        .size:           8
        .value_kind:     global_buffer
      - .offset:         16
        .size:           4
        .value_kind:     by_value
      - .offset:         20
        .size:           4
        .value_kind:     by_value
      - .offset:         24
        .size:           8
        .value_kind:     by_value
      - .address_space:  global
        .offset:         32
        .size:           8
        .value_kind:     global_buffer
      - .offset:         40
        .size:           8
        .value_kind:     by_value
      - .address_space:  global
        .offset:         48
        .size:           8
        .value_kind:     global_buffer
      - .offset:         56
        .size:           4
        .value_kind:     by_value
      - .offset:         64
        .size:           8
        .value_kind:     by_value
      - .offset:         72
        .size:           4
        .value_kind:     by_value
      - .offset:         76
        .size:           4
        .value_kind:     by_value
      - .offset:         80
        .size:           1
        .value_kind:     by_value
      - .offset:         88
        .size:           4
        .value_kind:     hidden_block_count_x
      - .offset:         92
        .size:           4
        .value_kind:     hidden_block_count_y
      - .offset:         96
        .size:           4
        .value_kind:     hidden_block_count_z
      - .offset:         100
        .size:           2
        .value_kind:     hidden_group_size_x
      - .offset:         102
        .size:           2
        .value_kind:     hidden_group_size_y
      - .offset:         104
        .size:           2
        .value_kind:     hidden_group_size_z
      - .offset:         106
        .size:           2
        .value_kind:     hidden_remainder_x
      - .offset:         108
        .size:           2
        .value_kind:     hidden_remainder_y
      - .offset:         110
        .size:           2
        .value_kind:     hidden_remainder_z
      - .offset:         128
        .size:           8
        .value_kind:     hidden_global_offset_x
      - .offset:         136
        .size:           8
        .value_kind:     hidden_global_offset_y
      - .offset:         144
        .size:           8
        .value_kind:     hidden_global_offset_z
      - .offset:         152
        .size:           2
        .value_kind:     hidden_grid_dims
    .group_segment_fixed_size: 0
    .kernarg_segment_align: 8
    .kernarg_segment_size: 344
    .language:       OpenCL C
    .language_version:
      - 2
      - 0
    .max_flat_workgroup_size: 1024
    .name:           _ZN9rocsolver6v33100L14set_triangularI19rocblas_complex_numIfEPKPS3_TnNSt9enable_ifIX18rocblas_is_complexIT_EEiE4typeELi0EEEviiT0_iilPS8_lSC_il15rocblas_direct_15rocblas_storev_b
    .private_segment_fixed_size: 0
    .sgpr_count:     26
    .sgpr_spill_count: 0
    .symbol:         _ZN9rocsolver6v33100L14set_triangularI19rocblas_complex_numIfEPKPS3_TnNSt9enable_ifIX18rocblas_is_complexIT_EEiE4typeELi0EEEviiT0_iilPS8_lSC_il15rocblas_direct_15rocblas_storev_b.kd
    .uniform_work_group_size: 1
    .uses_dynamic_stack: false
    .vgpr_count:     18
    .vgpr_spill_count: 0
    .wavefront_size: 64
  - .agpr_count:     0
    .args:
      - .offset:         0
        .size:           4
        .value_kind:     by_value
      - .address_space:  global
        .offset:         8
        .size:           8
        .value_kind:     global_buffer
      - .offset:         16
        .size:           8
        .value_kind:     by_value
      - .offset:         24
        .size:           4
        .value_kind:     hidden_block_count_x
      - .offset:         28
        .size:           4
        .value_kind:     hidden_block_count_y
      - .offset:         32
        .size:           4
        .value_kind:     hidden_block_count_z
      - .offset:         36
        .size:           2
        .value_kind:     hidden_group_size_x
      - .offset:         38
        .size:           2
        .value_kind:     hidden_group_size_y
      - .offset:         40
        .size:           2
        .value_kind:     hidden_group_size_z
      - .offset:         42
        .size:           2
        .value_kind:     hidden_remainder_x
      - .offset:         44
        .size:           2
        .value_kind:     hidden_remainder_y
      - .offset:         46
        .size:           2
        .value_kind:     hidden_remainder_z
      - .offset:         64
        .size:           8
        .value_kind:     hidden_global_offset_x
      - .offset:         72
        .size:           8
        .value_kind:     hidden_global_offset_y
      - .offset:         80
        .size:           8
        .value_kind:     hidden_global_offset_z
      - .offset:         88
        .size:           2
        .value_kind:     hidden_grid_dims
    .group_segment_fixed_size: 0
    .kernarg_segment_align: 8
    .kernarg_segment_size: 280
    .language:       OpenCL C
    .language_version:
      - 2
      - 0
    .max_flat_workgroup_size: 1024
    .name:           _ZN9rocsolver6v33100L7set_tauI19rocblas_complex_numIfEEEviPT_l
    .private_segment_fixed_size: 0
    .sgpr_count:     12
    .sgpr_spill_count: 0
    .symbol:         _ZN9rocsolver6v33100L7set_tauI19rocblas_complex_numIfEEEviPT_l.kd
    .uniform_work_group_size: 1
    .uses_dynamic_stack: false
    .vgpr_count:     4
    .vgpr_spill_count: 0
    .wavefront_size: 64
  - .agpr_count:     0
    .args:
      - .offset:         0
        .size:           4
        .value_kind:     by_value
      - .offset:         4
        .size:           4
        .value_kind:     by_value
      - .offset:         8
        .size:           4
        .value_kind:     by_value
      - .address_space:  global
        .offset:         16
        .size:           8
        .value_kind:     global_buffer
      - .offset:         24
        .size:           4
        .value_kind:     by_value
      - .offset:         28
        .size:           4
        .value_kind:     by_value
      - .offset:         32
        .size:           8
        .value_kind:     by_value
      - .address_space:  global
        .offset:         40
        .size:           8
        .value_kind:     global_buffer
      - .offset:         48
        .size:           8
        .value_kind:     by_value
      - .address_space:  global
        .offset:         56
        .size:           8
        .value_kind:     global_buffer
      - .offset:         64
        .size:           4
        .value_kind:     by_value
      - .offset:         72
        .size:           8
        .value_kind:     by_value
      - .offset:         80
        .size:           4
        .value_kind:     hidden_block_count_x
      - .offset:         84
        .size:           4
        .value_kind:     hidden_block_count_y
      - .offset:         88
        .size:           4
        .value_kind:     hidden_block_count_z
      - .offset:         92
        .size:           2
        .value_kind:     hidden_group_size_x
      - .offset:         94
        .size:           2
        .value_kind:     hidden_group_size_y
      - .offset:         96
        .size:           2
        .value_kind:     hidden_group_size_z
      - .offset:         98
        .size:           2
        .value_kind:     hidden_remainder_x
      - .offset:         100
        .size:           2
        .value_kind:     hidden_remainder_y
      - .offset:         102
        .size:           2
        .value_kind:     hidden_remainder_z
      - .offset:         120
        .size:           8
        .value_kind:     hidden_global_offset_x
      - .offset:         128
        .size:           8
        .value_kind:     hidden_global_offset_y
      - .offset:         136
        .size:           8
        .value_kind:     hidden_global_offset_z
      - .offset:         144
        .size:           2
        .value_kind:     hidden_grid_dims
      - .offset:         200
        .size:           4
        .value_kind:     hidden_dynamic_lds_size
    .group_segment_fixed_size: 0
    .kernarg_segment_align: 8
    .kernarg_segment_size: 336
    .language:       OpenCL C
    .language_version:
      - 2
      - 0
    .max_flat_workgroup_size: 1024
    .name:           _ZN9rocsolver6v33100L20larft_kernel_forwardI19rocblas_complex_numIfEPKPS3_EEv15rocblas_storev_iiT0_iilPT_lSA_il
    .private_segment_fixed_size: 0
    .sgpr_count:     56
    .sgpr_spill_count: 0
    .symbol:         _ZN9rocsolver6v33100L20larft_kernel_forwardI19rocblas_complex_numIfEPKPS3_EEv15rocblas_storev_iiT0_iilPT_lSA_il.kd
    .uniform_work_group_size: 1
    .uses_dynamic_stack: false
    .vgpr_count:     24
    .vgpr_spill_count: 0
    .wavefront_size: 64
  - .agpr_count:     0
    .args:
      - .offset:         0
        .size:           4
        .value_kind:     by_value
      - .offset:         4
        .size:           4
        .value_kind:     by_value
      - .address_space:  global
        .offset:         8
        .size:           8
        .value_kind:     global_buffer
      - .offset:         16
        .size:           8
        .value_kind:     by_value
      - .offset:         24
        .size:           4
        .value_kind:     by_value
      - .offset:         32
        .size:           8
        .value_kind:     by_value
      - .offset:         40
        .size:           4
        .value_kind:     hidden_block_count_x
      - .offset:         44
        .size:           4
        .value_kind:     hidden_block_count_y
      - .offset:         48
        .size:           4
        .value_kind:     hidden_block_count_z
      - .offset:         52
        .size:           2
        .value_kind:     hidden_group_size_x
      - .offset:         54
        .size:           2
        .value_kind:     hidden_group_size_y
      - .offset:         56
        .size:           2
        .value_kind:     hidden_group_size_z
      - .offset:         58
        .size:           2
        .value_kind:     hidden_remainder_x
      - .offset:         60
        .size:           2
        .value_kind:     hidden_remainder_y
      - .offset:         62
        .size:           2
        .value_kind:     hidden_remainder_z
      - .offset:         80
        .size:           8
        .value_kind:     hidden_global_offset_x
      - .offset:         88
        .size:           8
        .value_kind:     hidden_global_offset_y
      - .offset:         96
        .size:           8
        .value_kind:     hidden_global_offset_z
      - .offset:         104
        .size:           2
        .value_kind:     hidden_grid_dims
    .group_segment_fixed_size: 0
    .kernarg_segment_align: 8
    .kernarg_segment_size: 296
    .language:       OpenCL C
    .language_version:
      - 2
      - 0
    .max_flat_workgroup_size: 1024
    .name:           _ZN9rocsolver6v33100L13conj_in_placeI19rocblas_complex_numIfEiPKPS3_TnNSt9enable_ifIX18rocblas_is_complexIT_EEiE4typeELi0EEEvT0_SB_T1_lSB_l
    .private_segment_fixed_size: 0
    .sgpr_count:     14
    .sgpr_spill_count: 0
    .symbol:         _ZN9rocsolver6v33100L13conj_in_placeI19rocblas_complex_numIfEiPKPS3_TnNSt9enable_ifIX18rocblas_is_complexIT_EEiE4typeELi0EEEvT0_SB_T1_lSB_l.kd
    .uniform_work_group_size: 1
    .uses_dynamic_stack: false
    .vgpr_count:     7
    .vgpr_spill_count: 0
    .wavefront_size: 64
  - .agpr_count:     0
    .args:
      - .offset:         0
        .size:           4
        .value_kind:     by_value
      - .offset:         4
        .size:           4
        .value_kind:     by_value
      - .offset:         8
        .size:           4
        .value_kind:     by_value
      - .address_space:  global
        .offset:         16
        .size:           8
        .value_kind:     global_buffer
      - .offset:         24
        .size:           4
        .value_kind:     by_value
      - .offset:         28
        .size:           4
        .value_kind:     by_value
      - .offset:         32
        .size:           8
        .value_kind:     by_value
      - .address_space:  global
        .offset:         40
        .size:           8
        .value_kind:     global_buffer
      - .offset:         48
        .size:           8
        .value_kind:     by_value
      - .address_space:  global
        .offset:         56
        .size:           8
        .value_kind:     global_buffer
      - .offset:         64
        .size:           4
        .value_kind:     by_value
      - .offset:         72
        .size:           8
        .value_kind:     by_value
      - .offset:         80
        .size:           4
        .value_kind:     hidden_block_count_x
      - .offset:         84
        .size:           4
        .value_kind:     hidden_block_count_y
      - .offset:         88
        .size:           4
        .value_kind:     hidden_block_count_z
      - .offset:         92
        .size:           2
        .value_kind:     hidden_group_size_x
      - .offset:         94
        .size:           2
        .value_kind:     hidden_group_size_y
      - .offset:         96
        .size:           2
        .value_kind:     hidden_group_size_z
      - .offset:         98
        .size:           2
        .value_kind:     hidden_remainder_x
      - .offset:         100
        .size:           2
        .value_kind:     hidden_remainder_y
      - .offset:         102
        .size:           2
        .value_kind:     hidden_remainder_z
      - .offset:         120
        .size:           8
        .value_kind:     hidden_global_offset_x
      - .offset:         128
        .size:           8
        .value_kind:     hidden_global_offset_y
      - .offset:         136
        .size:           8
        .value_kind:     hidden_global_offset_z
      - .offset:         144
        .size:           2
        .value_kind:     hidden_grid_dims
      - .offset:         200
        .size:           4
        .value_kind:     hidden_dynamic_lds_size
    .group_segment_fixed_size: 0
    .kernarg_segment_align: 8
    .kernarg_segment_size: 336
    .language:       OpenCL C
    .language_version:
      - 2
      - 0
    .max_flat_workgroup_size: 1024
    .name:           _ZN9rocsolver6v33100L21larft_kernel_backwardI19rocblas_complex_numIfEPKPS3_EEv15rocblas_storev_iiT0_iilPT_lSA_il
    .private_segment_fixed_size: 0
    .sgpr_count:     60
    .sgpr_spill_count: 0
    .symbol:         _ZN9rocsolver6v33100L21larft_kernel_backwardI19rocblas_complex_numIfEPKPS3_EEv15rocblas_storev_iiT0_iilPT_lSA_il.kd
    .uniform_work_group_size: 1
    .uses_dynamic_stack: false
    .vgpr_count:     20
    .vgpr_spill_count: 0
    .wavefront_size: 64
  - .agpr_count:     0
    .args:
      - .offset:         0
        .size:           4
        .value_kind:     by_value
      - .offset:         4
        .size:           4
        .value_kind:     by_value
      - .address_space:  global
        .offset:         8
        .size:           8
        .value_kind:     global_buffer
      - .offset:         16
        .size:           4
        .value_kind:     by_value
      - .offset:         20
        .size:           4
        .value_kind:     by_value
      - .offset:         24
        .size:           8
        .value_kind:     by_value
      - .address_space:  global
        .offset:         32
        .size:           8
        .value_kind:     global_buffer
      - .offset:         40
        .size:           4
        .value_kind:     hidden_block_count_x
      - .offset:         44
        .size:           4
        .value_kind:     hidden_block_count_y
      - .offset:         48
        .size:           4
        .value_kind:     hidden_block_count_z
      - .offset:         52
        .size:           2
        .value_kind:     hidden_group_size_x
      - .offset:         54
        .size:           2
        .value_kind:     hidden_group_size_y
      - .offset:         56
        .size:           2
        .value_kind:     hidden_group_size_z
      - .offset:         58
        .size:           2
        .value_kind:     hidden_remainder_x
      - .offset:         60
        .size:           2
        .value_kind:     hidden_remainder_y
      - .offset:         62
        .size:           2
        .value_kind:     hidden_remainder_z
      - .offset:         80
        .size:           8
        .value_kind:     hidden_global_offset_x
      - .offset:         88
        .size:           8
        .value_kind:     hidden_global_offset_y
      - .offset:         96
        .size:           8
        .value_kind:     hidden_global_offset_z
      - .offset:         104
        .size:           2
        .value_kind:     hidden_grid_dims
    .group_segment_fixed_size: 0
    .kernarg_segment_align: 8
    .kernarg_segment_size: 296
    .language:       OpenCL C
    .language_version:
      - 2
      - 0
    .max_flat_workgroup_size: 1024
    .name:           _ZN9rocsolver6v33100L9copymatA1I19rocblas_complex_numIfEPKPS3_EEviiT0_iilPT_
    .private_segment_fixed_size: 0
    .sgpr_count:     20
    .sgpr_spill_count: 0
    .symbol:         _ZN9rocsolver6v33100L9copymatA1I19rocblas_complex_numIfEPKPS3_EEviiT0_iilPT_.kd
    .uniform_work_group_size: 1
    .uses_dynamic_stack: false
    .vgpr_count:     6
    .vgpr_spill_count: 0
    .wavefront_size: 64
  - .agpr_count:     0
    .args:
      - .offset:         0
        .size:           4
        .value_kind:     by_value
      - .offset:         4
        .size:           4
        .value_kind:     by_value
      - .address_space:  global
        .offset:         8
        .size:           8
        .value_kind:     global_buffer
      - .offset:         16
        .size:           4
        .value_kind:     by_value
      - .offset:         20
        .size:           4
        .value_kind:     by_value
      - .offset:         24
        .size:           8
        .value_kind:     by_value
      - .address_space:  global
        .offset:         32
        .size:           8
        .value_kind:     global_buffer
      - .offset:         40
        .size:           4
        .value_kind:     hidden_block_count_x
      - .offset:         44
        .size:           4
        .value_kind:     hidden_block_count_y
      - .offset:         48
        .size:           4
        .value_kind:     hidden_block_count_z
      - .offset:         52
        .size:           2
        .value_kind:     hidden_group_size_x
      - .offset:         54
        .size:           2
        .value_kind:     hidden_group_size_y
      - .offset:         56
        .size:           2
        .value_kind:     hidden_group_size_z
      - .offset:         58
        .size:           2
        .value_kind:     hidden_remainder_x
      - .offset:         60
        .size:           2
        .value_kind:     hidden_remainder_y
      - .offset:         62
        .size:           2
        .value_kind:     hidden_remainder_z
      - .offset:         80
        .size:           8
        .value_kind:     hidden_global_offset_x
      - .offset:         88
        .size:           8
        .value_kind:     hidden_global_offset_y
      - .offset:         96
        .size:           8
        .value_kind:     hidden_global_offset_z
      - .offset:         104
        .size:           2
        .value_kind:     hidden_grid_dims
    .group_segment_fixed_size: 0
    .kernarg_segment_align: 8
    .kernarg_segment_size: 296
    .language:       OpenCL C
    .language_version:
      - 2
      - 0
    .max_flat_workgroup_size: 1024
    .name:           _ZN9rocsolver6v33100L8addmatA1I19rocblas_complex_numIfEPKPS3_EEviiT0_iilPT_
    .private_segment_fixed_size: 0
    .sgpr_count:     18
    .sgpr_spill_count: 0
    .symbol:         _ZN9rocsolver6v33100L8addmatA1I19rocblas_complex_numIfEPKPS3_EEviiT0_iilPT_.kd
    .uniform_work_group_size: 1
    .uses_dynamic_stack: false
    .vgpr_count:     8
    .vgpr_spill_count: 0
    .wavefront_size: 64
  - .agpr_count:     0
    .args:
      - .address_space:  global
        .offset:         0
        .size:           8
        .value_kind:     global_buffer
      - .offset:         8
        .size:           8
        .value_kind:     by_value
      - .offset:         16
        .size:           8
        .value_kind:     by_value
      - .address_space:  global
        .offset:         24
        .size:           8
        .value_kind:     global_buffer
      - .offset:         32
        .size:           8
        .value_kind:     by_value
      - .offset:         40
        .size:           4
        .value_kind:     by_value
      - .offset:         48
        .size:           8
        .value_kind:     by_value
      - .offset:         56
        .size:           4
        .value_kind:     by_value
      - .offset:         60
        .size:           1
        .value_kind:     by_value
      - .offset:         64
        .size:           4
        .value_kind:     hidden_block_count_x
      - .offset:         68
        .size:           4
        .value_kind:     hidden_block_count_y
      - .offset:         72
        .size:           4
        .value_kind:     hidden_block_count_z
      - .offset:         76
        .size:           2
        .value_kind:     hidden_group_size_x
      - .offset:         78
        .size:           2
        .value_kind:     hidden_group_size_y
      - .offset:         80
        .size:           2
        .value_kind:     hidden_group_size_z
      - .offset:         82
        .size:           2
        .value_kind:     hidden_remainder_x
      - .offset:         84
        .size:           2
        .value_kind:     hidden_remainder_y
      - .offset:         86
        .size:           2
        .value_kind:     hidden_remainder_z
      - .offset:         104
        .size:           8
        .value_kind:     hidden_global_offset_x
      - .offset:         112
        .size:           8
        .value_kind:     hidden_global_offset_y
      - .offset:         120
        .size:           8
        .value_kind:     hidden_global_offset_z
      - .offset:         128
        .size:           2
        .value_kind:     hidden_grid_dims
    .group_segment_fixed_size: 0
    .kernarg_segment_align: 8
    .kernarg_segment_size: 320
    .language:       OpenCL C
    .language_version:
      - 2
      - 0
    .max_flat_workgroup_size: 1024
    .name:           _ZN9rocsolver6v33100L8set_diagI19rocblas_complex_numIfEiS3_PKPS3_TnNSt9enable_ifIXoont18rocblas_is_complexIT_E18rocblas_is_complexIT1_EEiE4typeELi0EEEvPS9_llT2_lT0_lSE_b
    .private_segment_fixed_size: 0
    .sgpr_count:     23
    .sgpr_spill_count: 0
    .symbol:         _ZN9rocsolver6v33100L8set_diagI19rocblas_complex_numIfEiS3_PKPS3_TnNSt9enable_ifIXoont18rocblas_is_complexIT_E18rocblas_is_complexIT1_EEiE4typeELi0EEEvPS9_llT2_lT0_lSE_b.kd
    .uniform_work_group_size: 1
    .uses_dynamic_stack: false
    .vgpr_count:     7
    .vgpr_spill_count: 0
    .wavefront_size: 64
  - .agpr_count:     0
    .args:
      - .address_space:  global
        .offset:         0
        .size:           8
        .value_kind:     global_buffer
      - .offset:         8
        .size:           8
        .value_kind:     by_value
      - .offset:         16
        .size:           8
        .value_kind:     by_value
      - .address_space:  global
        .offset:         24
        .size:           8
        .value_kind:     global_buffer
      - .offset:         32
        .size:           8
        .value_kind:     by_value
      - .offset:         40
        .size:           4
        .value_kind:     by_value
      - .offset:         48
        .size:           8
        .value_kind:     by_value
      - .offset:         56
        .size:           4
        .value_kind:     by_value
      - .offset:         64
        .size:           4
        .value_kind:     hidden_block_count_x
      - .offset:         68
        .size:           4
        .value_kind:     hidden_block_count_y
      - .offset:         72
        .size:           4
        .value_kind:     hidden_block_count_z
      - .offset:         76
        .size:           2
        .value_kind:     hidden_group_size_x
      - .offset:         78
        .size:           2
        .value_kind:     hidden_group_size_y
      - .offset:         80
        .size:           2
        .value_kind:     hidden_group_size_z
      - .offset:         82
        .size:           2
        .value_kind:     hidden_remainder_x
      - .offset:         84
        .size:           2
        .value_kind:     hidden_remainder_y
      - .offset:         86
        .size:           2
        .value_kind:     hidden_remainder_z
      - .offset:         104
        .size:           8
        .value_kind:     hidden_global_offset_x
      - .offset:         112
        .size:           8
        .value_kind:     hidden_global_offset_y
      - .offset:         120
        .size:           8
        .value_kind:     hidden_global_offset_z
      - .offset:         128
        .size:           2
        .value_kind:     hidden_grid_dims
    .group_segment_fixed_size: 0
    .kernarg_segment_align: 8
    .kernarg_segment_size: 320
    .language:       OpenCL C
    .language_version:
      - 2
      - 0
    .max_flat_workgroup_size: 1024
    .name:           _ZN9rocsolver6v33100L12restore_diagI19rocblas_complex_numIfEiS3_PKPS3_EEvPT1_llT2_lT0_lSA_
    .private_segment_fixed_size: 0
    .sgpr_count:     21
    .sgpr_spill_count: 0
    .symbol:         _ZN9rocsolver6v33100L12restore_diagI19rocblas_complex_numIfEiS3_PKPS3_EEvPT1_llT2_lT0_lSA_.kd
    .uniform_work_group_size: 1
    .uses_dynamic_stack: false
    .vgpr_count:     5
    .vgpr_spill_count: 0
    .wavefront_size: 64
  - .agpr_count:     0
    .args:
      - .offset:         0
        .size:           4
        .value_kind:     by_value
      - .offset:         4
        .size:           4
        .value_kind:     by_value
      - .address_space:  global
        .offset:         8
        .size:           8
        .value_kind:     global_buffer
      - .offset:         16
        .size:           4
        .value_kind:     by_value
      - .offset:         20
        .size:           4
        .value_kind:     by_value
      - .offset:         24
        .size:           8
        .value_kind:     by_value
      - .offset:         32
        .size:           4
        .value_kind:     by_value
      - .offset:         40
        .size:           4
        .value_kind:     hidden_block_count_x
      - .offset:         44
        .size:           4
        .value_kind:     hidden_block_count_y
      - .offset:         48
        .size:           4
        .value_kind:     hidden_block_count_z
      - .offset:         52
        .size:           2
        .value_kind:     hidden_group_size_x
      - .offset:         54
        .size:           2
        .value_kind:     hidden_group_size_y
      - .offset:         56
        .size:           2
        .value_kind:     hidden_group_size_z
      - .offset:         58
        .size:           2
        .value_kind:     hidden_remainder_x
      - .offset:         60
        .size:           2
        .value_kind:     hidden_remainder_y
      - .offset:         62
        .size:           2
        .value_kind:     hidden_remainder_z
      - .offset:         80
        .size:           8
        .value_kind:     hidden_global_offset_x
      - .offset:         88
        .size:           8
        .value_kind:     hidden_global_offset_y
      - .offset:         96
        .size:           8
        .value_kind:     hidden_global_offset_z
      - .offset:         104
        .size:           2
        .value_kind:     hidden_grid_dims
    .group_segment_fixed_size: 0
    .kernarg_segment_align: 8
    .kernarg_segment_size: 296
    .language:       OpenCL C
    .language_version:
      - 2
      - 0
    .max_flat_workgroup_size: 1024
    .name:           _ZN9rocsolver6v33100L8set_zeroI19rocblas_complex_numIfEPKPS3_EEviiT0_iil13rocblas_fill_
    .private_segment_fixed_size: 0
    .sgpr_count:     14
    .sgpr_spill_count: 0
    .symbol:         _ZN9rocsolver6v33100L8set_zeroI19rocblas_complex_numIfEPKPS3_EEviiT0_iil13rocblas_fill_.kd
    .uniform_work_group_size: 1
    .uses_dynamic_stack: false
    .vgpr_count:     4
    .vgpr_spill_count: 0
    .wavefront_size: 64
  - .agpr_count:     0
    .args:
      - .offset:         0
        .size:           4
        .value_kind:     by_value
      - .offset:         4
        .size:           4
        .value_kind:     by_value
      - .offset:         8
        .size:           4
        .value_kind:     by_value
      - .address_space:  global
        .offset:         16
        .size:           8
        .value_kind:     global_buffer
      - .offset:         24
        .size:           4
        .value_kind:     by_value
      - .offset:         28
        .size:           4
        .value_kind:     by_value
      - .offset:         32
        .size:           8
        .value_kind:     by_value
      - .offset:         40
        .size:           4
        .value_kind:     hidden_block_count_x
      - .offset:         44
        .size:           4
        .value_kind:     hidden_block_count_y
      - .offset:         48
        .size:           4
        .value_kind:     hidden_block_count_z
      - .offset:         52
        .size:           2
        .value_kind:     hidden_group_size_x
      - .offset:         54
        .size:           2
        .value_kind:     hidden_group_size_y
      - .offset:         56
        .size:           2
        .value_kind:     hidden_group_size_z
      - .offset:         58
        .size:           2
        .value_kind:     hidden_remainder_x
      - .offset:         60
        .size:           2
        .value_kind:     hidden_remainder_y
      - .offset:         62
        .size:           2
        .value_kind:     hidden_remainder_z
      - .offset:         80
        .size:           8
        .value_kind:     hidden_global_offset_x
      - .offset:         88
        .size:           8
        .value_kind:     hidden_global_offset_y
      - .offset:         96
        .size:           8
        .value_kind:     hidden_global_offset_z
      - .offset:         104
        .size:           2
        .value_kind:     hidden_grid_dims
    .group_segment_fixed_size: 0
    .kernarg_segment_align: 8
    .kernarg_segment_size: 296
    .language:       OpenCL C
    .language_version:
      - 2
      - 0
    .max_flat_workgroup_size: 1024
    .name:           _ZN9rocsolver6v33100L16org2r_init_identI19rocblas_complex_numIfEPKPS3_EEviiiT0_iil
    .private_segment_fixed_size: 0
    .sgpr_count:     20
    .sgpr_spill_count: 0
    .symbol:         _ZN9rocsolver6v33100L16org2r_init_identI19rocblas_complex_numIfEPKPS3_EEviiiT0_iil.kd
    .uniform_work_group_size: 1
    .uses_dynamic_stack: false
    .vgpr_count:     6
    .vgpr_spill_count: 0
    .wavefront_size: 64
  - .agpr_count:     0
    .args:
      - .offset:         0
        .size:           4
        .value_kind:     by_value
      - .offset:         4
        .size:           4
        .value_kind:     by_value
      - .address_space:  global
        .offset:         8
        .size:           8
        .value_kind:     global_buffer
      - .offset:         16
        .size:           4
        .value_kind:     by_value
      - .offset:         20
        .size:           4
        .value_kind:     by_value
      - .offset:         24
        .size:           8
        .value_kind:     by_value
      - .address_space:  global
        .offset:         32
        .size:           8
        .value_kind:     global_buffer
      - .offset:         40
        .size:           8
        .value_kind:     by_value
    .group_segment_fixed_size: 0
    .kernarg_segment_align: 8
    .kernarg_segment_size: 48
    .language:       OpenCL C
    .language_version:
      - 2
      - 0
    .max_flat_workgroup_size: 1024
    .name:           _ZN9rocsolver6v33100L12subtract_tauI19rocblas_complex_numIfEPKPS3_EEviiT0_iilPT_l
    .private_segment_fixed_size: 0
    .sgpr_count:     20
    .sgpr_spill_count: 0
    .symbol:         _ZN9rocsolver6v33100L12subtract_tauI19rocblas_complex_numIfEPKPS3_EEviiT0_iilPT_l.kd
    .uniform_work_group_size: 1
    .uses_dynamic_stack: false
    .vgpr_count:     3
    .vgpr_spill_count: 0
    .wavefront_size: 64
  - .agpr_count:     0
    .args:
      - .offset:         0
        .size:           4
        .value_kind:     by_value
      - .address_space:  global
        .offset:         8
        .size:           8
        .value_kind:     global_buffer
      - .offset:         16
        .size:           8
        .value_kind:     by_value
      - .offset:         24
        .size:           4
        .value_kind:     hidden_block_count_x
      - .offset:         28
        .size:           4
        .value_kind:     hidden_block_count_y
      - .offset:         32
        .size:           4
        .value_kind:     hidden_block_count_z
      - .offset:         36
        .size:           2
        .value_kind:     hidden_group_size_x
      - .offset:         38
        .size:           2
        .value_kind:     hidden_group_size_y
      - .offset:         40
        .size:           2
        .value_kind:     hidden_group_size_z
      - .offset:         42
        .size:           2
        .value_kind:     hidden_remainder_x
      - .offset:         44
        .size:           2
        .value_kind:     hidden_remainder_y
      - .offset:         46
        .size:           2
        .value_kind:     hidden_remainder_z
      - .offset:         64
        .size:           8
        .value_kind:     hidden_global_offset_x
      - .offset:         72
        .size:           8
        .value_kind:     hidden_global_offset_y
      - .offset:         80
        .size:           8
        .value_kind:     hidden_global_offset_z
      - .offset:         88
        .size:           2
        .value_kind:     hidden_grid_dims
    .group_segment_fixed_size: 0
    .kernarg_segment_align: 8
    .kernarg_segment_size: 280
    .language:       OpenCL C
    .language_version:
      - 2
      - 0
    .max_flat_workgroup_size: 1024
    .name:           _ZN9rocsolver6v33100L6restauI19rocblas_complex_numIfEEEviPT_l
    .private_segment_fixed_size: 0
    .sgpr_count:     12
    .sgpr_spill_count: 0
    .symbol:         _ZN9rocsolver6v33100L6restauI19rocblas_complex_numIfEEEviPT_l.kd
    .uniform_work_group_size: 1
    .uses_dynamic_stack: false
    .vgpr_count:     4
    .vgpr_spill_count: 0
    .wavefront_size: 64
  - .agpr_count:     0
    .args:
      - .offset:         0
        .size:           1
        .value_kind:     by_value
      - .offset:         4
        .size:           4
        .value_kind:     by_value
      - .address_space:  global
        .offset:         8
        .size:           8
        .value_kind:     global_buffer
      - .offset:         16
        .size:           4
        .value_kind:     by_value
      - .offset:         20
        .size:           4
        .value_kind:     by_value
      - .offset:         24
        .size:           8
        .value_kind:     by_value
      - .address_space:  global
        .offset:         32
        .size:           8
        .value_kind:     global_buffer
      - .offset:         40
        .size:           4
        .value_kind:     by_value
      - .offset:         44
        .size:           4
        .value_kind:     by_value
      - .offset:         48
        .size:           8
        .value_kind:     by_value
      - .offset:         56
        .size:           4
        .value_kind:     hidden_block_count_x
      - .offset:         60
        .size:           4
        .value_kind:     hidden_block_count_y
      - .offset:         64
        .size:           4
        .value_kind:     hidden_block_count_z
      - .offset:         68
        .size:           2
        .value_kind:     hidden_group_size_x
      - .offset:         70
        .size:           2
        .value_kind:     hidden_group_size_y
      - .offset:         72
        .size:           2
        .value_kind:     hidden_group_size_z
      - .offset:         74
        .size:           2
        .value_kind:     hidden_remainder_x
      - .offset:         76
        .size:           2
        .value_kind:     hidden_remainder_y
      - .offset:         78
        .size:           2
        .value_kind:     hidden_remainder_z
      - .offset:         96
        .size:           8
        .value_kind:     hidden_global_offset_x
      - .offset:         104
        .size:           8
        .value_kind:     hidden_global_offset_y
      - .offset:         112
        .size:           8
        .value_kind:     hidden_global_offset_z
      - .offset:         120
        .size:           2
        .value_kind:     hidden_grid_dims
    .group_segment_fixed_size: 0
    .kernarg_segment_align: 8
    .kernarg_segment_size: 312
    .language:       OpenCL C
    .language_version:
      - 2
      - 0
    .max_flat_workgroup_size: 1024
    .name:           _ZN9rocsolver6v33100L15copyshift_rightI19rocblas_complex_numIfEPKPS3_EEvbiT0_iilPT_iil
    .private_segment_fixed_size: 0
    .sgpr_count:     21
    .sgpr_spill_count: 0
    .symbol:         _ZN9rocsolver6v33100L15copyshift_rightI19rocblas_complex_numIfEPKPS3_EEvbiT0_iilPT_iil.kd
    .uniform_work_group_size: 1
    .uses_dynamic_stack: false
    .vgpr_count:     11
    .vgpr_spill_count: 0
    .wavefront_size: 64
  - .agpr_count:     0
    .args:
      - .offset:         0
        .size:           4
        .value_kind:     by_value
      - .offset:         4
        .size:           4
        .value_kind:     by_value
      - .offset:         8
        .size:           4
        .value_kind:     by_value
      - .address_space:  global
        .offset:         16
        .size:           8
        .value_kind:     global_buffer
      - .offset:         24
        .size:           4
        .value_kind:     by_value
      - .offset:         28
        .size:           4
        .value_kind:     by_value
      - .offset:         32
        .size:           8
        .value_kind:     by_value
      - .offset:         40
        .size:           4
        .value_kind:     hidden_block_count_x
      - .offset:         44
        .size:           4
        .value_kind:     hidden_block_count_y
      - .offset:         48
        .size:           4
        .value_kind:     hidden_block_count_z
      - .offset:         52
        .size:           2
        .value_kind:     hidden_group_size_x
      - .offset:         54
        .size:           2
        .value_kind:     hidden_group_size_y
      - .offset:         56
        .size:           2
        .value_kind:     hidden_group_size_z
      - .offset:         58
        .size:           2
        .value_kind:     hidden_remainder_x
      - .offset:         60
        .size:           2
        .value_kind:     hidden_remainder_y
      - .offset:         62
        .size:           2
        .value_kind:     hidden_remainder_z
      - .offset:         80
        .size:           8
        .value_kind:     hidden_global_offset_x
      - .offset:         88
        .size:           8
        .value_kind:     hidden_global_offset_y
      - .offset:         96
        .size:           8
        .value_kind:     hidden_global_offset_z
      - .offset:         104
        .size:           2
        .value_kind:     hidden_grid_dims
    .group_segment_fixed_size: 0
    .kernarg_segment_align: 8
    .kernarg_segment_size: 296
    .language:       OpenCL C
    .language_version:
      - 2
      - 0
    .max_flat_workgroup_size: 1024
    .name:           _ZN9rocsolver6v33100L16orgl2_init_identI19rocblas_complex_numIfEPKPS3_EEviiiT0_iil
    .private_segment_fixed_size: 0
    .sgpr_count:     20
    .sgpr_spill_count: 0
    .symbol:         _ZN9rocsolver6v33100L16orgl2_init_identI19rocblas_complex_numIfEPKPS3_EEviiiT0_iil.kd
    .uniform_work_group_size: 1
    .uses_dynamic_stack: false
    .vgpr_count:     6
    .vgpr_spill_count: 0
    .wavefront_size: 64
  - .agpr_count:     0
    .args:
      - .offset:         0
        .size:           1
        .value_kind:     by_value
      - .offset:         4
        .size:           4
        .value_kind:     by_value
      - .address_space:  global
        .offset:         8
        .size:           8
        .value_kind:     global_buffer
      - .offset:         16
        .size:           4
        .value_kind:     by_value
      - .offset:         20
        .size:           4
        .value_kind:     by_value
      - .offset:         24
        .size:           8
        .value_kind:     by_value
      - .address_space:  global
        .offset:         32
        .size:           8
        .value_kind:     global_buffer
      - .offset:         40
        .size:           4
        .value_kind:     by_value
      - .offset:         44
        .size:           4
        .value_kind:     by_value
      - .offset:         48
        .size:           8
        .value_kind:     by_value
      - .offset:         56
        .size:           4
        .value_kind:     hidden_block_count_x
      - .offset:         60
        .size:           4
        .value_kind:     hidden_block_count_y
      - .offset:         64
        .size:           4
        .value_kind:     hidden_block_count_z
      - .offset:         68
        .size:           2
        .value_kind:     hidden_group_size_x
      - .offset:         70
        .size:           2
        .value_kind:     hidden_group_size_y
      - .offset:         72
        .size:           2
        .value_kind:     hidden_group_size_z
      - .offset:         74
        .size:           2
        .value_kind:     hidden_remainder_x
      - .offset:         76
        .size:           2
        .value_kind:     hidden_remainder_y
      - .offset:         78
        .size:           2
        .value_kind:     hidden_remainder_z
      - .offset:         96
        .size:           8
        .value_kind:     hidden_global_offset_x
      - .offset:         104
        .size:           8
        .value_kind:     hidden_global_offset_y
      - .offset:         112
        .size:           8
        .value_kind:     hidden_global_offset_z
      - .offset:         120
        .size:           2
        .value_kind:     hidden_grid_dims
    .group_segment_fixed_size: 0
    .kernarg_segment_align: 8
    .kernarg_segment_size: 312
    .language:       OpenCL C
    .language_version:
      - 2
      - 0
    .max_flat_workgroup_size: 1024
    .name:           _ZN9rocsolver6v33100L14copyshift_downI19rocblas_complex_numIfEPKPS3_EEvbiT0_iilPT_iil
    .private_segment_fixed_size: 0
    .sgpr_count:     21
    .sgpr_spill_count: 0
    .symbol:         _ZN9rocsolver6v33100L14copyshift_downI19rocblas_complex_numIfEPKPS3_EEvbiT0_iilPT_iil.kd
    .uniform_work_group_size: 1
    .uses_dynamic_stack: false
    .vgpr_count:     10
    .vgpr_spill_count: 0
    .wavefront_size: 64
  - .agpr_count:     0
    .args:
      - .offset:         0
        .size:           4
        .value_kind:     by_value
      - .address_space:  global
        .offset:         8
        .size:           8
        .value_kind:     global_buffer
      - .offset:         16
        .size:           8
        .value_kind:     by_value
      - .address_space:  global
        .offset:         24
        .size:           8
        .value_kind:     global_buffer
      - .offset:         32
        .size:           8
        .value_kind:     by_value
      - .address_space:  global
        .offset:         40
        .size:           8
        .value_kind:     global_buffer
      - .offset:         48
        .size:           4
        .value_kind:     by_value
      - .offset:         52
        .size:           4
        .value_kind:     by_value
      - .offset:         56
        .size:           4
        .value_kind:     by_value
      - .address_space:  global
        .offset:         64
        .size:           8
        .value_kind:     global_buffer
      - .address_space:  global
        .offset:         72
        .size:           8
        .value_kind:     global_buffer
      - .offset:         80
        .size:           8
        .value_kind:     by_value
      - .address_space:  global
        .offset:         88
        .size:           8
        .value_kind:     global_buffer
    .group_segment_fixed_size: 0
    .kernarg_segment_align: 8
    .kernarg_segment_size: 96
    .language:       OpenCL C
    .language_version:
      - 2
      - 0
    .max_flat_workgroup_size: 1024
    .name:           _ZN9rocsolver6v33100L10bdsqr_initI19rocblas_complex_numIfEfEEviPT0_lS5_lPiiS4_S4_S6_S5_lS6_
    .private_segment_fixed_size: 0
    .sgpr_count:     40
    .sgpr_spill_count: 0
    .symbol:         _ZN9rocsolver6v33100L10bdsqr_initI19rocblas_complex_numIfEfEEviPT0_lS5_lPiiS4_S4_S6_S5_lS6_.kd
    .uniform_work_group_size: 1
    .uses_dynamic_stack: false
    .vgpr_count:     12
    .vgpr_spill_count: 0
    .wavefront_size: 64
  - .agpr_count:     0
    .args:
      - .offset:         0
        .size:           4
        .value_kind:     by_value
      - .address_space:  global
        .offset:         8
        .size:           8
        .value_kind:     global_buffer
      - .offset:         16
        .size:           4
        .value_kind:     by_value
      - .address_space:  global
        .offset:         24
        .size:           8
        .value_kind:     global_buffer
      - .offset:         32
        .size:           4
        .value_kind:     by_value
      - .offset:         40
        .size:           4
        .value_kind:     hidden_block_count_x
      - .offset:         44
        .size:           4
        .value_kind:     hidden_block_count_y
      - .offset:         48
        .size:           4
        .value_kind:     hidden_block_count_z
      - .offset:         52
        .size:           2
        .value_kind:     hidden_group_size_x
      - .offset:         54
        .size:           2
        .value_kind:     hidden_group_size_y
      - .offset:         56
        .size:           2
        .value_kind:     hidden_group_size_z
      - .offset:         58
        .size:           2
        .value_kind:     hidden_remainder_x
      - .offset:         60
        .size:           2
        .value_kind:     hidden_remainder_y
      - .offset:         62
        .size:           2
        .value_kind:     hidden_remainder_z
      - .offset:         80
        .size:           8
        .value_kind:     hidden_global_offset_x
      - .offset:         88
        .size:           8
        .value_kind:     hidden_global_offset_y
      - .offset:         96
        .size:           8
        .value_kind:     hidden_global_offset_z
      - .offset:         104
        .size:           2
        .value_kind:     hidden_grid_dims
    .group_segment_fixed_size: 0
    .kernarg_segment_align: 8
    .kernarg_segment_size: 296
    .language:       OpenCL C
    .language_version:
      - 2
      - 0
    .max_flat_workgroup_size: 1024
    .name:           _ZN9rocsolver6v33100L11swap_kernelI19rocblas_complex_numIfEiEEvT0_PT_S4_S6_S4_
    .private_segment_fixed_size: 0
    .sgpr_count:     21
    .sgpr_spill_count: 0
    .symbol:         _ZN9rocsolver6v33100L11swap_kernelI19rocblas_complex_numIfEiEEvT0_PT_S4_S6_S4_.kd
    .uniform_work_group_size: 1
    .uses_dynamic_stack: false
    .vgpr_count:     14
    .vgpr_spill_count: 0
    .wavefront_size: 64
  - .agpr_count:     0
    .args:
      - .offset:         0
        .size:           4
        .value_kind:     by_value
      - .address_space:  global
        .offset:         8
        .size:           8
        .value_kind:     global_buffer
      - .offset:         16
        .size:           4
        .value_kind:     by_value
      - .address_space:  global
        .offset:         24
        .size:           8
        .value_kind:     global_buffer
      - .offset:         32
        .size:           4
        .value_kind:     by_value
      - .offset:         36
        .size:           4
        .value_kind:     by_value
      - .offset:         40
        .size:           4
        .value_kind:     by_value
      - .offset:         48
        .size:           4
        .value_kind:     hidden_block_count_x
      - .offset:         52
        .size:           4
        .value_kind:     hidden_block_count_y
      - .offset:         56
        .size:           4
        .value_kind:     hidden_block_count_z
      - .offset:         60
        .size:           2
        .value_kind:     hidden_group_size_x
      - .offset:         62
        .size:           2
        .value_kind:     hidden_group_size_y
      - .offset:         64
        .size:           2
        .value_kind:     hidden_group_size_z
      - .offset:         66
        .size:           2
        .value_kind:     hidden_remainder_x
      - .offset:         68
        .size:           2
        .value_kind:     hidden_remainder_y
      - .offset:         70
        .size:           2
        .value_kind:     hidden_remainder_z
      - .offset:         88
        .size:           8
        .value_kind:     hidden_global_offset_x
      - .offset:         96
        .size:           8
        .value_kind:     hidden_global_offset_y
      - .offset:         104
        .size:           8
        .value_kind:     hidden_global_offset_z
      - .offset:         112
        .size:           2
        .value_kind:     hidden_grid_dims
    .group_segment_fixed_size: 0
    .kernarg_segment_align: 8
    .kernarg_segment_size: 304
    .language:       OpenCL C
    .language_version:
      - 2
      - 0
    .max_flat_workgroup_size: 1024
    .name:           _ZN9rocsolver6v33100L10rot_kernelIf19rocblas_complex_numIfEiEEvT1_PT0_S4_S6_S4_T_S7_
    .private_segment_fixed_size: 0
    .sgpr_count:     27
    .sgpr_spill_count: 0
    .symbol:         _ZN9rocsolver6v33100L10rot_kernelIf19rocblas_complex_numIfEiEEvT1_PT0_S4_S6_S4_T_S7_.kd
    .uniform_work_group_size: 1
    .uses_dynamic_stack: false
    .vgpr_count:     18
    .vgpr_spill_count: 0
    .wavefront_size: 64
  - .agpr_count:     0
    .args:
      - .offset:         0
        .size:           4
        .value_kind:     by_value
      - .offset:         4
        .size:           4
        .value_kind:     by_value
      - .offset:         8
        .size:           4
        .value_kind:     by_value
      - .offset:         12
        .size:           4
        .value_kind:     by_value
      - .offset:         16
        .size:           4
        .value_kind:     by_value
      - .address_space:  global
        .offset:         24
        .size:           8
        .value_kind:     global_buffer
      - .offset:         32
        .size:           8
        .value_kind:     by_value
      - .address_space:  global
        .offset:         40
        .size:           8
        .value_kind:     global_buffer
      - .offset:         48
        .size:           8
        .value_kind:     by_value
      - .address_space:  global
        .offset:         56
        .size:           8
        .value_kind:     global_buffer
      - .offset:         64
        .size:           8
        .value_kind:     by_value
      - .offset:         72
        .size:           4
        .value_kind:     by_value
      - .offset:         80
        .size:           8
        .value_kind:     by_value
      - .offset:         88
        .size:           4
        .value_kind:     by_value
      - .offset:         96
        .size:           4
        .value_kind:     hidden_block_count_x
      - .offset:         100
        .size:           4
        .value_kind:     hidden_block_count_y
      - .offset:         104
        .size:           4
        .value_kind:     hidden_block_count_z
      - .offset:         108
        .size:           2
        .value_kind:     hidden_group_size_x
      - .offset:         110
        .size:           2
        .value_kind:     hidden_group_size_y
      - .offset:         112
        .size:           2
        .value_kind:     hidden_group_size_z
      - .offset:         114
        .size:           2
        .value_kind:     hidden_remainder_x
      - .offset:         116
        .size:           2
        .value_kind:     hidden_remainder_y
      - .offset:         118
        .size:           2
        .value_kind:     hidden_remainder_z
      - .offset:         136
        .size:           8
        .value_kind:     hidden_global_offset_x
      - .offset:         144
        .size:           8
        .value_kind:     hidden_global_offset_y
      - .offset:         152
        .size:           8
        .value_kind:     hidden_global_offset_z
      - .offset:         160
        .size:           2
        .value_kind:     hidden_grid_dims
    .group_segment_fixed_size: 0
    .kernarg_segment_align: 8
    .kernarg_segment_size: 352
    .language:       OpenCL C
    .language_version:
      - 2
      - 0
    .max_flat_workgroup_size: 64
    .name:           _ZN9rocsolver6v33100L11lasr_kernelI19rocblas_complex_numIfEfPS3_iEEv13rocblas_side_14rocblas_pivot_15rocblas_direct_T2_S8_PT0_lSA_lT1_lS8_lS8_
    .private_segment_fixed_size: 0
    .sgpr_count:     100
    .sgpr_spill_count: 10
    .symbol:         _ZN9rocsolver6v33100L11lasr_kernelI19rocblas_complex_numIfEfPS3_iEEv13rocblas_side_14rocblas_pivot_15rocblas_direct_T2_S8_PT0_lSA_lT1_lS8_lS8_.kd
    .uniform_work_group_size: 1
    .uses_dynamic_stack: false
    .vgpr_count:     49
    .vgpr_spill_count: 0
    .wavefront_size: 64
  - .agpr_count:     0
    .args:
      - .offset:         0
        .size:           4
        .value_kind:     by_value
      - .offset:         4
        .size:           4
        .value_kind:     by_value
      - .address_space:  global
        .offset:         8
        .size:           8
        .value_kind:     global_buffer
      - .offset:         16
        .size:           4
        .value_kind:     by_value
      - .offset:         24
        .size:           4
        .value_kind:     hidden_block_count_x
      - .offset:         28
        .size:           4
        .value_kind:     hidden_block_count_y
      - .offset:         32
        .size:           4
        .value_kind:     hidden_block_count_z
      - .offset:         36
        .size:           2
        .value_kind:     hidden_group_size_x
      - .offset:         38
        .size:           2
        .value_kind:     hidden_group_size_y
      - .offset:         40
        .size:           2
        .value_kind:     hidden_group_size_z
      - .offset:         42
        .size:           2
        .value_kind:     hidden_remainder_x
      - .offset:         44
        .size:           2
        .value_kind:     hidden_remainder_y
      - .offset:         46
        .size:           2
        .value_kind:     hidden_remainder_z
      - .offset:         64
        .size:           8
        .value_kind:     hidden_global_offset_x
      - .offset:         72
        .size:           8
        .value_kind:     hidden_global_offset_y
      - .offset:         80
        .size:           8
        .value_kind:     hidden_global_offset_z
      - .offset:         88
        .size:           2
        .value_kind:     hidden_grid_dims
    .group_segment_fixed_size: 0
    .kernarg_segment_align: 8
    .kernarg_segment_size: 280
    .language:       OpenCL C
    .language_version:
      - 2
      - 0
    .max_flat_workgroup_size: 1024
    .name:           _ZN9rocsolver6v33100L11scal_kernelIf19rocblas_complex_numIfEiEEvT1_T_PT0_S4_
    .private_segment_fixed_size: 0
    .sgpr_count:     20
    .sgpr_spill_count: 0
    .symbol:         _ZN9rocsolver6v33100L11scal_kernelIf19rocblas_complex_numIfEiEEvT1_T_PT0_S4_.kd
    .uniform_work_group_size: 1
    .uses_dynamic_stack: false
    .vgpr_count:     8
    .vgpr_spill_count: 0
    .wavefront_size: 64
  - .agpr_count:     0
    .args:
      - .offset:         0
        .size:           4
        .value_kind:     by_value
      - .offset:         4
        .size:           4
        .value_kind:     by_value
      - .offset:         8
        .size:           4
        .value_kind:     by_value
      - .address_space:  global
        .offset:         16
        .size:           8
        .value_kind:     global_buffer
      - .offset:         24
        .size:           8
        .value_kind:     by_value
      - .address_space:  global
        .offset:         32
        .size:           8
        .value_kind:     global_buffer
      - .offset:         40
        .size:           8
        .value_kind:     by_value
      - .address_space:  global
        .offset:         48
        .size:           8
        .value_kind:     global_buffer
      - .offset:         56
        .size:           4
        .value_kind:     by_value
      - .offset:         60
        .size:           4
        .value_kind:     by_value
      - .offset:         64
        .size:           8
        .value_kind:     by_value
      - .address_space:  global
        .offset:         72
        .size:           8
        .value_kind:     global_buffer
      - .offset:         80
        .size:           4
        .value_kind:     by_value
      - .offset:         84
        .size:           4
        .value_kind:     by_value
      - .offset:         88
        .size:           8
        .value_kind:     by_value
      - .address_space:  global
        .offset:         96
        .size:           8
        .value_kind:     global_buffer
      - .address_space:  global
        .offset:         104
        .size:           8
        .value_kind:     global_buffer
      - .offset:         112
        .size:           8
        .value_kind:     by_value
      - .address_space:  global
        .offset:         120
        .size:           8
        .value_kind:     global_buffer
      - .offset:         128
        .size:           4
        .value_kind:     hidden_block_count_x
      - .offset:         132
        .size:           4
        .value_kind:     hidden_block_count_y
      - .offset:         136
        .size:           4
        .value_kind:     hidden_block_count_z
      - .offset:         140
        .size:           2
        .value_kind:     hidden_group_size_x
      - .offset:         142
        .size:           2
        .value_kind:     hidden_group_size_y
      - .offset:         144
        .size:           2
        .value_kind:     hidden_group_size_z
      - .offset:         146
        .size:           2
        .value_kind:     hidden_remainder_x
      - .offset:         148
        .size:           2
        .value_kind:     hidden_remainder_y
      - .offset:         150
        .size:           2
        .value_kind:     hidden_remainder_z
      - .offset:         168
        .size:           8
        .value_kind:     hidden_global_offset_x
      - .offset:         176
        .size:           8
        .value_kind:     hidden_global_offset_y
      - .offset:         184
        .size:           8
        .value_kind:     hidden_global_offset_z
      - .offset:         192
        .size:           2
        .value_kind:     hidden_grid_dims
    .group_segment_fixed_size: 0
    .kernarg_segment_align: 8
    .kernarg_segment_size: 384
    .language:       OpenCL C
    .language_version:
      - 2
      - 0
    .max_flat_workgroup_size: 1024
    .name:           _ZN9rocsolver6v33100L17bdsqr_lower2upperI19rocblas_complex_numIfEfPS3_PKS4_EEviiiPT0_lS8_lT1_iilT2_iilPiS8_lSB_
    .private_segment_fixed_size: 0
    .sgpr_count:     40
    .sgpr_spill_count: 0
    .symbol:         _ZN9rocsolver6v33100L17bdsqr_lower2upperI19rocblas_complex_numIfEfPS3_PKS4_EEviiiPT0_lS8_lT1_iilT2_iilPiS8_lSB_.kd
    .uniform_work_group_size: 1
    .uses_dynamic_stack: false
    .vgpr_count:     22
    .vgpr_spill_count: 0
    .wavefront_size: 64
  - .agpr_count:     0
    .args:
      - .offset:         0
        .size:           4
        .value_kind:     by_value
      - .offset:         4
        .size:           4
        .value_kind:     by_value
      - .offset:         8
        .size:           4
        .value_kind:     by_value
      - .offset:         12
        .size:           4
        .value_kind:     by_value
      - .address_space:  global
        .offset:         16
        .size:           8
        .value_kind:     global_buffer
      - .offset:         24
        .size:           8
        .value_kind:     by_value
      - .address_space:  global
        .offset:         32
        .size:           8
        .value_kind:     global_buffer
      - .offset:         40
        .size:           8
        .value_kind:     by_value
      - .address_space:  global
        .offset:         48
        .size:           8
        .value_kind:     global_buffer
      - .offset:         56
        .size:           4
        .value_kind:     by_value
      - .offset:         60
        .size:           4
        .value_kind:     by_value
      - .offset:         64
        .size:           8
        .value_kind:     by_value
      - .address_space:  global
        .offset:         72
        .size:           8
        .value_kind:     global_buffer
      - .offset:         80
        .size:           4
        .value_kind:     by_value
      - .offset:         84
        .size:           4
        .value_kind:     by_value
      - .offset:         88
        .size:           8
        .value_kind:     by_value
      - .address_space:  global
        .offset:         96
        .size:           8
        .value_kind:     global_buffer
      - .offset:         104
        .size:           4
        .value_kind:     by_value
      - .offset:         108
        .size:           4
        .value_kind:     by_value
      - .offset:         112
        .size:           8
        .value_kind:     by_value
      - .offset:         120
        .size:           4
        .value_kind:     by_value
      - .offset:         124
        .size:           4
        .value_kind:     by_value
      - .offset:         128
        .size:           4
        .value_kind:     by_value
      - .offset:         132
        .size:           4
        .value_kind:     by_value
      - .offset:         136
        .size:           4
        .value_kind:     by_value
      - .address_space:  global
        .offset:         144
        .size:           8
        .value_kind:     global_buffer
      - .address_space:  global
        .offset:         152
        .size:           8
        .value_kind:     global_buffer
      - .offset:         160
        .size:           4
        .value_kind:     by_value
      - .offset:         168
        .size:           8
        .value_kind:     by_value
      - .address_space:  global
        .offset:         176
        .size:           8
        .value_kind:     global_buffer
      - .offset:         184
        .size:           4
        .value_kind:     hidden_block_count_x
      - .offset:         188
        .size:           4
        .value_kind:     hidden_block_count_y
      - .offset:         192
        .size:           4
        .value_kind:     hidden_block_count_z
      - .offset:         196
        .size:           2
        .value_kind:     hidden_group_size_x
      - .offset:         198
        .size:           2
        .value_kind:     hidden_group_size_y
      - .offset:         200
        .size:           2
        .value_kind:     hidden_group_size_z
      - .offset:         202
        .size:           2
        .value_kind:     hidden_remainder_x
      - .offset:         204
        .size:           2
        .value_kind:     hidden_remainder_y
      - .offset:         206
        .size:           2
        .value_kind:     hidden_remainder_z
      - .offset:         224
        .size:           8
        .value_kind:     hidden_global_offset_x
      - .offset:         232
        .size:           8
        .value_kind:     hidden_global_offset_y
      - .offset:         240
        .size:           8
        .value_kind:     hidden_global_offset_z
      - .offset:         248
        .size:           2
        .value_kind:     hidden_grid_dims
    .group_segment_fixed_size: 1040
    .kernarg_segment_align: 8
    .kernarg_segment_size: 440
    .language:       OpenCL C
    .language_version:
      - 2
      - 0
    .max_flat_workgroup_size: 1024
    .name:           _ZN9rocsolver6v33100L13bdsqr_computeILi256E19rocblas_complex_numIfEfPKPS3_S4_S6_EEviiiiPT1_lS8_lT2_iilT3_iilT4_iiliS7_S7_S7_S7_PiS8_ilSC_
    .private_segment_fixed_size: 0
    .sgpr_count:     100
    .sgpr_spill_count: 26
    .symbol:         _ZN9rocsolver6v33100L13bdsqr_computeILi256E19rocblas_complex_numIfEfPKPS3_S4_S6_EEviiiiPT1_lS8_lT2_iilT3_iilT4_iiliS7_S7_S7_S7_PiS8_ilSC_.kd
    .uniform_work_group_size: 1
    .uses_dynamic_stack: false
    .vgpr_count:     39
    .vgpr_spill_count: 0
    .wavefront_size: 64
  - .agpr_count:     0
    .args:
      - .offset:         0
        .size:           4
        .value_kind:     by_value
      - .offset:         4
        .size:           4
        .value_kind:     by_value
      - .offset:         8
        .size:           4
        .value_kind:     by_value
      - .offset:         12
        .size:           4
        .value_kind:     by_value
      - .address_space:  global
        .offset:         16
        .size:           8
        .value_kind:     global_buffer
      - .offset:         24
        .size:           4
        .value_kind:     by_value
      - .offset:         28
        .size:           4
        .value_kind:     by_value
      - .offset:         32
        .size:           8
        .value_kind:     by_value
      - .address_space:  global
        .offset:         40
        .size:           8
        .value_kind:     global_buffer
      - .offset:         48
        .size:           4
        .value_kind:     by_value
      - .offset:         52
        .size:           4
        .value_kind:     by_value
      - .offset:         56
        .size:           8
        .value_kind:     by_value
      - .address_space:  global
        .offset:         64
        .size:           8
        .value_kind:     global_buffer
      - .offset:         72
        .size:           4
        .value_kind:     by_value
      - .offset:         76
        .size:           4
        .value_kind:     by_value
      - .offset:         80
        .size:           8
        .value_kind:     by_value
      - .offset:         88
        .size:           4
        .value_kind:     by_value
      - .address_space:  global
        .offset:         96
        .size:           8
        .value_kind:     global_buffer
      - .address_space:  global
        .offset:         104
        .size:           8
        .value_kind:     global_buffer
      - .offset:         112
        .size:           4
        .value_kind:     by_value
      - .offset:         120
        .size:           8
        .value_kind:     by_value
      - .address_space:  global
        .offset:         128
        .size:           8
        .value_kind:     global_buffer
      - .offset:         136
        .size:           4
        .value_kind:     hidden_block_count_x
      - .offset:         140
        .size:           4
        .value_kind:     hidden_block_count_y
      - .offset:         144
        .size:           4
        .value_kind:     hidden_block_count_z
      - .offset:         148
        .size:           2
        .value_kind:     hidden_group_size_x
      - .offset:         150
        .size:           2
        .value_kind:     hidden_group_size_y
      - .offset:         152
        .size:           2
        .value_kind:     hidden_group_size_z
      - .offset:         154
        .size:           2
        .value_kind:     hidden_remainder_x
      - .offset:         156
        .size:           2
        .value_kind:     hidden_remainder_y
      - .offset:         158
        .size:           2
        .value_kind:     hidden_remainder_z
      - .offset:         176
        .size:           8
        .value_kind:     hidden_global_offset_x
      - .offset:         184
        .size:           8
        .value_kind:     hidden_global_offset_y
      - .offset:         192
        .size:           8
        .value_kind:     hidden_global_offset_z
      - .offset:         200
        .size:           2
        .value_kind:     hidden_grid_dims
    .group_segment_fixed_size: 0
    .kernarg_segment_align: 8
    .kernarg_segment_size: 392
    .language:       OpenCL C
    .language_version:
      - 2
      - 0
    .max_flat_workgroup_size: 1024
    .name:           _ZN9rocsolver6v33100L12bdsqr_rotateI19rocblas_complex_numIfEfPKPS3_S4_S6_EEviiiiT1_iilT2_iilT3_iiliPiPT0_ilSA_
    .private_segment_fixed_size: 0
    .sgpr_count:     52
    .sgpr_spill_count: 0
    .symbol:         _ZN9rocsolver6v33100L12bdsqr_rotateI19rocblas_complex_numIfEfPKPS3_S4_S6_EEviiiiT1_iilT2_iilT3_iiliPiPT0_ilSA_.kd
    .uniform_work_group_size: 1
    .uses_dynamic_stack: false
    .vgpr_count:     22
    .vgpr_spill_count: 0
    .wavefront_size: 64
  - .agpr_count:     0
    .args:
      - .offset:         0
        .size:           4
        .value_kind:     by_value
      - .address_space:  global
        .offset:         8
        .size:           8
        .value_kind:     global_buffer
      - .offset:         16
        .size:           8
        .value_kind:     by_value
      - .address_space:  global
        .offset:         24
        .size:           8
        .value_kind:     global_buffer
      - .address_space:  global
        .offset:         32
        .size:           8
        .value_kind:     global_buffer
      - .offset:         40
        .size:           8
        .value_kind:     by_value
      - .address_space:  global
        .offset:         48
        .size:           8
        .value_kind:     global_buffer
      - .offset:         56
        .size:           4
        .value_kind:     hidden_block_count_x
      - .offset:         60
        .size:           4
        .value_kind:     hidden_block_count_y
      - .offset:         64
        .size:           4
        .value_kind:     hidden_block_count_z
      - .offset:         68
        .size:           2
        .value_kind:     hidden_group_size_x
      - .offset:         70
        .size:           2
        .value_kind:     hidden_group_size_y
      - .offset:         72
        .size:           2
        .value_kind:     hidden_group_size_z
      - .offset:         74
        .size:           2
        .value_kind:     hidden_remainder_x
      - .offset:         76
        .size:           2
        .value_kind:     hidden_remainder_y
      - .offset:         78
        .size:           2
        .value_kind:     hidden_remainder_z
      - .offset:         96
        .size:           8
        .value_kind:     hidden_global_offset_x
      - .offset:         104
        .size:           8
        .value_kind:     hidden_global_offset_y
      - .offset:         112
        .size:           8
        .value_kind:     hidden_global_offset_z
      - .offset:         120
        .size:           2
        .value_kind:     hidden_grid_dims
    .group_segment_fixed_size: 0
    .kernarg_segment_align: 8
    .kernarg_segment_size: 312
    .language:       OpenCL C
    .language_version:
      - 2
      - 0
    .max_flat_workgroup_size: 1024
    .name:           _ZN9rocsolver6v33100L22bdsqr_update_endpointsI19rocblas_complex_numIfEfEEviPT0_lPiS5_lS6_
    .private_segment_fixed_size: 0
    .sgpr_count:     30
    .sgpr_spill_count: 0
    .symbol:         _ZN9rocsolver6v33100L22bdsqr_update_endpointsI19rocblas_complex_numIfEfEEviPT0_lPiS5_lS6_.kd
    .uniform_work_group_size: 1
    .uses_dynamic_stack: false
    .vgpr_count:     10
    .vgpr_spill_count: 0
    .wavefront_size: 64
  - .agpr_count:     0
    .args:
      - .offset:         0
        .size:           4
        .value_kind:     by_value
      - .offset:         4
        .size:           4
        .value_kind:     by_value
      - .address_space:  global
        .offset:         8
        .size:           8
        .value_kind:     global_buffer
      - .address_space:  global
        .offset:         16
        .size:           8
        .value_kind:     global_buffer
      - .offset:         24
        .size:           8
        .value_kind:     by_value
      - .address_space:  global
        .offset:         32
        .size:           8
        .value_kind:     global_buffer
    .group_segment_fixed_size: 0
    .kernarg_segment_align: 8
    .kernarg_segment_size: 40
    .language:       OpenCL C
    .language_version:
      - 2
      - 0
    .max_flat_workgroup_size: 1024
    .name:           _ZN9rocsolver6v33100L19bdsqr_chk_completedI19rocblas_complex_numIfEfEEviiPiPT0_lS4_
    .private_segment_fixed_size: 0
    .sgpr_count:     20
    .sgpr_spill_count: 0
    .symbol:         _ZN9rocsolver6v33100L19bdsqr_chk_completedI19rocblas_complex_numIfEfEEviiPiPT0_lS4_.kd
    .uniform_work_group_size: 1
    .uses_dynamic_stack: false
    .vgpr_count:     4
    .vgpr_spill_count: 0
    .wavefront_size: 64
  - .agpr_count:     0
    .args:
      - .offset:         0
        .size:           4
        .value_kind:     by_value
      - .offset:         4
        .size:           4
        .value_kind:     by_value
      - .offset:         8
        .size:           4
        .value_kind:     by_value
      - .offset:         12
        .size:           4
        .value_kind:     by_value
      - .address_space:  global
        .offset:         16
        .size:           8
        .value_kind:     global_buffer
      - .offset:         24
        .size:           8
        .value_kind:     by_value
      - .address_space:  global
        .offset:         32
        .size:           8
        .value_kind:     global_buffer
      - .offset:         40
        .size:           8
        .value_kind:     by_value
      - .address_space:  global
        .offset:         48
        .size:           8
        .value_kind:     global_buffer
      - .offset:         56
        .size:           4
        .value_kind:     by_value
      - .offset:         60
        .size:           4
        .value_kind:     by_value
      - .offset:         64
        .size:           8
        .value_kind:     by_value
      - .address_space:  global
        .offset:         72
        .size:           8
        .value_kind:     global_buffer
      - .offset:         80
        .size:           4
        .value_kind:     by_value
      - .offset:         84
        .size:           4
        .value_kind:     by_value
      - .offset:         88
        .size:           8
        .value_kind:     by_value
      - .address_space:  global
        .offset:         96
        .size:           8
        .value_kind:     global_buffer
      - .offset:         104
        .size:           4
        .value_kind:     by_value
      - .offset:         108
        .size:           4
        .value_kind:     by_value
      - .offset:         112
        .size:           8
        .value_kind:     by_value
      - .address_space:  global
        .offset:         120
        .size:           8
        .value_kind:     global_buffer
      - .address_space:  global
        .offset:         128
        .size:           8
        .value_kind:     global_buffer
      - .address_space:  global
        .offset:         136
        .size:           8
        .value_kind:     global_buffer
      - .offset:         144
        .size:           4
        .value_kind:     hidden_block_count_x
      - .offset:         148
        .size:           4
        .value_kind:     hidden_block_count_y
      - .offset:         152
        .size:           4
        .value_kind:     hidden_block_count_z
      - .offset:         156
        .size:           2
        .value_kind:     hidden_group_size_x
      - .offset:         158
        .size:           2
        .value_kind:     hidden_group_size_y
      - .offset:         160
        .size:           2
        .value_kind:     hidden_group_size_z
      - .offset:         162
        .size:           2
        .value_kind:     hidden_remainder_x
      - .offset:         164
        .size:           2
        .value_kind:     hidden_remainder_y
      - .offset:         166
        .size:           2
        .value_kind:     hidden_remainder_z
      - .offset:         184
        .size:           8
        .value_kind:     hidden_global_offset_x
      - .offset:         192
        .size:           8
        .value_kind:     hidden_global_offset_y
      - .offset:         200
        .size:           8
        .value_kind:     hidden_global_offset_z
      - .offset:         208
        .size:           2
        .value_kind:     hidden_grid_dims
      - .offset:         224
        .size:           8
        .value_kind:     hidden_hostcall_buffer
    .group_segment_fixed_size: 0
    .kernarg_segment_align: 8
    .kernarg_segment_size: 400
    .language:       OpenCL C
    .language_version:
      - 2
      - 0
    .max_flat_workgroup_size: 1024
    .name:           _ZN9rocsolver6v33100L14bdsqr_finalizeI19rocblas_complex_numIfEfPKPS3_S4_S6_EEviiiiPT0_lS8_lT1_iilT2_iilT3_iilPiSC_SC_
    .private_segment_fixed_size: 64
    .sgpr_count:     84
    .sgpr_spill_count: 0
    .symbol:         _ZN9rocsolver6v33100L14bdsqr_finalizeI19rocblas_complex_numIfEfPKPS3_S4_S6_EEviiiiPT0_lS8_lT1_iilT2_iilT3_iilPiSC_SC_.kd
    .uniform_work_group_size: 1
    .uses_dynamic_stack: false
    .vgpr_count:     45
    .vgpr_spill_count: 0
    .wavefront_size: 64
  - .agpr_count:     0
    .args:
      - .offset:         0
        .size:           4
        .value_kind:     by_value
      - .offset:         4
        .size:           4
        .value_kind:     by_value
      - .offset:         8
        .size:           4
        .value_kind:     by_value
      - .address_space:  global
        .offset:         16
        .size:           8
        .value_kind:     global_buffer
      - .offset:         24
        .size:           8
        .value_kind:     by_value
      - .address_space:  global
        .offset:         32
        .size:           8
        .value_kind:     global_buffer
      - .offset:         40
        .size:           8
        .value_kind:     by_value
      - .address_space:  global
        .offset:         48
        .size:           8
        .value_kind:     global_buffer
      - .offset:         56
        .size:           4
        .value_kind:     by_value
      - .offset:         60
        .size:           4
        .value_kind:     by_value
      - .offset:         64
        .size:           8
        .value_kind:     by_value
      - .address_space:  global
        .offset:         72
        .size:           8
        .value_kind:     global_buffer
      - .offset:         80
        .size:           4
        .value_kind:     by_value
      - .offset:         84
        .size:           4
        .value_kind:     by_value
      - .offset:         88
        .size:           8
        .value_kind:     by_value
      - .address_space:  global
        .offset:         96
        .size:           8
        .value_kind:     global_buffer
      - .address_space:  global
        .offset:         104
        .size:           8
        .value_kind:     global_buffer
      - .offset:         112
        .size:           8
        .value_kind:     by_value
      - .address_space:  global
        .offset:         120
        .size:           8
        .value_kind:     global_buffer
      - .offset:         128
        .size:           4
        .value_kind:     hidden_block_count_x
      - .offset:         132
        .size:           4
        .value_kind:     hidden_block_count_y
      - .offset:         136
        .size:           4
        .value_kind:     hidden_block_count_z
      - .offset:         140
        .size:           2
        .value_kind:     hidden_group_size_x
      - .offset:         142
        .size:           2
        .value_kind:     hidden_group_size_y
      - .offset:         144
        .size:           2
        .value_kind:     hidden_group_size_z
      - .offset:         146
        .size:           2
        .value_kind:     hidden_remainder_x
      - .offset:         148
        .size:           2
        .value_kind:     hidden_remainder_y
      - .offset:         150
        .size:           2
        .value_kind:     hidden_remainder_z
      - .offset:         168
        .size:           8
        .value_kind:     hidden_global_offset_x
      - .offset:         176
        .size:           8
        .value_kind:     hidden_global_offset_y
      - .offset:         184
        .size:           8
        .value_kind:     hidden_global_offset_z
      - .offset:         192
        .size:           2
        .value_kind:     hidden_grid_dims
    .group_segment_fixed_size: 0
    .kernarg_segment_align: 8
    .kernarg_segment_size: 384
    .language:       OpenCL C
    .language_version:
      - 2
      - 0
    .max_flat_workgroup_size: 1024
    .name:           _ZN9rocsolver6v33100L17bdsqr_lower2upperI19rocblas_complex_numIfEfPKPS3_S6_EEviiiPT0_lS8_lT1_iilT2_iilPiS8_lSB_
    .private_segment_fixed_size: 0
    .sgpr_count:     40
    .sgpr_spill_count: 0
    .symbol:         _ZN9rocsolver6v33100L17bdsqr_lower2upperI19rocblas_complex_numIfEfPKPS3_S6_EEviiiPT0_lS8_lT1_iilT2_iilPiS8_lSB_.kd
    .uniform_work_group_size: 1
    .uses_dynamic_stack: false
    .vgpr_count:     22
    .vgpr_spill_count: 0
    .wavefront_size: 64
  - .agpr_count:     0
    .args:
      - .offset:         0
        .size:           4
        .value_kind:     by_value
      - .offset:         4
        .size:           4
        .value_kind:     by_value
      - .offset:         8
        .size:           4
        .value_kind:     by_value
      - .offset:         12
        .size:           4
        .value_kind:     by_value
      - .address_space:  global
        .offset:         16
        .size:           8
        .value_kind:     global_buffer
      - .offset:         24
        .size:           8
        .value_kind:     by_value
      - .address_space:  global
        .offset:         32
        .size:           8
        .value_kind:     global_buffer
      - .offset:         40
        .size:           8
        .value_kind:     by_value
      - .address_space:  global
        .offset:         48
        .size:           8
        .value_kind:     global_buffer
      - .offset:         56
        .size:           4
        .value_kind:     by_value
      - .offset:         60
        .size:           4
        .value_kind:     by_value
      - .offset:         64
        .size:           8
        .value_kind:     by_value
      - .address_space:  global
        .offset:         72
        .size:           8
        .value_kind:     global_buffer
      - .offset:         80
        .size:           4
        .value_kind:     by_value
      - .offset:         84
        .size:           4
        .value_kind:     by_value
      - .offset:         88
        .size:           8
        .value_kind:     by_value
      - .address_space:  global
        .offset:         96
        .size:           8
        .value_kind:     global_buffer
      - .offset:         104
        .size:           4
        .value_kind:     by_value
      - .offset:         108
        .size:           4
        .value_kind:     by_value
      - .offset:         112
        .size:           8
        .value_kind:     by_value
      - .offset:         120
        .size:           4
        .value_kind:     by_value
      - .offset:         124
        .size:           4
        .value_kind:     by_value
      - .offset:         128
        .size:           4
        .value_kind:     by_value
      - .offset:         132
        .size:           4
        .value_kind:     by_value
      - .offset:         136
        .size:           4
        .value_kind:     by_value
      - .address_space:  global
        .offset:         144
        .size:           8
        .value_kind:     global_buffer
      - .address_space:  global
        .offset:         152
        .size:           8
        .value_kind:     global_buffer
      - .offset:         160
        .size:           4
        .value_kind:     by_value
      - .offset:         168
        .size:           8
        .value_kind:     by_value
      - .address_space:  global
        .offset:         176
        .size:           8
        .value_kind:     global_buffer
      - .offset:         184
        .size:           4
        .value_kind:     hidden_block_count_x
      - .offset:         188
        .size:           4
        .value_kind:     hidden_block_count_y
      - .offset:         192
        .size:           4
        .value_kind:     hidden_block_count_z
      - .offset:         196
        .size:           2
        .value_kind:     hidden_group_size_x
      - .offset:         198
        .size:           2
        .value_kind:     hidden_group_size_y
      - .offset:         200
        .size:           2
        .value_kind:     hidden_group_size_z
      - .offset:         202
        .size:           2
        .value_kind:     hidden_remainder_x
      - .offset:         204
        .size:           2
        .value_kind:     hidden_remainder_y
      - .offset:         206
        .size:           2
        .value_kind:     hidden_remainder_z
      - .offset:         224
        .size:           8
        .value_kind:     hidden_global_offset_x
      - .offset:         232
        .size:           8
        .value_kind:     hidden_global_offset_y
      - .offset:         240
        .size:           8
        .value_kind:     hidden_global_offset_z
      - .offset:         248
        .size:           2
        .value_kind:     hidden_grid_dims
    .group_segment_fixed_size: 1040
    .kernarg_segment_align: 8
    .kernarg_segment_size: 440
    .language:       OpenCL C
    .language_version:
      - 2
      - 0
    .max_flat_workgroup_size: 1024
    .name:           _ZN9rocsolver6v33100L13bdsqr_computeILi256E19rocblas_complex_numIfEfPS3_PKS4_S6_EEviiiiPT1_lS8_lT2_iilT3_iilT4_iiliS7_S7_S7_S7_PiS8_ilSC_
    .private_segment_fixed_size: 0
    .sgpr_count:     100
    .sgpr_spill_count: 27
    .symbol:         _ZN9rocsolver6v33100L13bdsqr_computeILi256E19rocblas_complex_numIfEfPS3_PKS4_S6_EEviiiiPT1_lS8_lT2_iilT3_iilT4_iiliS7_S7_S7_S7_PiS8_ilSC_.kd
    .uniform_work_group_size: 1
    .uses_dynamic_stack: false
    .vgpr_count:     39
    .vgpr_spill_count: 0
    .wavefront_size: 64
  - .agpr_count:     0
    .args:
      - .offset:         0
        .size:           4
        .value_kind:     by_value
      - .offset:         4
        .size:           4
        .value_kind:     by_value
      - .offset:         8
        .size:           4
        .value_kind:     by_value
      - .offset:         12
        .size:           4
        .value_kind:     by_value
      - .address_space:  global
        .offset:         16
        .size:           8
        .value_kind:     global_buffer
      - .offset:         24
        .size:           4
        .value_kind:     by_value
      - .offset:         28
        .size:           4
        .value_kind:     by_value
      - .offset:         32
        .size:           8
        .value_kind:     by_value
      - .address_space:  global
        .offset:         40
        .size:           8
        .value_kind:     global_buffer
      - .offset:         48
        .size:           4
        .value_kind:     by_value
      - .offset:         52
        .size:           4
        .value_kind:     by_value
      - .offset:         56
        .size:           8
        .value_kind:     by_value
      - .address_space:  global
        .offset:         64
        .size:           8
        .value_kind:     global_buffer
      - .offset:         72
        .size:           4
        .value_kind:     by_value
      - .offset:         76
        .size:           4
        .value_kind:     by_value
      - .offset:         80
        .size:           8
        .value_kind:     by_value
      - .offset:         88
        .size:           4
        .value_kind:     by_value
      - .address_space:  global
        .offset:         96
        .size:           8
        .value_kind:     global_buffer
      - .address_space:  global
        .offset:         104
        .size:           8
        .value_kind:     global_buffer
      - .offset:         112
        .size:           4
        .value_kind:     by_value
      - .offset:         120
        .size:           8
        .value_kind:     by_value
      - .address_space:  global
        .offset:         128
        .size:           8
        .value_kind:     global_buffer
      - .offset:         136
        .size:           4
        .value_kind:     hidden_block_count_x
      - .offset:         140
        .size:           4
        .value_kind:     hidden_block_count_y
      - .offset:         144
        .size:           4
        .value_kind:     hidden_block_count_z
      - .offset:         148
        .size:           2
        .value_kind:     hidden_group_size_x
      - .offset:         150
        .size:           2
        .value_kind:     hidden_group_size_y
      - .offset:         152
        .size:           2
        .value_kind:     hidden_group_size_z
      - .offset:         154
        .size:           2
        .value_kind:     hidden_remainder_x
      - .offset:         156
        .size:           2
        .value_kind:     hidden_remainder_y
      - .offset:         158
        .size:           2
        .value_kind:     hidden_remainder_z
      - .offset:         176
        .size:           8
        .value_kind:     hidden_global_offset_x
      - .offset:         184
        .size:           8
        .value_kind:     hidden_global_offset_y
      - .offset:         192
        .size:           8
        .value_kind:     hidden_global_offset_z
      - .offset:         200
        .size:           2
        .value_kind:     hidden_grid_dims
    .group_segment_fixed_size: 0
    .kernarg_segment_align: 8
    .kernarg_segment_size: 392
    .language:       OpenCL C
    .language_version:
      - 2
      - 0
    .max_flat_workgroup_size: 1024
    .name:           _ZN9rocsolver6v33100L12bdsqr_rotateI19rocblas_complex_numIfEfPS3_PKS4_S6_EEviiiiT1_iilT2_iilT3_iiliPiPT0_ilSA_
    .private_segment_fixed_size: 0
    .sgpr_count:     52
    .sgpr_spill_count: 0
    .symbol:         _ZN9rocsolver6v33100L12bdsqr_rotateI19rocblas_complex_numIfEfPS3_PKS4_S6_EEviiiiT1_iilT2_iilT3_iiliPiPT0_ilSA_.kd
    .uniform_work_group_size: 1
    .uses_dynamic_stack: false
    .vgpr_count:     22
    .vgpr_spill_count: 0
    .wavefront_size: 64
  - .agpr_count:     0
    .args:
      - .offset:         0
        .size:           4
        .value_kind:     by_value
      - .offset:         4
        .size:           4
        .value_kind:     by_value
      - .offset:         8
        .size:           4
        .value_kind:     by_value
      - .offset:         12
        .size:           4
        .value_kind:     by_value
      - .address_space:  global
        .offset:         16
        .size:           8
        .value_kind:     global_buffer
      - .offset:         24
        .size:           8
        .value_kind:     by_value
      - .address_space:  global
        .offset:         32
        .size:           8
        .value_kind:     global_buffer
      - .offset:         40
        .size:           8
        .value_kind:     by_value
      - .address_space:  global
        .offset:         48
        .size:           8
        .value_kind:     global_buffer
      - .offset:         56
        .size:           4
        .value_kind:     by_value
      - .offset:         60
        .size:           4
        .value_kind:     by_value
      - .offset:         64
        .size:           8
        .value_kind:     by_value
      - .address_space:  global
        .offset:         72
        .size:           8
        .value_kind:     global_buffer
      - .offset:         80
        .size:           4
        .value_kind:     by_value
      - .offset:         84
        .size:           4
        .value_kind:     by_value
      - .offset:         88
        .size:           8
        .value_kind:     by_value
      - .address_space:  global
        .offset:         96
        .size:           8
        .value_kind:     global_buffer
      - .offset:         104
        .size:           4
        .value_kind:     by_value
      - .offset:         108
        .size:           4
        .value_kind:     by_value
      - .offset:         112
        .size:           8
        .value_kind:     by_value
      - .address_space:  global
        .offset:         120
        .size:           8
        .value_kind:     global_buffer
      - .address_space:  global
        .offset:         128
        .size:           8
        .value_kind:     global_buffer
      - .address_space:  global
        .offset:         136
        .size:           8
        .value_kind:     global_buffer
      - .offset:         144
        .size:           4
        .value_kind:     hidden_block_count_x
      - .offset:         148
        .size:           4
        .value_kind:     hidden_block_count_y
      - .offset:         152
        .size:           4
        .value_kind:     hidden_block_count_z
      - .offset:         156
        .size:           2
        .value_kind:     hidden_group_size_x
      - .offset:         158
        .size:           2
        .value_kind:     hidden_group_size_y
      - .offset:         160
        .size:           2
        .value_kind:     hidden_group_size_z
      - .offset:         162
        .size:           2
        .value_kind:     hidden_remainder_x
      - .offset:         164
        .size:           2
        .value_kind:     hidden_remainder_y
      - .offset:         166
        .size:           2
        .value_kind:     hidden_remainder_z
      - .offset:         184
        .size:           8
        .value_kind:     hidden_global_offset_x
      - .offset:         192
        .size:           8
        .value_kind:     hidden_global_offset_y
      - .offset:         200
        .size:           8
        .value_kind:     hidden_global_offset_z
      - .offset:         208
        .size:           2
        .value_kind:     hidden_grid_dims
      - .offset:         224
        .size:           8
        .value_kind:     hidden_hostcall_buffer
    .group_segment_fixed_size: 0
    .kernarg_segment_align: 8
    .kernarg_segment_size: 400
    .language:       OpenCL C
    .language_version:
      - 2
      - 0
    .max_flat_workgroup_size: 1024
    .name:           _ZN9rocsolver6v33100L14bdsqr_finalizeI19rocblas_complex_numIfEfPS3_PKS4_S6_EEviiiiPT0_lS8_lT1_iilT2_iilT3_iilPiSC_SC_
    .private_segment_fixed_size: 64
    .sgpr_count:     84
    .sgpr_spill_count: 0
    .symbol:         _ZN9rocsolver6v33100L14bdsqr_finalizeI19rocblas_complex_numIfEfPS3_PKS4_S6_EEviiiiPT0_lS8_lT1_iilT2_iilT3_iilPiSC_SC_.kd
    .uniform_work_group_size: 1
    .uses_dynamic_stack: false
    .vgpr_count:     45
    .vgpr_spill_count: 0
    .wavefront_size: 64
  - .agpr_count:     0
    .args:
      - .offset:         0
        .size:           4
        .value_kind:     by_value
      - .offset:         4
        .size:           4
        .value_kind:     by_value
      - .address_space:  global
        .offset:         8
        .size:           8
        .value_kind:     global_buffer
      - .offset:         16
        .size:           4
        .value_kind:     by_value
      - .offset:         20
        .size:           4
        .value_kind:     by_value
      - .offset:         24
        .size:           8
        .value_kind:     by_value
      - .address_space:  global
        .offset:         32
        .size:           8
        .value_kind:     global_buffer
      - .offset:         40
        .size:           4
        .value_kind:     by_value
      - .offset:         44
        .size:           4
        .value_kind:     by_value
      - .offset:         48
        .size:           8
        .value_kind:     by_value
      - .offset:         56
        .size:           1
        .value_kind:     by_value
      - .offset:         60
        .size:           4
        .value_kind:     by_value
      - .offset:         64
        .size:           4
        .value_kind:     by_value
      - .offset:         72
        .size:           4
        .value_kind:     hidden_block_count_x
      - .offset:         76
        .size:           4
        .value_kind:     hidden_block_count_y
      - .offset:         80
        .size:           4
        .value_kind:     hidden_block_count_z
      - .offset:         84
        .size:           2
        .value_kind:     hidden_group_size_x
      - .offset:         86
        .size:           2
        .value_kind:     hidden_group_size_y
      - .offset:         88
        .size:           2
        .value_kind:     hidden_group_size_z
      - .offset:         90
        .size:           2
        .value_kind:     hidden_remainder_x
      - .offset:         92
        .size:           2
        .value_kind:     hidden_remainder_y
      - .offset:         94
        .size:           2
        .value_kind:     hidden_remainder_z
      - .offset:         112
        .size:           8
        .value_kind:     hidden_global_offset_x
      - .offset:         120
        .size:           8
        .value_kind:     hidden_global_offset_y
      - .offset:         128
        .size:           8
        .value_kind:     hidden_global_offset_z
      - .offset:         136
        .size:           2
        .value_kind:     hidden_grid_dims
    .group_segment_fixed_size: 0
    .kernarg_segment_align: 8
    .kernarg_segment_size: 328
    .language:       OpenCL C
    .language_version:
      - 2
      - 0
    .max_flat_workgroup_size: 1024
    .name:           _ZN9rocsolver6v33100L8copy_matI19rocblas_complex_numIfEPKPS3_S4_NS0_7no_maskEEEviiT0_iilT1_iilT2_13rocblas_fill_17rocblas_diagonal_
    .private_segment_fixed_size: 0
    .sgpr_count:     20
    .sgpr_spill_count: 0
    .symbol:         _ZN9rocsolver6v33100L8copy_matI19rocblas_complex_numIfEPKPS3_S4_NS0_7no_maskEEEviiT0_iilT1_iilT2_13rocblas_fill_17rocblas_diagonal_.kd
    .uniform_work_group_size: 1
    .uses_dynamic_stack: false
    .vgpr_count:     6
    .vgpr_spill_count: 0
    .wavefront_size: 64
  - .agpr_count:     0
    .args:
      - .offset:         0
        .size:           4
        .value_kind:     by_value
      - .offset:         4
        .size:           4
        .value_kind:     by_value
      - .offset:         8
        .size:           4
        .value_kind:     by_value
      - .address_space:  global
        .offset:         16
        .size:           8
        .value_kind:     global_buffer
      - .offset:         24
        .size:           4
        .value_kind:     by_value
      - .offset:         28
        .size:           4
        .value_kind:     by_value
      - .offset:         32
        .size:           8
        .value_kind:     by_value
      - .offset:         40
        .size:           4
        .value_kind:     hidden_block_count_x
      - .offset:         44
        .size:           4
        .value_kind:     hidden_block_count_y
      - .offset:         48
        .size:           4
        .value_kind:     hidden_block_count_z
      - .offset:         52
        .size:           2
        .value_kind:     hidden_group_size_x
      - .offset:         54
        .size:           2
        .value_kind:     hidden_group_size_y
      - .offset:         56
        .size:           2
        .value_kind:     hidden_group_size_z
      - .offset:         58
        .size:           2
        .value_kind:     hidden_remainder_x
      - .offset:         60
        .size:           2
        .value_kind:     hidden_remainder_y
      - .offset:         62
        .size:           2
        .value_kind:     hidden_remainder_z
      - .offset:         80
        .size:           8
        .value_kind:     hidden_global_offset_x
      - .offset:         88
        .size:           8
        .value_kind:     hidden_global_offset_y
      - .offset:         96
        .size:           8
        .value_kind:     hidden_global_offset_z
      - .offset:         104
        .size:           2
        .value_kind:     hidden_grid_dims
    .group_segment_fixed_size: 0
    .kernarg_segment_align: 8
    .kernarg_segment_size: 296
    .language:       OpenCL C
    .language_version:
      - 2
      - 0
    .max_flat_workgroup_size: 1024
    .name:           _ZN9rocsolver6v33100L16org2r_init_identI19rocblas_complex_numIfEPS3_EEviiiT0_iil
    .private_segment_fixed_size: 0
    .sgpr_count:     20
    .sgpr_spill_count: 0
    .symbol:         _ZN9rocsolver6v33100L16org2r_init_identI19rocblas_complex_numIfEPS3_EEviiiT0_iil.kd
    .uniform_work_group_size: 1
    .uses_dynamic_stack: false
    .vgpr_count:     6
    .vgpr_spill_count: 0
    .wavefront_size: 64
  - .agpr_count:     0
    .args:
      - .offset:         0
        .size:           4
        .value_kind:     by_value
      - .offset:         4
        .size:           4
        .value_kind:     by_value
      - .address_space:  global
        .offset:         8
        .size:           8
        .value_kind:     global_buffer
      - .offset:         16
        .size:           8
        .value_kind:     by_value
      - .offset:         24
        .size:           4
        .value_kind:     by_value
      - .offset:         32
        .size:           8
        .value_kind:     by_value
      - .address_space:  global
        .offset:         40
        .size:           8
        .value_kind:     global_buffer
      - .offset:         48
        .size:           8
        .value_kind:     by_value
      - .address_space:  global
        .offset:         56
        .size:           8
        .value_kind:     global_buffer
      - .offset:         64
        .size:           8
        .value_kind:     by_value
      - .offset:         72
        .size:           4
        .value_kind:     by_value
      - .offset:         80
        .size:           8
        .value_kind:     by_value
    .group_segment_fixed_size: 0
    .kernarg_segment_align: 8
    .kernarg_segment_size: 88
    .language:       OpenCL C
    .language_version:
      - 2
      - 0
    .max_flat_workgroup_size: 1024
    .name:           _ZN9rocsolver6v33100L16larf_left_kernelILi1024E19rocblas_complex_numIfEiPS3_EEvT1_S5_T2_lS5_lPKT0_lS6_lS5_l
    .private_segment_fixed_size: 0
    .sgpr_count:     36
    .sgpr_spill_count: 0
    .symbol:         _ZN9rocsolver6v33100L16larf_left_kernelILi1024E19rocblas_complex_numIfEiPS3_EEvT1_S5_T2_lS5_lPKT0_lS6_lS5_l.kd
    .uniform_work_group_size: 1
    .uses_dynamic_stack: false
    .vgpr_count:     30
    .vgpr_spill_count: 0
    .wavefront_size: 64
  - .agpr_count:     0
    .args:
      - .offset:         0
        .size:           4
        .value_kind:     by_value
      - .offset:         4
        .size:           4
        .value_kind:     by_value
      - .address_space:  global
        .offset:         8
        .size:           8
        .value_kind:     global_buffer
      - .offset:         16
        .size:           8
        .value_kind:     by_value
      - .offset:         24
        .size:           4
        .value_kind:     by_value
      - .offset:         32
        .size:           8
        .value_kind:     by_value
      - .address_space:  global
        .offset:         40
        .size:           8
        .value_kind:     global_buffer
      - .offset:         48
        .size:           8
        .value_kind:     by_value
      - .address_space:  global
        .offset:         56
        .size:           8
        .value_kind:     global_buffer
      - .offset:         64
        .size:           8
        .value_kind:     by_value
      - .offset:         72
        .size:           4
        .value_kind:     by_value
      - .offset:         80
        .size:           8
        .value_kind:     by_value
    .group_segment_fixed_size: 0
    .kernarg_segment_align: 8
    .kernarg_segment_size: 88
    .language:       OpenCL C
    .language_version:
      - 2
      - 0
    .max_flat_workgroup_size: 1024
    .name:           _ZN9rocsolver6v33100L17larf_right_kernelILi1024E19rocblas_complex_numIfEiPS3_EEvT1_S5_T2_lS5_lPKT0_lS6_lS5_l
    .private_segment_fixed_size: 0
    .sgpr_count:     40
    .sgpr_spill_count: 0
    .symbol:         _ZN9rocsolver6v33100L17larf_right_kernelILi1024E19rocblas_complex_numIfEiPS3_EEvT1_S5_T2_lS5_lPKT0_lS6_lS5_l.kd
    .uniform_work_group_size: 1
    .uses_dynamic_stack: false
    .vgpr_count:     21
    .vgpr_spill_count: 0
    .wavefront_size: 64
  - .agpr_count:     0
    .args:
      - .offset:         0
        .size:           4
        .value_kind:     by_value
      - .offset:         4
        .size:           4
        .value_kind:     by_value
      - .address_space:  global
        .offset:         8
        .size:           8
        .value_kind:     global_buffer
      - .offset:         16
        .size:           4
        .value_kind:     by_value
      - .offset:         20
        .size:           4
        .value_kind:     by_value
      - .offset:         24
        .size:           8
        .value_kind:     by_value
      - .address_space:  global
        .offset:         32
        .size:           8
        .value_kind:     global_buffer
      - .offset:         40
        .size:           8
        .value_kind:     by_value
    .group_segment_fixed_size: 0
    .kernarg_segment_align: 8
    .kernarg_segment_size: 48
    .language:       OpenCL C
    .language_version:
      - 2
      - 0
    .max_flat_workgroup_size: 1024
    .name:           _ZN9rocsolver6v33100L12subtract_tauI19rocblas_complex_numIfEPS3_EEviiT0_iilPT_l
    .private_segment_fixed_size: 0
    .sgpr_count:     20
    .sgpr_spill_count: 0
    .symbol:         _ZN9rocsolver6v33100L12subtract_tauI19rocblas_complex_numIfEPS3_EEviiT0_iilPT_l.kd
    .uniform_work_group_size: 1
    .uses_dynamic_stack: false
    .vgpr_count:     3
    .vgpr_spill_count: 0
    .wavefront_size: 64
  - .agpr_count:     0
    .args:
      - .offset:         0
        .size:           4
        .value_kind:     by_value
      - .offset:         4
        .size:           4
        .value_kind:     by_value
      - .address_space:  global
        .offset:         8
        .size:           8
        .value_kind:     global_buffer
      - .offset:         16
        .size:           4
        .value_kind:     by_value
      - .offset:         20
        .size:           4
        .value_kind:     by_value
      - .offset:         24
        .size:           8
        .value_kind:     by_value
      - .address_space:  global
        .offset:         32
        .size:           8
        .value_kind:     global_buffer
      - .offset:         40
        .size:           8
        .value_kind:     by_value
      - .address_space:  global
        .offset:         48
        .size:           8
        .value_kind:     global_buffer
      - .offset:         56
        .size:           4
        .value_kind:     by_value
      - .offset:         64
        .size:           8
        .value_kind:     by_value
      - .offset:         72
        .size:           4
        .value_kind:     by_value
      - .offset:         76
        .size:           4
        .value_kind:     by_value
      - .offset:         80
        .size:           1
        .value_kind:     by_value
      - .offset:         88
        .size:           4
        .value_kind:     hidden_block_count_x
      - .offset:         92
        .size:           4
        .value_kind:     hidden_block_count_y
      - .offset:         96
        .size:           4
        .value_kind:     hidden_block_count_z
      - .offset:         100
        .size:           2
        .value_kind:     hidden_group_size_x
      - .offset:         102
        .size:           2
        .value_kind:     hidden_group_size_y
      - .offset:         104
        .size:           2
        .value_kind:     hidden_group_size_z
      - .offset:         106
        .size:           2
        .value_kind:     hidden_remainder_x
      - .offset:         108
        .size:           2
        .value_kind:     hidden_remainder_y
      - .offset:         110
        .size:           2
        .value_kind:     hidden_remainder_z
      - .offset:         128
        .size:           8
        .value_kind:     hidden_global_offset_x
      - .offset:         136
        .size:           8
        .value_kind:     hidden_global_offset_y
      - .offset:         144
        .size:           8
        .value_kind:     hidden_global_offset_z
      - .offset:         152
        .size:           2
        .value_kind:     hidden_grid_dims
    .group_segment_fixed_size: 0
    .kernarg_segment_align: 8
    .kernarg_segment_size: 344
    .language:       OpenCL C
    .language_version:
      - 2
      - 0
    .max_flat_workgroup_size: 1024
    .name:           _ZN9rocsolver6v33100L14set_triangularI19rocblas_complex_numIfEPS3_TnNSt9enable_ifIX18rocblas_is_complexIT_EEiE4typeELi0EEEviiT0_iilPS6_lSA_il15rocblas_direct_15rocblas_storev_b
    .private_segment_fixed_size: 0
    .sgpr_count:     27
    .sgpr_spill_count: 0
    .symbol:         _ZN9rocsolver6v33100L14set_triangularI19rocblas_complex_numIfEPS3_TnNSt9enable_ifIX18rocblas_is_complexIT_EEiE4typeELi0EEEviiT0_iilPS6_lSA_il15rocblas_direct_15rocblas_storev_b.kd
    .uniform_work_group_size: 1
    .uses_dynamic_stack: false
    .vgpr_count:     18
    .vgpr_spill_count: 0
    .wavefront_size: 64
  - .agpr_count:     0
    .args:
      - .offset:         0
        .size:           4
        .value_kind:     by_value
      - .offset:         4
        .size:           4
        .value_kind:     by_value
      - .offset:         8
        .size:           4
        .value_kind:     by_value
      - .address_space:  global
        .offset:         16
        .size:           8
        .value_kind:     global_buffer
      - .offset:         24
        .size:           4
        .value_kind:     by_value
      - .offset:         28
        .size:           4
        .value_kind:     by_value
      - .offset:         32
        .size:           8
        .value_kind:     by_value
      - .address_space:  global
        .offset:         40
        .size:           8
        .value_kind:     global_buffer
      - .offset:         48
        .size:           8
        .value_kind:     by_value
      - .address_space:  global
        .offset:         56
        .size:           8
        .value_kind:     global_buffer
      - .offset:         64
        .size:           4
        .value_kind:     by_value
      - .offset:         72
        .size:           8
        .value_kind:     by_value
      - .offset:         80
        .size:           4
        .value_kind:     hidden_block_count_x
      - .offset:         84
        .size:           4
        .value_kind:     hidden_block_count_y
      - .offset:         88
        .size:           4
        .value_kind:     hidden_block_count_z
      - .offset:         92
        .size:           2
        .value_kind:     hidden_group_size_x
      - .offset:         94
        .size:           2
        .value_kind:     hidden_group_size_y
      - .offset:         96
        .size:           2
        .value_kind:     hidden_group_size_z
      - .offset:         98
        .size:           2
        .value_kind:     hidden_remainder_x
      - .offset:         100
        .size:           2
        .value_kind:     hidden_remainder_y
      - .offset:         102
        .size:           2
        .value_kind:     hidden_remainder_z
      - .offset:         120
        .size:           8
        .value_kind:     hidden_global_offset_x
      - .offset:         128
        .size:           8
        .value_kind:     hidden_global_offset_y
      - .offset:         136
        .size:           8
        .value_kind:     hidden_global_offset_z
      - .offset:         144
        .size:           2
        .value_kind:     hidden_grid_dims
      - .offset:         200
        .size:           4
        .value_kind:     hidden_dynamic_lds_size
    .group_segment_fixed_size: 0
    .kernarg_segment_align: 8
    .kernarg_segment_size: 336
    .language:       OpenCL C
    .language_version:
      - 2
      - 0
    .max_flat_workgroup_size: 1024
    .name:           _ZN9rocsolver6v33100L20larft_kernel_forwardI19rocblas_complex_numIfEPS3_EEv15rocblas_storev_iiT0_iilPT_lS8_il
    .private_segment_fixed_size: 0
    .sgpr_count:     56
    .sgpr_spill_count: 0
    .symbol:         _ZN9rocsolver6v33100L20larft_kernel_forwardI19rocblas_complex_numIfEPS3_EEv15rocblas_storev_iiT0_iilPT_lS8_il.kd
    .uniform_work_group_size: 1
    .uses_dynamic_stack: false
    .vgpr_count:     24
    .vgpr_spill_count: 0
    .wavefront_size: 64
  - .agpr_count:     0
    .args:
      - .offset:         0
        .size:           4
        .value_kind:     by_value
      - .offset:         4
        .size:           4
        .value_kind:     by_value
      - .offset:         8
        .size:           4
        .value_kind:     by_value
      - .address_space:  global
        .offset:         16
        .size:           8
        .value_kind:     global_buffer
      - .offset:         24
        .size:           4
        .value_kind:     by_value
      - .offset:         28
        .size:           4
        .value_kind:     by_value
      - .offset:         32
        .size:           8
        .value_kind:     by_value
      - .address_space:  global
        .offset:         40
        .size:           8
        .value_kind:     global_buffer
      - .offset:         48
        .size:           8
        .value_kind:     by_value
      - .address_space:  global
        .offset:         56
        .size:           8
        .value_kind:     global_buffer
      - .offset:         64
        .size:           4
        .value_kind:     by_value
      - .offset:         72
        .size:           8
        .value_kind:     by_value
      - .offset:         80
        .size:           4
        .value_kind:     hidden_block_count_x
      - .offset:         84
        .size:           4
        .value_kind:     hidden_block_count_y
      - .offset:         88
        .size:           4
        .value_kind:     hidden_block_count_z
      - .offset:         92
        .size:           2
        .value_kind:     hidden_group_size_x
      - .offset:         94
        .size:           2
        .value_kind:     hidden_group_size_y
      - .offset:         96
        .size:           2
        .value_kind:     hidden_group_size_z
      - .offset:         98
        .size:           2
        .value_kind:     hidden_remainder_x
      - .offset:         100
        .size:           2
        .value_kind:     hidden_remainder_y
      - .offset:         102
        .size:           2
        .value_kind:     hidden_remainder_z
      - .offset:         120
        .size:           8
        .value_kind:     hidden_global_offset_x
      - .offset:         128
        .size:           8
        .value_kind:     hidden_global_offset_y
      - .offset:         136
        .size:           8
        .value_kind:     hidden_global_offset_z
      - .offset:         144
        .size:           2
        .value_kind:     hidden_grid_dims
      - .offset:         200
        .size:           4
        .value_kind:     hidden_dynamic_lds_size
    .group_segment_fixed_size: 0
    .kernarg_segment_align: 8
    .kernarg_segment_size: 336
    .language:       OpenCL C
    .language_version:
      - 2
      - 0
    .max_flat_workgroup_size: 1024
    .name:           _ZN9rocsolver6v33100L21larft_kernel_backwardI19rocblas_complex_numIfEPS3_EEv15rocblas_storev_iiT0_iilPT_lS8_il
    .private_segment_fixed_size: 0
    .sgpr_count:     60
    .sgpr_spill_count: 0
    .symbol:         _ZN9rocsolver6v33100L21larft_kernel_backwardI19rocblas_complex_numIfEPS3_EEv15rocblas_storev_iiT0_iilPT_lS8_il.kd
    .uniform_work_group_size: 1
    .uses_dynamic_stack: false
    .vgpr_count:     20
    .vgpr_spill_count: 0
    .wavefront_size: 64
  - .agpr_count:     0
    .args:
      - .offset:         0
        .size:           4
        .value_kind:     by_value
      - .offset:         4
        .size:           4
        .value_kind:     by_value
      - .address_space:  global
        .offset:         8
        .size:           8
        .value_kind:     global_buffer
      - .offset:         16
        .size:           4
        .value_kind:     by_value
      - .offset:         20
        .size:           4
        .value_kind:     by_value
      - .offset:         24
        .size:           8
        .value_kind:     by_value
      - .address_space:  global
        .offset:         32
        .size:           8
        .value_kind:     global_buffer
      - .offset:         40
        .size:           4
        .value_kind:     hidden_block_count_x
      - .offset:         44
        .size:           4
        .value_kind:     hidden_block_count_y
      - .offset:         48
        .size:           4
        .value_kind:     hidden_block_count_z
      - .offset:         52
        .size:           2
        .value_kind:     hidden_group_size_x
      - .offset:         54
        .size:           2
        .value_kind:     hidden_group_size_y
      - .offset:         56
        .size:           2
        .value_kind:     hidden_group_size_z
      - .offset:         58
        .size:           2
        .value_kind:     hidden_remainder_x
      - .offset:         60
        .size:           2
        .value_kind:     hidden_remainder_y
      - .offset:         62
        .size:           2
        .value_kind:     hidden_remainder_z
      - .offset:         80
        .size:           8
        .value_kind:     hidden_global_offset_x
      - .offset:         88
        .size:           8
        .value_kind:     hidden_global_offset_y
      - .offset:         96
        .size:           8
        .value_kind:     hidden_global_offset_z
      - .offset:         104
        .size:           2
        .value_kind:     hidden_grid_dims
    .group_segment_fixed_size: 0
    .kernarg_segment_align: 8
    .kernarg_segment_size: 296
    .language:       OpenCL C
    .language_version:
      - 2
      - 0
    .max_flat_workgroup_size: 1024
    .name:           _ZN9rocsolver6v33100L9copymatA1I19rocblas_complex_numIfEPS3_EEviiT0_iilPT_
    .private_segment_fixed_size: 0
    .sgpr_count:     24
    .sgpr_spill_count: 0
    .symbol:         _ZN9rocsolver6v33100L9copymatA1I19rocblas_complex_numIfEPS3_EEviiT0_iilPT_.kd
    .uniform_work_group_size: 1
    .uses_dynamic_stack: false
    .vgpr_count:     6
    .vgpr_spill_count: 0
    .wavefront_size: 64
  - .agpr_count:     0
    .args:
      - .offset:         0
        .size:           4
        .value_kind:     by_value
      - .offset:         4
        .size:           4
        .value_kind:     by_value
      - .address_space:  global
        .offset:         8
        .size:           8
        .value_kind:     global_buffer
      - .offset:         16
        .size:           4
        .value_kind:     by_value
      - .offset:         20
        .size:           4
        .value_kind:     by_value
      - .offset:         24
        .size:           8
        .value_kind:     by_value
      - .address_space:  global
        .offset:         32
        .size:           8
        .value_kind:     global_buffer
      - .offset:         40
        .size:           4
        .value_kind:     hidden_block_count_x
      - .offset:         44
        .size:           4
        .value_kind:     hidden_block_count_y
      - .offset:         48
        .size:           4
        .value_kind:     hidden_block_count_z
      - .offset:         52
        .size:           2
        .value_kind:     hidden_group_size_x
      - .offset:         54
        .size:           2
        .value_kind:     hidden_group_size_y
      - .offset:         56
        .size:           2
        .value_kind:     hidden_group_size_z
      - .offset:         58
        .size:           2
        .value_kind:     hidden_remainder_x
      - .offset:         60
        .size:           2
        .value_kind:     hidden_remainder_y
      - .offset:         62
        .size:           2
        .value_kind:     hidden_remainder_z
      - .offset:         80
        .size:           8
        .value_kind:     hidden_global_offset_x
      - .offset:         88
        .size:           8
        .value_kind:     hidden_global_offset_y
      - .offset:         96
        .size:           8
        .value_kind:     hidden_global_offset_z
      - .offset:         104
        .size:           2
        .value_kind:     hidden_grid_dims
    .group_segment_fixed_size: 0
    .kernarg_segment_align: 8
    .kernarg_segment_size: 296
    .language:       OpenCL C
    .language_version:
      - 2
      - 0
    .max_flat_workgroup_size: 1024
    .name:           _ZN9rocsolver6v33100L8addmatA1I19rocblas_complex_numIfEPS3_EEviiT0_iilPT_
    .private_segment_fixed_size: 0
    .sgpr_count:     19
    .sgpr_spill_count: 0
    .symbol:         _ZN9rocsolver6v33100L8addmatA1I19rocblas_complex_numIfEPS3_EEviiT0_iilPT_.kd
    .uniform_work_group_size: 1
    .uses_dynamic_stack: false
    .vgpr_count:     8
    .vgpr_spill_count: 0
    .wavefront_size: 64
  - .agpr_count:     0
    .args:
      - .offset:         0
        .size:           4
        .value_kind:     by_value
      - .offset:         4
        .size:           4
        .value_kind:     by_value
      - .offset:         8
        .size:           4
        .value_kind:     by_value
      - .address_space:  global
        .offset:         16
        .size:           8
        .value_kind:     global_buffer
      - .offset:         24
        .size:           4
        .value_kind:     by_value
      - .offset:         28
        .size:           4
        .value_kind:     by_value
      - .offset:         32
        .size:           8
        .value_kind:     by_value
      - .offset:         40
        .size:           4
        .value_kind:     hidden_block_count_x
      - .offset:         44
        .size:           4
        .value_kind:     hidden_block_count_y
      - .offset:         48
        .size:           4
        .value_kind:     hidden_block_count_z
      - .offset:         52
        .size:           2
        .value_kind:     hidden_group_size_x
      - .offset:         54
        .size:           2
        .value_kind:     hidden_group_size_y
      - .offset:         56
        .size:           2
        .value_kind:     hidden_group_size_z
      - .offset:         58
        .size:           2
        .value_kind:     hidden_remainder_x
      - .offset:         60
        .size:           2
        .value_kind:     hidden_remainder_y
      - .offset:         62
        .size:           2
        .value_kind:     hidden_remainder_z
      - .offset:         80
        .size:           8
        .value_kind:     hidden_global_offset_x
      - .offset:         88
        .size:           8
        .value_kind:     hidden_global_offset_y
      - .offset:         96
        .size:           8
        .value_kind:     hidden_global_offset_z
      - .offset:         104
        .size:           2
        .value_kind:     hidden_grid_dims
    .group_segment_fixed_size: 0
    .kernarg_segment_align: 8
    .kernarg_segment_size: 296
    .language:       OpenCL C
    .language_version:
      - 2
      - 0
    .max_flat_workgroup_size: 1024
    .name:           _ZN9rocsolver6v33100L16orgl2_init_identI19rocblas_complex_numIfEPS3_EEviiiT0_iil
    .private_segment_fixed_size: 0
    .sgpr_count:     20
    .sgpr_spill_count: 0
    .symbol:         _ZN9rocsolver6v33100L16orgl2_init_identI19rocblas_complex_numIfEPS3_EEviiiT0_iil.kd
    .uniform_work_group_size: 1
    .uses_dynamic_stack: false
    .vgpr_count:     6
    .vgpr_spill_count: 0
    .wavefront_size: 64
  - .agpr_count:     0
    .args:
      - .offset:         0
        .size:           4
        .value_kind:     by_value
      - .offset:         4
        .size:           4
        .value_kind:     by_value
      - .address_space:  global
        .offset:         8
        .size:           8
        .value_kind:     global_buffer
      - .offset:         16
        .size:           4
        .value_kind:     by_value
      - .offset:         20
        .size:           4
        .value_kind:     by_value
      - .offset:         24
        .size:           8
        .value_kind:     by_value
      - .offset:         32
        .size:           4
        .value_kind:     by_value
      - .offset:         40
        .size:           4
        .value_kind:     hidden_block_count_x
      - .offset:         44
        .size:           4
        .value_kind:     hidden_block_count_y
      - .offset:         48
        .size:           4
        .value_kind:     hidden_block_count_z
      - .offset:         52
        .size:           2
        .value_kind:     hidden_group_size_x
      - .offset:         54
        .size:           2
        .value_kind:     hidden_group_size_y
      - .offset:         56
        .size:           2
        .value_kind:     hidden_group_size_z
      - .offset:         58
        .size:           2
        .value_kind:     hidden_remainder_x
      - .offset:         60
        .size:           2
        .value_kind:     hidden_remainder_y
      - .offset:         62
        .size:           2
        .value_kind:     hidden_remainder_z
      - .offset:         80
        .size:           8
        .value_kind:     hidden_global_offset_x
      - .offset:         88
        .size:           8
        .value_kind:     hidden_global_offset_y
      - .offset:         96
        .size:           8
        .value_kind:     hidden_global_offset_z
      - .offset:         104
        .size:           2
        .value_kind:     hidden_grid_dims
    .group_segment_fixed_size: 0
    .kernarg_segment_align: 8
    .kernarg_segment_size: 296
    .language:       OpenCL C
    .language_version:
      - 2
      - 0
    .max_flat_workgroup_size: 1024
    .name:           _ZN9rocsolver6v33100L8set_zeroI19rocblas_complex_numIfEPS3_EEviiT0_iil13rocblas_fill_
    .private_segment_fixed_size: 0
    .sgpr_count:     13
    .sgpr_spill_count: 0
    .symbol:         _ZN9rocsolver6v33100L8set_zeroI19rocblas_complex_numIfEPS3_EEviiT0_iil13rocblas_fill_.kd
    .uniform_work_group_size: 1
    .uses_dynamic_stack: false
    .vgpr_count:     4
    .vgpr_spill_count: 0
    .wavefront_size: 64
  - .agpr_count:     0
    .args:
      - .address_space:  global
        .offset:         0
        .size:           8
        .value_kind:     global_buffer
      - .offset:         8
        .size:           8
        .value_kind:     by_value
      - .address_space:  global
        .offset:         16
        .size:           8
        .value_kind:     global_buffer
      - .address_space:  global
        .offset:         24
        .size:           8
        .value_kind:     global_buffer
      - .offset:         32
        .size:           8
        .value_kind:     by_value
      - .offset:         40
        .size:           8
        .value_kind:     by_value
      - .address_space:  global
        .offset:         48
        .size:           8
        .value_kind:     global_buffer
      - .offset:         56
        .size:           8
        .value_kind:     by_value
      - .offset:         64
        .size:           8
        .value_kind:     by_value
    .group_segment_fixed_size: 0
    .kernarg_segment_align: 8
    .kernarg_segment_size: 72
    .language:       OpenCL C
    .language_version:
      - 2
      - 0
    .max_flat_workgroup_size: 1024
    .name:           _ZN9rocsolver6v33100L11set_taubetaI19rocblas_complex_numIfEifPS3_EEvPT_lS6_T2_llPT1_ll
    .private_segment_fixed_size: 0
    .sgpr_count:     30
    .sgpr_spill_count: 0
    .symbol:         _ZN9rocsolver6v33100L11set_taubetaI19rocblas_complex_numIfEifPS3_EEvPT_lS6_T2_llPT1_ll.kd
    .uniform_work_group_size: 1
    .uses_dynamic_stack: false
    .vgpr_count:     8
    .vgpr_spill_count: 0
    .wavefront_size: 64
  - .agpr_count:     0
    .args:
      - .address_space:  global
        .offset:         0
        .size:           8
        .value_kind:     global_buffer
      - .offset:         8
        .size:           8
        .value_kind:     by_value
      - .offset:         16
        .size:           8
        .value_kind:     by_value
      - .address_space:  global
        .offset:         24
        .size:           8
        .value_kind:     global_buffer
      - .offset:         32
        .size:           8
        .value_kind:     by_value
      - .offset:         40
        .size:           4
        .value_kind:     by_value
      - .offset:         48
        .size:           8
        .value_kind:     by_value
      - .offset:         56
        .size:           4
        .value_kind:     by_value
      - .offset:         60
        .size:           1
        .value_kind:     by_value
      - .offset:         64
        .size:           4
        .value_kind:     hidden_block_count_x
      - .offset:         68
        .size:           4
        .value_kind:     hidden_block_count_y
      - .offset:         72
        .size:           4
        .value_kind:     hidden_block_count_z
      - .offset:         76
        .size:           2
        .value_kind:     hidden_group_size_x
      - .offset:         78
        .size:           2
        .value_kind:     hidden_group_size_y
      - .offset:         80
        .size:           2
        .value_kind:     hidden_group_size_z
      - .offset:         82
        .size:           2
        .value_kind:     hidden_remainder_x
      - .offset:         84
        .size:           2
        .value_kind:     hidden_remainder_y
      - .offset:         86
        .size:           2
        .value_kind:     hidden_remainder_z
      - .offset:         104
        .size:           8
        .value_kind:     hidden_global_offset_x
      - .offset:         112
        .size:           8
        .value_kind:     hidden_global_offset_y
      - .offset:         120
        .size:           8
        .value_kind:     hidden_global_offset_z
      - .offset:         128
        .size:           2
        .value_kind:     hidden_grid_dims
    .group_segment_fixed_size: 0
    .kernarg_segment_align: 8
    .kernarg_segment_size: 320
    .language:       OpenCL C
    .language_version:
      - 2
      - 0
    .max_flat_workgroup_size: 1024
    .name:           _ZN9rocsolver6v33100L8set_diagI19rocblas_complex_numIfEifPS3_TnNSt9enable_ifIXaa18rocblas_is_complexIT_Ent18rocblas_is_complexIT1_EEiE4typeELi0EEEvPS7_llT2_lT0_lSC_b
    .private_segment_fixed_size: 0
    .sgpr_count:     23
    .sgpr_spill_count: 0
    .symbol:         _ZN9rocsolver6v33100L8set_diagI19rocblas_complex_numIfEifPS3_TnNSt9enable_ifIXaa18rocblas_is_complexIT_Ent18rocblas_is_complexIT1_EEiE4typeELi0EEEvPS7_llT2_lT0_lSC_b.kd
    .uniform_work_group_size: 1
    .uses_dynamic_stack: false
    .vgpr_count:     6
    .vgpr_spill_count: 0
    .wavefront_size: 64
  - .agpr_count:     0
    .args:
      - .address_space:  global
        .offset:         0
        .size:           8
        .value_kind:     global_buffer
      - .offset:         8
        .size:           8
        .value_kind:     by_value
      - .offset:         16
        .size:           8
        .value_kind:     by_value
      - .address_space:  global
        .offset:         24
        .size:           8
        .value_kind:     global_buffer
      - .offset:         32
        .size:           8
        .value_kind:     by_value
      - .offset:         40
        .size:           4
        .value_kind:     by_value
      - .offset:         48
        .size:           8
        .value_kind:     by_value
      - .offset:         56
        .size:           4
        .value_kind:     by_value
      - .offset:         64
        .size:           4
        .value_kind:     hidden_block_count_x
      - .offset:         68
        .size:           4
        .value_kind:     hidden_block_count_y
      - .offset:         72
        .size:           4
        .value_kind:     hidden_block_count_z
      - .offset:         76
        .size:           2
        .value_kind:     hidden_group_size_x
      - .offset:         78
        .size:           2
        .value_kind:     hidden_group_size_y
      - .offset:         80
        .size:           2
        .value_kind:     hidden_group_size_z
      - .offset:         82
        .size:           2
        .value_kind:     hidden_remainder_x
      - .offset:         84
        .size:           2
        .value_kind:     hidden_remainder_y
      - .offset:         86
        .size:           2
        .value_kind:     hidden_remainder_z
      - .offset:         104
        .size:           8
        .value_kind:     hidden_global_offset_x
      - .offset:         112
        .size:           8
        .value_kind:     hidden_global_offset_y
      - .offset:         120
        .size:           8
        .value_kind:     hidden_global_offset_z
      - .offset:         128
        .size:           2
        .value_kind:     hidden_grid_dims
    .group_segment_fixed_size: 0
    .kernarg_segment_align: 8
    .kernarg_segment_size: 320
    .language:       OpenCL C
    .language_version:
      - 2
      - 0
    .max_flat_workgroup_size: 1024
    .name:           _ZN9rocsolver6v33100L12restore_diagI19rocblas_complex_numIfEifPS3_EEvPT1_llT2_lT0_lS8_
    .private_segment_fixed_size: 0
    .sgpr_count:     20
    .sgpr_spill_count: 0
    .symbol:         _ZN9rocsolver6v33100L12restore_diagI19rocblas_complex_numIfEifPS3_EEvPT1_llT2_lT0_lS8_.kd
    .uniform_work_group_size: 1
    .uses_dynamic_stack: false
    .vgpr_count:     4
    .vgpr_spill_count: 0
    .wavefront_size: 64
  - .agpr_count:     0
    .args:
      - .offset:         0
        .size:           4
        .value_kind:     by_value
      - .offset:         4
        .size:           4
        .value_kind:     by_value
      - .address_space:  global
        .offset:         8
        .size:           8
        .value_kind:     global_buffer
      - .offset:         16
        .size:           4
        .value_kind:     by_value
      - .offset:         20
        .size:           4
        .value_kind:     by_value
      - .offset:         24
        .size:           8
        .value_kind:     by_value
      - .address_space:  global
        .offset:         32
        .size:           8
        .value_kind:     global_buffer
      - .offset:         40
        .size:           4
        .value_kind:     by_value
      - .offset:         44
        .size:           4
        .value_kind:     by_value
      - .offset:         48
        .size:           8
        .value_kind:     by_value
      - .offset:         56
        .size:           1
        .value_kind:     by_value
      - .offset:         60
        .size:           4
        .value_kind:     by_value
      - .offset:         64
        .size:           4
        .value_kind:     by_value
      - .offset:         72
        .size:           4
        .value_kind:     hidden_block_count_x
      - .offset:         76
        .size:           4
        .value_kind:     hidden_block_count_y
      - .offset:         80
        .size:           4
        .value_kind:     hidden_block_count_z
      - .offset:         84
        .size:           2
        .value_kind:     hidden_group_size_x
      - .offset:         86
        .size:           2
        .value_kind:     hidden_group_size_y
      - .offset:         88
        .size:           2
        .value_kind:     hidden_group_size_z
      - .offset:         90
        .size:           2
        .value_kind:     hidden_remainder_x
      - .offset:         92
        .size:           2
        .value_kind:     hidden_remainder_y
      - .offset:         94
        .size:           2
        .value_kind:     hidden_remainder_z
      - .offset:         112
        .size:           8
        .value_kind:     hidden_global_offset_x
      - .offset:         120
        .size:           8
        .value_kind:     hidden_global_offset_y
      - .offset:         128
        .size:           8
        .value_kind:     hidden_global_offset_z
      - .offset:         136
        .size:           2
        .value_kind:     hidden_grid_dims
    .group_segment_fixed_size: 0
    .kernarg_segment_align: 8
    .kernarg_segment_size: 328
    .language:       OpenCL C
    .language_version:
      - 2
      - 0
    .max_flat_workgroup_size: 1024
    .name:           _ZN9rocsolver6v33100L8copy_matI19rocblas_complex_numIfEPS3_S4_NS0_7no_maskEEEviiT0_iilT1_iilT2_13rocblas_fill_17rocblas_diagonal_
    .private_segment_fixed_size: 0
    .sgpr_count:     24
    .sgpr_spill_count: 0
    .symbol:         _ZN9rocsolver6v33100L8copy_matI19rocblas_complex_numIfEPS3_S4_NS0_7no_maskEEEviiT0_iilT1_iilT2_13rocblas_fill_17rocblas_diagonal_.kd
    .uniform_work_group_size: 1
    .uses_dynamic_stack: false
    .vgpr_count:     6
    .vgpr_spill_count: 0
    .wavefront_size: 64
  - .agpr_count:     0
    .args:
      - .offset:         0
        .size:           1
        .value_kind:     by_value
      - .offset:         4
        .size:           4
        .value_kind:     by_value
      - .address_space:  global
        .offset:         8
        .size:           8
        .value_kind:     global_buffer
      - .offset:         16
        .size:           4
        .value_kind:     by_value
      - .offset:         20
        .size:           4
        .value_kind:     by_value
      - .offset:         24
        .size:           8
        .value_kind:     by_value
      - .address_space:  global
        .offset:         32
        .size:           8
        .value_kind:     global_buffer
      - .offset:         40
        .size:           4
        .value_kind:     by_value
      - .offset:         44
        .size:           4
        .value_kind:     by_value
      - .offset:         48
        .size:           8
        .value_kind:     by_value
      - .offset:         56
        .size:           4
        .value_kind:     hidden_block_count_x
      - .offset:         60
        .size:           4
        .value_kind:     hidden_block_count_y
      - .offset:         64
        .size:           4
        .value_kind:     hidden_block_count_z
      - .offset:         68
        .size:           2
        .value_kind:     hidden_group_size_x
      - .offset:         70
        .size:           2
        .value_kind:     hidden_group_size_y
      - .offset:         72
        .size:           2
        .value_kind:     hidden_group_size_z
      - .offset:         74
        .size:           2
        .value_kind:     hidden_remainder_x
      - .offset:         76
        .size:           2
        .value_kind:     hidden_remainder_y
      - .offset:         78
        .size:           2
        .value_kind:     hidden_remainder_z
      - .offset:         96
        .size:           8
        .value_kind:     hidden_global_offset_x
      - .offset:         104
        .size:           8
        .value_kind:     hidden_global_offset_y
      - .offset:         112
        .size:           8
        .value_kind:     hidden_global_offset_z
      - .offset:         120
        .size:           2
        .value_kind:     hidden_grid_dims
    .group_segment_fixed_size: 0
    .kernarg_segment_align: 8
    .kernarg_segment_size: 312
    .language:       OpenCL C
    .language_version:
      - 2
      - 0
    .max_flat_workgroup_size: 1024
    .name:           _ZN9rocsolver6v33100L15copyshift_rightI19rocblas_complex_numIfEPS3_EEvbiT0_iilPT_iil
    .private_segment_fixed_size: 0
    .sgpr_count:     22
    .sgpr_spill_count: 0
    .symbol:         _ZN9rocsolver6v33100L15copyshift_rightI19rocblas_complex_numIfEPS3_EEvbiT0_iilPT_iil.kd
    .uniform_work_group_size: 1
    .uses_dynamic_stack: false
    .vgpr_count:     11
    .vgpr_spill_count: 0
    .wavefront_size: 64
  - .agpr_count:     0
    .args:
      - .offset:         0
        .size:           1
        .value_kind:     by_value
      - .offset:         4
        .size:           4
        .value_kind:     by_value
      - .address_space:  global
        .offset:         8
        .size:           8
        .value_kind:     global_buffer
      - .offset:         16
        .size:           4
        .value_kind:     by_value
      - .offset:         20
        .size:           4
        .value_kind:     by_value
      - .offset:         24
        .size:           8
        .value_kind:     by_value
      - .address_space:  global
        .offset:         32
        .size:           8
        .value_kind:     global_buffer
      - .offset:         40
        .size:           4
        .value_kind:     by_value
      - .offset:         44
        .size:           4
        .value_kind:     by_value
      - .offset:         48
        .size:           8
        .value_kind:     by_value
      - .offset:         56
        .size:           4
        .value_kind:     hidden_block_count_x
      - .offset:         60
        .size:           4
        .value_kind:     hidden_block_count_y
      - .offset:         64
        .size:           4
        .value_kind:     hidden_block_count_z
      - .offset:         68
        .size:           2
        .value_kind:     hidden_group_size_x
      - .offset:         70
        .size:           2
        .value_kind:     hidden_group_size_y
      - .offset:         72
        .size:           2
        .value_kind:     hidden_group_size_z
      - .offset:         74
        .size:           2
        .value_kind:     hidden_remainder_x
      - .offset:         76
        .size:           2
        .value_kind:     hidden_remainder_y
      - .offset:         78
        .size:           2
        .value_kind:     hidden_remainder_z
      - .offset:         96
        .size:           8
        .value_kind:     hidden_global_offset_x
      - .offset:         104
        .size:           8
        .value_kind:     hidden_global_offset_y
      - .offset:         112
        .size:           8
        .value_kind:     hidden_global_offset_z
      - .offset:         120
        .size:           2
        .value_kind:     hidden_grid_dims
    .group_segment_fixed_size: 0
    .kernarg_segment_align: 8
    .kernarg_segment_size: 312
    .language:       OpenCL C
    .language_version:
      - 2
      - 0
    .max_flat_workgroup_size: 1024
    .name:           _ZN9rocsolver6v33100L14copyshift_downI19rocblas_complex_numIfEPS3_EEvbiT0_iilPT_iil
    .private_segment_fixed_size: 0
    .sgpr_count:     22
    .sgpr_spill_count: 0
    .symbol:         _ZN9rocsolver6v33100L14copyshift_downI19rocblas_complex_numIfEPS3_EEvbiT0_iilPT_iil.kd
    .uniform_work_group_size: 1
    .uses_dynamic_stack: false
    .vgpr_count:     10
    .vgpr_spill_count: 0
    .wavefront_size: 64
  - .agpr_count:     0
    .args:
      - .offset:         0
        .size:           4
        .value_kind:     by_value
      - .offset:         4
        .size:           4
        .value_kind:     by_value
      - .offset:         8
        .size:           4
        .value_kind:     by_value
      - .address_space:  global
        .offset:         16
        .size:           8
        .value_kind:     global_buffer
      - .offset:         24
        .size:           8
        .value_kind:     by_value
      - .address_space:  global
        .offset:         32
        .size:           8
        .value_kind:     global_buffer
      - .offset:         40
        .size:           8
        .value_kind:     by_value
      - .address_space:  global
        .offset:         48
        .size:           8
        .value_kind:     global_buffer
      - .offset:         56
        .size:           4
        .value_kind:     by_value
      - .offset:         60
        .size:           4
        .value_kind:     by_value
      - .offset:         64
        .size:           8
        .value_kind:     by_value
      - .address_space:  global
        .offset:         72
        .size:           8
        .value_kind:     global_buffer
      - .offset:         80
        .size:           4
        .value_kind:     by_value
      - .offset:         84
        .size:           4
        .value_kind:     by_value
      - .offset:         88
        .size:           8
        .value_kind:     by_value
      - .address_space:  global
        .offset:         96
        .size:           8
        .value_kind:     global_buffer
      - .address_space:  global
        .offset:         104
        .size:           8
        .value_kind:     global_buffer
      - .offset:         112
        .size:           8
        .value_kind:     by_value
      - .address_space:  global
        .offset:         120
        .size:           8
        .value_kind:     global_buffer
      - .offset:         128
        .size:           4
        .value_kind:     hidden_block_count_x
      - .offset:         132
        .size:           4
        .value_kind:     hidden_block_count_y
      - .offset:         136
        .size:           4
        .value_kind:     hidden_block_count_z
      - .offset:         140
        .size:           2
        .value_kind:     hidden_group_size_x
      - .offset:         142
        .size:           2
        .value_kind:     hidden_group_size_y
      - .offset:         144
        .size:           2
        .value_kind:     hidden_group_size_z
      - .offset:         146
        .size:           2
        .value_kind:     hidden_remainder_x
      - .offset:         148
        .size:           2
        .value_kind:     hidden_remainder_y
      - .offset:         150
        .size:           2
        .value_kind:     hidden_remainder_z
      - .offset:         168
        .size:           8
        .value_kind:     hidden_global_offset_x
      - .offset:         176
        .size:           8
        .value_kind:     hidden_global_offset_y
      - .offset:         184
        .size:           8
        .value_kind:     hidden_global_offset_z
      - .offset:         192
        .size:           2
        .value_kind:     hidden_grid_dims
    .group_segment_fixed_size: 0
    .kernarg_segment_align: 8
    .kernarg_segment_size: 384
    .language:       OpenCL C
    .language_version:
      - 2
      - 0
    .max_flat_workgroup_size: 1024
    .name:           _ZN9rocsolver6v33100L17bdsqr_lower2upperI19rocblas_complex_numIfEfPS3_S4_EEviiiPT0_lS6_lT1_iilT2_iilPiS6_lS9_
    .private_segment_fixed_size: 0
    .sgpr_count:     40
    .sgpr_spill_count: 0
    .symbol:         _ZN9rocsolver6v33100L17bdsqr_lower2upperI19rocblas_complex_numIfEfPS3_S4_EEviiiPT0_lS6_lT1_iilT2_iilPiS6_lS9_.kd
    .uniform_work_group_size: 1
    .uses_dynamic_stack: false
    .vgpr_count:     22
    .vgpr_spill_count: 0
    .wavefront_size: 64
  - .agpr_count:     0
    .args:
      - .offset:         0
        .size:           4
        .value_kind:     by_value
      - .offset:         4
        .size:           4
        .value_kind:     by_value
      - .offset:         8
        .size:           4
        .value_kind:     by_value
      - .offset:         12
        .size:           4
        .value_kind:     by_value
      - .address_space:  global
        .offset:         16
        .size:           8
        .value_kind:     global_buffer
      - .offset:         24
        .size:           8
        .value_kind:     by_value
      - .address_space:  global
        .offset:         32
        .size:           8
        .value_kind:     global_buffer
      - .offset:         40
        .size:           8
        .value_kind:     by_value
      - .address_space:  global
        .offset:         48
        .size:           8
        .value_kind:     global_buffer
      - .offset:         56
        .size:           4
        .value_kind:     by_value
      - .offset:         60
        .size:           4
        .value_kind:     by_value
      - .offset:         64
        .size:           8
        .value_kind:     by_value
      - .address_space:  global
        .offset:         72
        .size:           8
        .value_kind:     global_buffer
      - .offset:         80
        .size:           4
        .value_kind:     by_value
      - .offset:         84
        .size:           4
        .value_kind:     by_value
      - .offset:         88
        .size:           8
        .value_kind:     by_value
      - .address_space:  global
        .offset:         96
        .size:           8
        .value_kind:     global_buffer
      - .offset:         104
        .size:           4
        .value_kind:     by_value
      - .offset:         108
        .size:           4
        .value_kind:     by_value
      - .offset:         112
        .size:           8
        .value_kind:     by_value
      - .offset:         120
        .size:           4
        .value_kind:     by_value
      - .offset:         124
        .size:           4
        .value_kind:     by_value
      - .offset:         128
        .size:           4
        .value_kind:     by_value
      - .offset:         132
        .size:           4
        .value_kind:     by_value
      - .offset:         136
        .size:           4
        .value_kind:     by_value
      - .address_space:  global
        .offset:         144
        .size:           8
        .value_kind:     global_buffer
      - .address_space:  global
        .offset:         152
        .size:           8
        .value_kind:     global_buffer
      - .offset:         160
        .size:           4
        .value_kind:     by_value
      - .offset:         168
        .size:           8
        .value_kind:     by_value
      - .address_space:  global
        .offset:         176
        .size:           8
        .value_kind:     global_buffer
      - .offset:         184
        .size:           4
        .value_kind:     hidden_block_count_x
      - .offset:         188
        .size:           4
        .value_kind:     hidden_block_count_y
      - .offset:         192
        .size:           4
        .value_kind:     hidden_block_count_z
      - .offset:         196
        .size:           2
        .value_kind:     hidden_group_size_x
      - .offset:         198
        .size:           2
        .value_kind:     hidden_group_size_y
      - .offset:         200
        .size:           2
        .value_kind:     hidden_group_size_z
      - .offset:         202
        .size:           2
        .value_kind:     hidden_remainder_x
      - .offset:         204
        .size:           2
        .value_kind:     hidden_remainder_y
      - .offset:         206
        .size:           2
        .value_kind:     hidden_remainder_z
      - .offset:         224
        .size:           8
        .value_kind:     hidden_global_offset_x
      - .offset:         232
        .size:           8
        .value_kind:     hidden_global_offset_y
      - .offset:         240
        .size:           8
        .value_kind:     hidden_global_offset_z
      - .offset:         248
        .size:           2
        .value_kind:     hidden_grid_dims
    .group_segment_fixed_size: 1040
    .kernarg_segment_align: 8
    .kernarg_segment_size: 440
    .language:       OpenCL C
    .language_version:
      - 2
      - 0
    .max_flat_workgroup_size: 1024
    .name:           _ZN9rocsolver6v33100L13bdsqr_computeILi256E19rocblas_complex_numIfEfPS3_S4_S4_EEviiiiPT1_lS6_lT2_iilT3_iilT4_iiliS5_S5_S5_S5_PiS6_ilSA_
    .private_segment_fixed_size: 0
    .sgpr_count:     100
    .sgpr_spill_count: 27
    .symbol:         _ZN9rocsolver6v33100L13bdsqr_computeILi256E19rocblas_complex_numIfEfPS3_S4_S4_EEviiiiPT1_lS6_lT2_iilT3_iilT4_iiliS5_S5_S5_S5_PiS6_ilSA_.kd
    .uniform_work_group_size: 1
    .uses_dynamic_stack: false
    .vgpr_count:     39
    .vgpr_spill_count: 0
    .wavefront_size: 64
  - .agpr_count:     0
    .args:
      - .offset:         0
        .size:           4
        .value_kind:     by_value
      - .offset:         4
        .size:           4
        .value_kind:     by_value
      - .offset:         8
        .size:           4
        .value_kind:     by_value
      - .offset:         12
        .size:           4
        .value_kind:     by_value
      - .address_space:  global
        .offset:         16
        .size:           8
        .value_kind:     global_buffer
      - .offset:         24
        .size:           4
        .value_kind:     by_value
      - .offset:         28
        .size:           4
        .value_kind:     by_value
      - .offset:         32
        .size:           8
        .value_kind:     by_value
      - .address_space:  global
        .offset:         40
        .size:           8
        .value_kind:     global_buffer
      - .offset:         48
        .size:           4
        .value_kind:     by_value
      - .offset:         52
        .size:           4
        .value_kind:     by_value
      - .offset:         56
        .size:           8
        .value_kind:     by_value
      - .address_space:  global
        .offset:         64
        .size:           8
        .value_kind:     global_buffer
      - .offset:         72
        .size:           4
        .value_kind:     by_value
      - .offset:         76
        .size:           4
        .value_kind:     by_value
      - .offset:         80
        .size:           8
        .value_kind:     by_value
      - .offset:         88
        .size:           4
        .value_kind:     by_value
      - .address_space:  global
        .offset:         96
        .size:           8
        .value_kind:     global_buffer
      - .address_space:  global
        .offset:         104
        .size:           8
        .value_kind:     global_buffer
      - .offset:         112
        .size:           4
        .value_kind:     by_value
      - .offset:         120
        .size:           8
        .value_kind:     by_value
      - .address_space:  global
        .offset:         128
        .size:           8
        .value_kind:     global_buffer
      - .offset:         136
        .size:           4
        .value_kind:     hidden_block_count_x
      - .offset:         140
        .size:           4
        .value_kind:     hidden_block_count_y
      - .offset:         144
        .size:           4
        .value_kind:     hidden_block_count_z
      - .offset:         148
        .size:           2
        .value_kind:     hidden_group_size_x
      - .offset:         150
        .size:           2
        .value_kind:     hidden_group_size_y
      - .offset:         152
        .size:           2
        .value_kind:     hidden_group_size_z
      - .offset:         154
        .size:           2
        .value_kind:     hidden_remainder_x
      - .offset:         156
        .size:           2
        .value_kind:     hidden_remainder_y
      - .offset:         158
        .size:           2
        .value_kind:     hidden_remainder_z
      - .offset:         176
        .size:           8
        .value_kind:     hidden_global_offset_x
      - .offset:         184
        .size:           8
        .value_kind:     hidden_global_offset_y
      - .offset:         192
        .size:           8
        .value_kind:     hidden_global_offset_z
      - .offset:         200
        .size:           2
        .value_kind:     hidden_grid_dims
    .group_segment_fixed_size: 0
    .kernarg_segment_align: 8
    .kernarg_segment_size: 392
    .language:       OpenCL C
    .language_version:
      - 2
      - 0
    .max_flat_workgroup_size: 1024
    .name:           _ZN9rocsolver6v33100L12bdsqr_rotateI19rocblas_complex_numIfEfPS3_S4_S4_EEviiiiT1_iilT2_iilT3_iiliPiPT0_ilS8_
    .private_segment_fixed_size: 0
    .sgpr_count:     52
    .sgpr_spill_count: 0
    .symbol:         _ZN9rocsolver6v33100L12bdsqr_rotateI19rocblas_complex_numIfEfPS3_S4_S4_EEviiiiT1_iilT2_iilT3_iiliPiPT0_ilS8_.kd
    .uniform_work_group_size: 1
    .uses_dynamic_stack: false
    .vgpr_count:     22
    .vgpr_spill_count: 0
    .wavefront_size: 64
  - .agpr_count:     0
    .args:
      - .offset:         0
        .size:           4
        .value_kind:     by_value
      - .offset:         4
        .size:           4
        .value_kind:     by_value
      - .offset:         8
        .size:           4
        .value_kind:     by_value
      - .offset:         12
        .size:           4
        .value_kind:     by_value
      - .address_space:  global
        .offset:         16
        .size:           8
        .value_kind:     global_buffer
      - .offset:         24
        .size:           8
        .value_kind:     by_value
      - .address_space:  global
        .offset:         32
        .size:           8
        .value_kind:     global_buffer
      - .offset:         40
        .size:           8
        .value_kind:     by_value
      - .address_space:  global
        .offset:         48
        .size:           8
        .value_kind:     global_buffer
      - .offset:         56
        .size:           4
        .value_kind:     by_value
      - .offset:         60
        .size:           4
        .value_kind:     by_value
      - .offset:         64
        .size:           8
        .value_kind:     by_value
      - .address_space:  global
        .offset:         72
        .size:           8
        .value_kind:     global_buffer
      - .offset:         80
        .size:           4
        .value_kind:     by_value
      - .offset:         84
        .size:           4
        .value_kind:     by_value
      - .offset:         88
        .size:           8
        .value_kind:     by_value
      - .address_space:  global
        .offset:         96
        .size:           8
        .value_kind:     global_buffer
      - .offset:         104
        .size:           4
        .value_kind:     by_value
      - .offset:         108
        .size:           4
        .value_kind:     by_value
      - .offset:         112
        .size:           8
        .value_kind:     by_value
      - .address_space:  global
        .offset:         120
        .size:           8
        .value_kind:     global_buffer
      - .address_space:  global
        .offset:         128
        .size:           8
        .value_kind:     global_buffer
      - .address_space:  global
        .offset:         136
        .size:           8
        .value_kind:     global_buffer
      - .offset:         144
        .size:           4
        .value_kind:     hidden_block_count_x
      - .offset:         148
        .size:           4
        .value_kind:     hidden_block_count_y
      - .offset:         152
        .size:           4
        .value_kind:     hidden_block_count_z
      - .offset:         156
        .size:           2
        .value_kind:     hidden_group_size_x
      - .offset:         158
        .size:           2
        .value_kind:     hidden_group_size_y
      - .offset:         160
        .size:           2
        .value_kind:     hidden_group_size_z
      - .offset:         162
        .size:           2
        .value_kind:     hidden_remainder_x
      - .offset:         164
        .size:           2
        .value_kind:     hidden_remainder_y
      - .offset:         166
        .size:           2
        .value_kind:     hidden_remainder_z
      - .offset:         184
        .size:           8
        .value_kind:     hidden_global_offset_x
      - .offset:         192
        .size:           8
        .value_kind:     hidden_global_offset_y
      - .offset:         200
        .size:           8
        .value_kind:     hidden_global_offset_z
      - .offset:         208
        .size:           2
        .value_kind:     hidden_grid_dims
      - .offset:         224
        .size:           8
        .value_kind:     hidden_hostcall_buffer
    .group_segment_fixed_size: 0
    .kernarg_segment_align: 8
    .kernarg_segment_size: 400
    .language:       OpenCL C
    .language_version:
      - 2
      - 0
    .max_flat_workgroup_size: 1024
    .name:           _ZN9rocsolver6v33100L14bdsqr_finalizeI19rocblas_complex_numIfEfPS3_S4_S4_EEviiiiPT0_lS6_lT1_iilT2_iilT3_iilPiSA_SA_
    .private_segment_fixed_size: 64
    .sgpr_count:     84
    .sgpr_spill_count: 0
    .symbol:         _ZN9rocsolver6v33100L14bdsqr_finalizeI19rocblas_complex_numIfEfPS3_S4_S4_EEviiiiPT0_lS6_lT1_iilT2_iilT3_iilPiSA_SA_.kd
    .uniform_work_group_size: 1
    .uses_dynamic_stack: false
    .vgpr_count:     45
    .vgpr_spill_count: 0
    .wavefront_size: 64
  - .agpr_count:     0
    .args:
      - .offset:         0
        .size:           4
        .value_kind:     by_value
      - .offset:         4
        .size:           4
        .value_kind:     by_value
      - .address_space:  global
        .offset:         8
        .size:           8
        .value_kind:     global_buffer
      - .offset:         16
        .size:           4
        .value_kind:     by_value
      - .offset:         20
        .size:           4
        .value_kind:     by_value
      - .offset:         24
        .size:           8
        .value_kind:     by_value
      - .address_space:  global
        .offset:         32
        .size:           8
        .value_kind:     global_buffer
      - .offset:         40
        .size:           4
        .value_kind:     by_value
      - .offset:         44
        .size:           4
        .value_kind:     by_value
      - .offset:         48
        .size:           8
        .value_kind:     by_value
      - .offset:         56
        .size:           1
        .value_kind:     by_value
      - .offset:         60
        .size:           4
        .value_kind:     by_value
      - .offset:         64
        .size:           4
        .value_kind:     by_value
      - .offset:         72
        .size:           4
        .value_kind:     hidden_block_count_x
      - .offset:         76
        .size:           4
        .value_kind:     hidden_block_count_y
      - .offset:         80
        .size:           4
        .value_kind:     hidden_block_count_z
      - .offset:         84
        .size:           2
        .value_kind:     hidden_group_size_x
      - .offset:         86
        .size:           2
        .value_kind:     hidden_group_size_y
      - .offset:         88
        .size:           2
        .value_kind:     hidden_group_size_z
      - .offset:         90
        .size:           2
        .value_kind:     hidden_remainder_x
      - .offset:         92
        .size:           2
        .value_kind:     hidden_remainder_y
      - .offset:         94
        .size:           2
        .value_kind:     hidden_remainder_z
      - .offset:         112
        .size:           8
        .value_kind:     hidden_global_offset_x
      - .offset:         120
        .size:           8
        .value_kind:     hidden_global_offset_y
      - .offset:         128
        .size:           8
        .value_kind:     hidden_global_offset_z
      - .offset:         136
        .size:           2
        .value_kind:     hidden_grid_dims
    .group_segment_fixed_size: 0
    .kernarg_segment_align: 8
    .kernarg_segment_size: 328
    .language:       OpenCL C
    .language_version:
      - 2
      - 0
    .max_flat_workgroup_size: 1024
    .name:           _ZN9rocsolver6v33100L8copy_matI19rocblas_complex_numIfEPS3_PKS4_NS0_7no_maskEEEviiT0_iilT1_iilT2_13rocblas_fill_17rocblas_diagonal_
    .private_segment_fixed_size: 0
    .sgpr_count:     24
    .sgpr_spill_count: 0
    .symbol:         _ZN9rocsolver6v33100L8copy_matI19rocblas_complex_numIfEPS3_PKS4_NS0_7no_maskEEEviiT0_iilT1_iilT2_13rocblas_fill_17rocblas_diagonal_.kd
    .uniform_work_group_size: 1
    .uses_dynamic_stack: false
    .vgpr_count:     6
    .vgpr_spill_count: 0
    .wavefront_size: 64
  - .agpr_count:     0
    .args:
      - .address_space:  global
        .offset:         0
        .size:           8
        .value_kind:     global_buffer
      - .offset:         8
        .size:           8
        .value_kind:     by_value
      - .offset:         16
        .size:           8
        .value_kind:     by_value
      - .address_space:  global
        .offset:         24
        .size:           8
        .value_kind:     global_buffer
      - .offset:         32
        .size:           8
        .value_kind:     by_value
      - .offset:         40
        .size:           4
        .value_kind:     by_value
      - .offset:         48
        .size:           8
        .value_kind:     by_value
      - .offset:         56
        .size:           4
        .value_kind:     by_value
      - .offset:         60
        .size:           1
        .value_kind:     by_value
      - .offset:         64
        .size:           4
        .value_kind:     hidden_block_count_x
      - .offset:         68
        .size:           4
        .value_kind:     hidden_block_count_y
      - .offset:         72
        .size:           4
        .value_kind:     hidden_block_count_z
      - .offset:         76
        .size:           2
        .value_kind:     hidden_group_size_x
      - .offset:         78
        .size:           2
        .value_kind:     hidden_group_size_y
      - .offset:         80
        .size:           2
        .value_kind:     hidden_group_size_z
      - .offset:         82
        .size:           2
        .value_kind:     hidden_remainder_x
      - .offset:         84
        .size:           2
        .value_kind:     hidden_remainder_y
      - .offset:         86
        .size:           2
        .value_kind:     hidden_remainder_z
      - .offset:         104
        .size:           8
        .value_kind:     hidden_global_offset_x
      - .offset:         112
        .size:           8
        .value_kind:     hidden_global_offset_y
      - .offset:         120
        .size:           8
        .value_kind:     hidden_global_offset_z
      - .offset:         128
        .size:           2
        .value_kind:     hidden_grid_dims
    .group_segment_fixed_size: 0
    .kernarg_segment_align: 8
    .kernarg_segment_size: 320
    .language:       OpenCL C
    .language_version:
      - 2
      - 0
    .max_flat_workgroup_size: 1024
    .name:           _ZN9rocsolver6v33100L8set_diagI19rocblas_complex_numIfEiS3_PS3_TnNSt9enable_ifIXoont18rocblas_is_complexIT_E18rocblas_is_complexIT1_EEiE4typeELi0EEEvPS7_llT2_lT0_lSC_b
    .private_segment_fixed_size: 0
    .sgpr_count:     23
    .sgpr_spill_count: 0
    .symbol:         _ZN9rocsolver6v33100L8set_diagI19rocblas_complex_numIfEiS3_PS3_TnNSt9enable_ifIXoont18rocblas_is_complexIT_E18rocblas_is_complexIT1_EEiE4typeELi0EEEvPS7_llT2_lT0_lSC_b.kd
    .uniform_work_group_size: 1
    .uses_dynamic_stack: false
    .vgpr_count:     7
    .vgpr_spill_count: 0
    .wavefront_size: 64
  - .agpr_count:     0
    .args:
      - .address_space:  global
        .offset:         0
        .size:           8
        .value_kind:     global_buffer
      - .offset:         8
        .size:           8
        .value_kind:     by_value
      - .offset:         16
        .size:           8
        .value_kind:     by_value
      - .address_space:  global
        .offset:         24
        .size:           8
        .value_kind:     global_buffer
      - .offset:         32
        .size:           8
        .value_kind:     by_value
      - .offset:         40
        .size:           4
        .value_kind:     by_value
      - .offset:         48
        .size:           8
        .value_kind:     by_value
      - .offset:         56
        .size:           4
        .value_kind:     by_value
      - .offset:         64
        .size:           4
        .value_kind:     hidden_block_count_x
      - .offset:         68
        .size:           4
        .value_kind:     hidden_block_count_y
      - .offset:         72
        .size:           4
        .value_kind:     hidden_block_count_z
      - .offset:         76
        .size:           2
        .value_kind:     hidden_group_size_x
      - .offset:         78
        .size:           2
        .value_kind:     hidden_group_size_y
      - .offset:         80
        .size:           2
        .value_kind:     hidden_group_size_z
      - .offset:         82
        .size:           2
        .value_kind:     hidden_remainder_x
      - .offset:         84
        .size:           2
        .value_kind:     hidden_remainder_y
      - .offset:         86
        .size:           2
        .value_kind:     hidden_remainder_z
      - .offset:         104
        .size:           8
        .value_kind:     hidden_global_offset_x
      - .offset:         112
        .size:           8
        .value_kind:     hidden_global_offset_y
      - .offset:         120
        .size:           8
        .value_kind:     hidden_global_offset_z
      - .offset:         128
        .size:           2
        .value_kind:     hidden_grid_dims
    .group_segment_fixed_size: 0
    .kernarg_segment_align: 8
    .kernarg_segment_size: 320
    .language:       OpenCL C
    .language_version:
      - 2
      - 0
    .max_flat_workgroup_size: 1024
    .name:           _ZN9rocsolver6v33100L12restore_diagI19rocblas_complex_numIfEiS3_PS3_EEvPT1_llT2_lT0_lS8_
    .private_segment_fixed_size: 0
    .sgpr_count:     20
    .sgpr_spill_count: 0
    .symbol:         _ZN9rocsolver6v33100L12restore_diagI19rocblas_complex_numIfEiS3_PS3_EEvPT1_llT2_lT0_lS8_.kd
    .uniform_work_group_size: 1
    .uses_dynamic_stack: false
    .vgpr_count:     5
    .vgpr_spill_count: 0
    .wavefront_size: 64
  - .agpr_count:     0
    .args:
      - .address_space:  global
        .offset:         0
        .size:           8
        .value_kind:     global_buffer
      - .offset:         8
        .size:           4
        .value_kind:     by_value
      - .offset:         16
        .size:           16
        .value_kind:     by_value
    .group_segment_fixed_size: 0
    .kernarg_segment_align: 8
    .kernarg_segment_size: 32
    .language:       OpenCL C
    .language_version:
      - 2
      - 0
    .max_flat_workgroup_size: 32
    .name:           _ZN9rocsolver6v33100L6iota_nI19rocblas_complex_numIdEEEvPT_jS4_
    .private_segment_fixed_size: 0
    .sgpr_count:     12
    .sgpr_spill_count: 0
    .symbol:         _ZN9rocsolver6v33100L6iota_nI19rocblas_complex_numIdEEEvPT_jS4_.kd
    .uniform_work_group_size: 1
    .uses_dynamic_stack: false
    .vgpr_count:     5
    .vgpr_spill_count: 0
    .wavefront_size: 64
  - .agpr_count:     0
    .args:
      - .offset:         0
        .size:           4
        .value_kind:     by_value
      - .offset:         4
        .size:           4
        .value_kind:     by_value
      - .address_space:  global
        .offset:         8
        .size:           8
        .value_kind:     global_buffer
      - .offset:         16
        .size:           8
        .value_kind:     by_value
      - .offset:         24
        .size:           4
        .value_kind:     by_value
      - .offset:         32
        .size:           8
        .value_kind:     by_value
      - .address_space:  global
        .offset:         40
        .size:           8
        .value_kind:     global_buffer
      - .offset:         48
        .size:           8
        .value_kind:     by_value
      - .address_space:  global
        .offset:         56
        .size:           8
        .value_kind:     global_buffer
      - .offset:         64
        .size:           8
        .value_kind:     by_value
    .group_segment_fixed_size: 0
    .kernarg_segment_align: 8
    .kernarg_segment_size: 72
    .language:       OpenCL C
    .language_version:
      - 2
      - 0
    .max_flat_workgroup_size: 256
    .name:           _ZN9rocsolver6v33100L18geqr2_kernel_smallILi256E19rocblas_complex_numIdEidPKPS3_EEvT1_S7_T3_lS7_lPT2_lPT0_l
    .private_segment_fixed_size: 0
    .sgpr_count:     56
    .sgpr_spill_count: 0
    .symbol:         _ZN9rocsolver6v33100L18geqr2_kernel_smallILi256E19rocblas_complex_numIdEidPKPS3_EEvT1_S7_T3_lS7_lPT2_lPT0_l.kd
    .uniform_work_group_size: 1
    .uses_dynamic_stack: false
    .vgpr_count:     40
    .vgpr_spill_count: 0
    .wavefront_size: 64
  - .agpr_count:     0
    .args:
      - .address_space:  global
        .offset:         0
        .size:           8
        .value_kind:     global_buffer
      - .offset:         8
        .size:           8
        .value_kind:     by_value
      - .offset:         16
        .size:           4
        .value_kind:     by_value
      - .offset:         20
        .size:           4
        .value_kind:     by_value
      - .offset:         24
        .size:           4
        .value_kind:     hidden_block_count_x
      - .offset:         28
        .size:           4
        .value_kind:     hidden_block_count_y
      - .offset:         32
        .size:           4
        .value_kind:     hidden_block_count_z
      - .offset:         36
        .size:           2
        .value_kind:     hidden_group_size_x
      - .offset:         38
        .size:           2
        .value_kind:     hidden_group_size_y
      - .offset:         40
        .size:           2
        .value_kind:     hidden_group_size_z
      - .offset:         42
        .size:           2
        .value_kind:     hidden_remainder_x
      - .offset:         44
        .size:           2
        .value_kind:     hidden_remainder_y
      - .offset:         46
        .size:           2
        .value_kind:     hidden_remainder_z
      - .offset:         64
        .size:           8
        .value_kind:     hidden_global_offset_x
      - .offset:         72
        .size:           8
        .value_kind:     hidden_global_offset_y
      - .offset:         80
        .size:           8
        .value_kind:     hidden_global_offset_z
      - .offset:         88
        .size:           2
        .value_kind:     hidden_grid_dims
    .group_segment_fixed_size: 0
    .kernarg_segment_align: 8
    .kernarg_segment_size: 280
    .language:       OpenCL C
    .language_version:
      - 2
      - 0
    .max_flat_workgroup_size: 1024
    .name:           _ZN9rocsolver6v33100L16reset_batch_infoI19rocblas_complex_numIdEiiPS3_EEvT2_lT0_T1_
    .private_segment_fixed_size: 0
    .sgpr_count:     16
    .sgpr_spill_count: 0
    .symbol:         _ZN9rocsolver6v33100L16reset_batch_infoI19rocblas_complex_numIdEiiPS3_EEvT2_lT0_T1_.kd
    .uniform_work_group_size: 1
    .uses_dynamic_stack: false
    .vgpr_count:     6
    .vgpr_spill_count: 0
    .wavefront_size: 64
  - .agpr_count:     0
    .args:
      - .address_space:  global
        .offset:         0
        .size:           8
        .value_kind:     global_buffer
      - .offset:         8
        .size:           8
        .value_kind:     by_value
      - .offset:         16
        .size:           8
        .value_kind:     by_value
      - .address_space:  global
        .offset:         24
        .size:           8
        .value_kind:     global_buffer
      - .offset:         32
        .size:           8
        .value_kind:     by_value
      - .offset:         40
        .size:           4
        .value_kind:     by_value
      - .offset:         48
        .size:           8
        .value_kind:     by_value
      - .offset:         56
        .size:           4
        .value_kind:     by_value
      - .offset:         60
        .size:           1
        .value_kind:     by_value
      - .offset:         64
        .size:           4
        .value_kind:     hidden_block_count_x
      - .offset:         68
        .size:           4
        .value_kind:     hidden_block_count_y
      - .offset:         72
        .size:           4
        .value_kind:     hidden_block_count_z
      - .offset:         76
        .size:           2
        .value_kind:     hidden_group_size_x
      - .offset:         78
        .size:           2
        .value_kind:     hidden_group_size_y
      - .offset:         80
        .size:           2
        .value_kind:     hidden_group_size_z
      - .offset:         82
        .size:           2
        .value_kind:     hidden_remainder_x
      - .offset:         84
        .size:           2
        .value_kind:     hidden_remainder_y
      - .offset:         86
        .size:           2
        .value_kind:     hidden_remainder_z
      - .offset:         104
        .size:           8
        .value_kind:     hidden_global_offset_x
      - .offset:         112
        .size:           8
        .value_kind:     hidden_global_offset_y
      - .offset:         120
        .size:           8
        .value_kind:     hidden_global_offset_z
      - .offset:         128
        .size:           2
        .value_kind:     hidden_grid_dims
    .group_segment_fixed_size: 0
    .kernarg_segment_align: 8
    .kernarg_segment_size: 320
    .language:       OpenCL C
    .language_version:
      - 2
      - 0
    .max_flat_workgroup_size: 1024
    .name:           _ZN9rocsolver6v33100L8set_diagI19rocblas_complex_numIdEidPKPS3_TnNSt9enable_ifIXaa18rocblas_is_complexIT_Ent18rocblas_is_complexIT1_EEiE4typeELi0EEEvPS9_llT2_lT0_lSE_b
    .private_segment_fixed_size: 0
    .sgpr_count:     23
    .sgpr_spill_count: 0
    .symbol:         _ZN9rocsolver6v33100L8set_diagI19rocblas_complex_numIdEidPKPS3_TnNSt9enable_ifIXaa18rocblas_is_complexIT_Ent18rocblas_is_complexIT1_EEiE4typeELi0EEEvPS9_llT2_lT0_lSE_b.kd
    .uniform_work_group_size: 1
    .uses_dynamic_stack: false
    .vgpr_count:     7
    .vgpr_spill_count: 0
    .wavefront_size: 64
  - .agpr_count:     0
    .args:
      - .address_space:  global
        .offset:         0
        .size:           8
        .value_kind:     global_buffer
      - .offset:         8
        .size:           8
        .value_kind:     by_value
      - .address_space:  global
        .offset:         16
        .size:           8
        .value_kind:     global_buffer
      - .address_space:  global
        .offset:         24
        .size:           8
        .value_kind:     global_buffer
      - .offset:         32
        .size:           8
        .value_kind:     by_value
      - .offset:         40
        .size:           8
        .value_kind:     by_value
      - .address_space:  global
        .offset:         48
        .size:           8
        .value_kind:     global_buffer
      - .offset:         56
        .size:           8
        .value_kind:     by_value
      - .offset:         64
        .size:           8
        .value_kind:     by_value
    .group_segment_fixed_size: 0
    .kernarg_segment_align: 8
    .kernarg_segment_size: 72
    .language:       OpenCL C
    .language_version:
      - 2
      - 0
    .max_flat_workgroup_size: 1024
    .name:           _ZN9rocsolver6v33100L11set_taubetaI19rocblas_complex_numIdEidPKPS3_EEvPT_lS8_T2_llPT1_ll
    .private_segment_fixed_size: 0
    .sgpr_count:     26
    .sgpr_spill_count: 0
    .symbol:         _ZN9rocsolver6v33100L11set_taubetaI19rocblas_complex_numIdEidPKPS3_EEvPT_lS8_T2_llPT1_ll.kd
    .uniform_work_group_size: 1
    .uses_dynamic_stack: false
    .vgpr_count:     16
    .vgpr_spill_count: 0
    .wavefront_size: 64
  - .agpr_count:     0
    .args:
      - .offset:         0
        .size:           4
        .value_kind:     by_value
      - .offset:         4
        .size:           4
        .value_kind:     by_value
      - .address_space:  global
        .offset:         8
        .size:           8
        .value_kind:     global_buffer
      - .offset:         16
        .size:           8
        .value_kind:     by_value
      - .offset:         24
        .size:           4
        .value_kind:     by_value
      - .offset:         32
        .size:           8
        .value_kind:     by_value
      - .offset:         40
        .size:           4
        .value_kind:     hidden_block_count_x
      - .offset:         44
        .size:           4
        .value_kind:     hidden_block_count_y
      - .offset:         48
        .size:           4
        .value_kind:     hidden_block_count_z
      - .offset:         52
        .size:           2
        .value_kind:     hidden_group_size_x
      - .offset:         54
        .size:           2
        .value_kind:     hidden_group_size_y
      - .offset:         56
        .size:           2
        .value_kind:     hidden_group_size_z
      - .offset:         58
        .size:           2
        .value_kind:     hidden_remainder_x
      - .offset:         60
        .size:           2
        .value_kind:     hidden_remainder_y
      - .offset:         62
        .size:           2
        .value_kind:     hidden_remainder_z
      - .offset:         80
        .size:           8
        .value_kind:     hidden_global_offset_x
      - .offset:         88
        .size:           8
        .value_kind:     hidden_global_offset_y
      - .offset:         96
        .size:           8
        .value_kind:     hidden_global_offset_z
      - .offset:         104
        .size:           2
        .value_kind:     hidden_grid_dims
    .group_segment_fixed_size: 0
    .kernarg_segment_align: 8
    .kernarg_segment_size: 296
    .language:       OpenCL C
    .language_version:
      - 2
      - 0
    .max_flat_workgroup_size: 1024
    .name:           _ZN9rocsolver6v33100L13conj_in_placeI19rocblas_complex_numIdEiPS3_TnNSt9enable_ifIX18rocblas_is_complexIT_EEiE4typeELi0EEEvT0_S9_T1_lS9_l
    .private_segment_fixed_size: 0
    .sgpr_count:     14
    .sgpr_spill_count: 0
    .symbol:         _ZN9rocsolver6v33100L13conj_in_placeI19rocblas_complex_numIdEiPS3_TnNSt9enable_ifIX18rocblas_is_complexIT_EEiE4typeELi0EEEvT0_S9_T1_lS9_l.kd
    .uniform_work_group_size: 1
    .uses_dynamic_stack: false
    .vgpr_count:     8
    .vgpr_spill_count: 0
    .wavefront_size: 64
  - .agpr_count:     0
    .args:
      - .offset:         0
        .size:           4
        .value_kind:     by_value
      - .offset:         4
        .size:           4
        .value_kind:     by_value
      - .address_space:  global
        .offset:         8
        .size:           8
        .value_kind:     global_buffer
      - .offset:         16
        .size:           8
        .value_kind:     by_value
      - .offset:         24
        .size:           4
        .value_kind:     by_value
      - .offset:         32
        .size:           8
        .value_kind:     by_value
      - .address_space:  global
        .offset:         40
        .size:           8
        .value_kind:     global_buffer
      - .offset:         48
        .size:           8
        .value_kind:     by_value
      - .address_space:  global
        .offset:         56
        .size:           8
        .value_kind:     global_buffer
      - .offset:         64
        .size:           8
        .value_kind:     by_value
      - .offset:         72
        .size:           4
        .value_kind:     by_value
      - .offset:         80
        .size:           8
        .value_kind:     by_value
    .group_segment_fixed_size: 0
    .kernarg_segment_align: 8
    .kernarg_segment_size: 88
    .language:       OpenCL C
    .language_version:
      - 2
      - 0
    .max_flat_workgroup_size: 1024
    .name:           _ZN9rocsolver6v33100L16larf_left_kernelILi1024E19rocblas_complex_numIdEiPKPS3_EEvT1_S7_T2_lS7_lPKT0_lS8_lS7_l
    .private_segment_fixed_size: 0
    .sgpr_count:     34
    .sgpr_spill_count: 0
    .symbol:         _ZN9rocsolver6v33100L16larf_left_kernelILi1024E19rocblas_complex_numIdEiPKPS3_EEvT1_S7_T2_lS7_lPKT0_lS8_lS7_l.kd
    .uniform_work_group_size: 1
    .uses_dynamic_stack: false
    .vgpr_count:     22
    .vgpr_spill_count: 0
    .wavefront_size: 64
  - .agpr_count:     0
    .args:
      - .offset:         0
        .size:           4
        .value_kind:     by_value
      - .offset:         4
        .size:           4
        .value_kind:     by_value
      - .address_space:  global
        .offset:         8
        .size:           8
        .value_kind:     global_buffer
      - .offset:         16
        .size:           8
        .value_kind:     by_value
      - .offset:         24
        .size:           4
        .value_kind:     by_value
      - .offset:         32
        .size:           8
        .value_kind:     by_value
      - .address_space:  global
        .offset:         40
        .size:           8
        .value_kind:     global_buffer
      - .offset:         48
        .size:           8
        .value_kind:     by_value
      - .address_space:  global
        .offset:         56
        .size:           8
        .value_kind:     global_buffer
      - .offset:         64
        .size:           8
        .value_kind:     by_value
      - .offset:         72
        .size:           4
        .value_kind:     by_value
      - .offset:         80
        .size:           8
        .value_kind:     by_value
    .group_segment_fixed_size: 0
    .kernarg_segment_align: 8
    .kernarg_segment_size: 88
    .language:       OpenCL C
    .language_version:
      - 2
      - 0
    .max_flat_workgroup_size: 1024
    .name:           _ZN9rocsolver6v33100L17larf_right_kernelILi1024E19rocblas_complex_numIdEiPKPS3_EEvT1_S7_T2_lS7_lPKT0_lS8_lS7_l
    .private_segment_fixed_size: 0
    .sgpr_count:     34
    .sgpr_spill_count: 0
    .symbol:         _ZN9rocsolver6v33100L17larf_right_kernelILi1024E19rocblas_complex_numIdEiPKPS3_EEvT1_S7_T2_lS7_lPKT0_lS8_lS7_l.kd
    .uniform_work_group_size: 1
    .uses_dynamic_stack: false
    .vgpr_count:     23
    .vgpr_spill_count: 0
    .wavefront_size: 64
  - .agpr_count:     0
    .args:
      - .address_space:  global
        .offset:         0
        .size:           8
        .value_kind:     global_buffer
      - .address_space:  global
        .offset:         8
        .size:           8
        .value_kind:     global_buffer
      - .offset:         16
        .size:           8
        .value_kind:     by_value
      - .offset:         24
        .size:           4
        .value_kind:     by_value
      - .offset:         32
        .size:           4
        .value_kind:     hidden_block_count_x
      - .offset:         36
        .size:           4
        .value_kind:     hidden_block_count_y
      - .offset:         40
        .size:           4
        .value_kind:     hidden_block_count_z
      - .offset:         44
        .size:           2
        .value_kind:     hidden_group_size_x
      - .offset:         46
        .size:           2
        .value_kind:     hidden_group_size_y
      - .offset:         48
        .size:           2
        .value_kind:     hidden_group_size_z
      - .offset:         50
        .size:           2
        .value_kind:     hidden_remainder_x
      - .offset:         52
        .size:           2
        .value_kind:     hidden_remainder_y
      - .offset:         54
        .size:           2
        .value_kind:     hidden_remainder_z
      - .offset:         72
        .size:           8
        .value_kind:     hidden_global_offset_x
      - .offset:         80
        .size:           8
        .value_kind:     hidden_global_offset_y
      - .offset:         88
        .size:           8
        .value_kind:     hidden_global_offset_z
      - .offset:         96
        .size:           2
        .value_kind:     hidden_grid_dims
    .group_segment_fixed_size: 0
    .kernarg_segment_align: 8
    .kernarg_segment_size: 288
    .language:       OpenCL C
    .language_version:
      - 2
      - 0
    .max_flat_workgroup_size: 1024
    .name:           _ZN9rocsolver6v33100L9get_arrayI19rocblas_complex_numIdEiEEvPPT_S5_lT0_
    .private_segment_fixed_size: 0
    .sgpr_count:     12
    .sgpr_spill_count: 0
    .symbol:         _ZN9rocsolver6v33100L9get_arrayI19rocblas_complex_numIdEiEEvPPT_S5_lT0_.kd
    .uniform_work_group_size: 1
    .uses_dynamic_stack: false
    .vgpr_count:     6
    .vgpr_spill_count: 0
    .wavefront_size: 64
  - .agpr_count:     0
    .args:
      - .address_space:  global
        .offset:         0
        .size:           8
        .value_kind:     global_buffer
      - .offset:         8
        .size:           8
        .value_kind:     by_value
      - .offset:         16
        .size:           8
        .value_kind:     by_value
      - .address_space:  global
        .offset:         24
        .size:           8
        .value_kind:     global_buffer
      - .offset:         32
        .size:           8
        .value_kind:     by_value
      - .offset:         40
        .size:           4
        .value_kind:     by_value
      - .offset:         48
        .size:           8
        .value_kind:     by_value
      - .offset:         56
        .size:           4
        .value_kind:     by_value
      - .offset:         64
        .size:           4
        .value_kind:     hidden_block_count_x
      - .offset:         68
        .size:           4
        .value_kind:     hidden_block_count_y
      - .offset:         72
        .size:           4
        .value_kind:     hidden_block_count_z
      - .offset:         76
        .size:           2
        .value_kind:     hidden_group_size_x
      - .offset:         78
        .size:           2
        .value_kind:     hidden_group_size_y
      - .offset:         80
        .size:           2
        .value_kind:     hidden_group_size_z
      - .offset:         82
        .size:           2
        .value_kind:     hidden_remainder_x
      - .offset:         84
        .size:           2
        .value_kind:     hidden_remainder_y
      - .offset:         86
        .size:           2
        .value_kind:     hidden_remainder_z
      - .offset:         104
        .size:           8
        .value_kind:     hidden_global_offset_x
      - .offset:         112
        .size:           8
        .value_kind:     hidden_global_offset_y
      - .offset:         120
        .size:           8
        .value_kind:     hidden_global_offset_z
      - .offset:         128
        .size:           2
        .value_kind:     hidden_grid_dims
    .group_segment_fixed_size: 0
    .kernarg_segment_align: 8
    .kernarg_segment_size: 320
    .language:       OpenCL C
    .language_version:
      - 2
      - 0
    .max_flat_workgroup_size: 1024
    .name:           _ZN9rocsolver6v33100L12restore_diagI19rocblas_complex_numIdEidPKPS3_EEvPT1_llT2_lT0_lSA_
    .private_segment_fixed_size: 0
    .sgpr_count:     21
    .sgpr_spill_count: 0
    .symbol:         _ZN9rocsolver6v33100L12restore_diagI19rocblas_complex_numIdEidPKPS3_EEvPT1_llT2_lT0_lSA_.kd
    .uniform_work_group_size: 1
    .uses_dynamic_stack: false
    .vgpr_count:     6
    .vgpr_spill_count: 0
    .wavefront_size: 64
  - .agpr_count:     0
    .args:
      - .offset:         0
        .size:           4
        .value_kind:     by_value
      - .offset:         4
        .size:           4
        .value_kind:     by_value
      - .address_space:  global
        .offset:         8
        .size:           8
        .value_kind:     global_buffer
      - .offset:         16
        .size:           4
        .value_kind:     by_value
      - .offset:         20
        .size:           4
        .value_kind:     by_value
      - .offset:         24
        .size:           8
        .value_kind:     by_value
      - .address_space:  global
        .offset:         32
        .size:           8
        .value_kind:     global_buffer
      - .offset:         40
        .size:           8
        .value_kind:     by_value
      - .address_space:  global
        .offset:         48
        .size:           8
        .value_kind:     global_buffer
      - .offset:         56
        .size:           4
        .value_kind:     by_value
      - .offset:         64
        .size:           8
        .value_kind:     by_value
      - .offset:         72
        .size:           4
        .value_kind:     by_value
      - .offset:         76
        .size:           4
        .value_kind:     by_value
      - .offset:         80
        .size:           1
        .value_kind:     by_value
      - .offset:         88
        .size:           4
        .value_kind:     hidden_block_count_x
      - .offset:         92
        .size:           4
        .value_kind:     hidden_block_count_y
      - .offset:         96
        .size:           4
        .value_kind:     hidden_block_count_z
      - .offset:         100
        .size:           2
        .value_kind:     hidden_group_size_x
      - .offset:         102
        .size:           2
        .value_kind:     hidden_group_size_y
      - .offset:         104
        .size:           2
        .value_kind:     hidden_group_size_z
      - .offset:         106
        .size:           2
        .value_kind:     hidden_remainder_x
      - .offset:         108
        .size:           2
        .value_kind:     hidden_remainder_y
      - .offset:         110
        .size:           2
        .value_kind:     hidden_remainder_z
      - .offset:         128
        .size:           8
        .value_kind:     hidden_global_offset_x
      - .offset:         136
        .size:           8
        .value_kind:     hidden_global_offset_y
      - .offset:         144
        .size:           8
        .value_kind:     hidden_global_offset_z
      - .offset:         152
        .size:           2
        .value_kind:     hidden_grid_dims
    .group_segment_fixed_size: 0
    .kernarg_segment_align: 8
    .kernarg_segment_size: 344
    .language:       OpenCL C
    .language_version:
      - 2
      - 0
    .max_flat_workgroup_size: 1024
    .name:           _ZN9rocsolver6v33100L14set_triangularI19rocblas_complex_numIdEPKPS3_TnNSt9enable_ifIX18rocblas_is_complexIT_EEiE4typeELi0EEEviiT0_iilPS8_lSC_il15rocblas_direct_15rocblas_storev_b
    .private_segment_fixed_size: 0
    .sgpr_count:     26
    .sgpr_spill_count: 0
    .symbol:         _ZN9rocsolver6v33100L14set_triangularI19rocblas_complex_numIdEPKPS3_TnNSt9enable_ifIX18rocblas_is_complexIT_EEiE4typeELi0EEEviiT0_iilPS8_lSC_il15rocblas_direct_15rocblas_storev_b.kd
    .uniform_work_group_size: 1
    .uses_dynamic_stack: false
    .vgpr_count:     22
    .vgpr_spill_count: 0
    .wavefront_size: 64
  - .agpr_count:     0
    .args:
      - .offset:         0
        .size:           4
        .value_kind:     by_value
      - .address_space:  global
        .offset:         8
        .size:           8
        .value_kind:     global_buffer
      - .offset:         16
        .size:           8
        .value_kind:     by_value
      - .offset:         24
        .size:           4
        .value_kind:     hidden_block_count_x
      - .offset:         28
        .size:           4
        .value_kind:     hidden_block_count_y
      - .offset:         32
        .size:           4
        .value_kind:     hidden_block_count_z
      - .offset:         36
        .size:           2
        .value_kind:     hidden_group_size_x
      - .offset:         38
        .size:           2
        .value_kind:     hidden_group_size_y
      - .offset:         40
        .size:           2
        .value_kind:     hidden_group_size_z
      - .offset:         42
        .size:           2
        .value_kind:     hidden_remainder_x
      - .offset:         44
        .size:           2
        .value_kind:     hidden_remainder_y
      - .offset:         46
        .size:           2
        .value_kind:     hidden_remainder_z
      - .offset:         64
        .size:           8
        .value_kind:     hidden_global_offset_x
      - .offset:         72
        .size:           8
        .value_kind:     hidden_global_offset_y
      - .offset:         80
        .size:           8
        .value_kind:     hidden_global_offset_z
      - .offset:         88
        .size:           2
        .value_kind:     hidden_grid_dims
    .group_segment_fixed_size: 0
    .kernarg_segment_align: 8
    .kernarg_segment_size: 280
    .language:       OpenCL C
    .language_version:
      - 2
      - 0
    .max_flat_workgroup_size: 1024
    .name:           _ZN9rocsolver6v33100L7set_tauI19rocblas_complex_numIdEEEviPT_l
    .private_segment_fixed_size: 0
    .sgpr_count:     12
    .sgpr_spill_count: 0
    .symbol:         _ZN9rocsolver6v33100L7set_tauI19rocblas_complex_numIdEEEviPT_l.kd
    .uniform_work_group_size: 1
    .uses_dynamic_stack: false
    .vgpr_count:     6
    .vgpr_spill_count: 0
    .wavefront_size: 64
  - .agpr_count:     0
    .args:
      - .offset:         0
        .size:           4
        .value_kind:     by_value
      - .offset:         4
        .size:           4
        .value_kind:     by_value
      - .offset:         8
        .size:           4
        .value_kind:     by_value
      - .address_space:  global
        .offset:         16
        .size:           8
        .value_kind:     global_buffer
      - .offset:         24
        .size:           4
        .value_kind:     by_value
      - .offset:         28
        .size:           4
        .value_kind:     by_value
      - .offset:         32
        .size:           8
        .value_kind:     by_value
      - .address_space:  global
        .offset:         40
        .size:           8
        .value_kind:     global_buffer
      - .offset:         48
        .size:           8
        .value_kind:     by_value
      - .address_space:  global
        .offset:         56
        .size:           8
        .value_kind:     global_buffer
      - .offset:         64
        .size:           4
        .value_kind:     by_value
      - .offset:         72
        .size:           8
        .value_kind:     by_value
      - .offset:         80
        .size:           4
        .value_kind:     hidden_block_count_x
      - .offset:         84
        .size:           4
        .value_kind:     hidden_block_count_y
      - .offset:         88
        .size:           4
        .value_kind:     hidden_block_count_z
      - .offset:         92
        .size:           2
        .value_kind:     hidden_group_size_x
      - .offset:         94
        .size:           2
        .value_kind:     hidden_group_size_y
      - .offset:         96
        .size:           2
        .value_kind:     hidden_group_size_z
      - .offset:         98
        .size:           2
        .value_kind:     hidden_remainder_x
      - .offset:         100
        .size:           2
        .value_kind:     hidden_remainder_y
      - .offset:         102
        .size:           2
        .value_kind:     hidden_remainder_z
      - .offset:         120
        .size:           8
        .value_kind:     hidden_global_offset_x
      - .offset:         128
        .size:           8
        .value_kind:     hidden_global_offset_y
      - .offset:         136
        .size:           8
        .value_kind:     hidden_global_offset_z
      - .offset:         144
        .size:           2
        .value_kind:     hidden_grid_dims
      - .offset:         200
        .size:           4
        .value_kind:     hidden_dynamic_lds_size
    .group_segment_fixed_size: 0
    .kernarg_segment_align: 8
    .kernarg_segment_size: 336
    .language:       OpenCL C
    .language_version:
      - 2
      - 0
    .max_flat_workgroup_size: 1024
    .name:           _ZN9rocsolver6v33100L20larft_kernel_forwardI19rocblas_complex_numIdEPKPS3_EEv15rocblas_storev_iiT0_iilPT_lSA_il
    .private_segment_fixed_size: 0
    .sgpr_count:     60
    .sgpr_spill_count: 0
    .symbol:         _ZN9rocsolver6v33100L20larft_kernel_forwardI19rocblas_complex_numIdEPKPS3_EEv15rocblas_storev_iiT0_iilPT_lSA_il.kd
    .uniform_work_group_size: 1
    .uses_dynamic_stack: false
    .vgpr_count:     28
    .vgpr_spill_count: 0
    .wavefront_size: 64
  - .agpr_count:     0
    .args:
      - .offset:         0
        .size:           4
        .value_kind:     by_value
      - .offset:         4
        .size:           4
        .value_kind:     by_value
      - .address_space:  global
        .offset:         8
        .size:           8
        .value_kind:     global_buffer
      - .offset:         16
        .size:           8
        .value_kind:     by_value
      - .offset:         24
        .size:           4
        .value_kind:     by_value
      - .offset:         32
        .size:           8
        .value_kind:     by_value
      - .offset:         40
        .size:           4
        .value_kind:     hidden_block_count_x
      - .offset:         44
        .size:           4
        .value_kind:     hidden_block_count_y
      - .offset:         48
        .size:           4
        .value_kind:     hidden_block_count_z
      - .offset:         52
        .size:           2
        .value_kind:     hidden_group_size_x
      - .offset:         54
        .size:           2
        .value_kind:     hidden_group_size_y
      - .offset:         56
        .size:           2
        .value_kind:     hidden_group_size_z
      - .offset:         58
        .size:           2
        .value_kind:     hidden_remainder_x
      - .offset:         60
        .size:           2
        .value_kind:     hidden_remainder_y
      - .offset:         62
        .size:           2
        .value_kind:     hidden_remainder_z
      - .offset:         80
        .size:           8
        .value_kind:     hidden_global_offset_x
      - .offset:         88
        .size:           8
        .value_kind:     hidden_global_offset_y
      - .offset:         96
        .size:           8
        .value_kind:     hidden_global_offset_z
      - .offset:         104
        .size:           2
        .value_kind:     hidden_grid_dims
    .group_segment_fixed_size: 0
    .kernarg_segment_align: 8
    .kernarg_segment_size: 296
    .language:       OpenCL C
    .language_version:
      - 2
      - 0
    .max_flat_workgroup_size: 1024
    .name:           _ZN9rocsolver6v33100L13conj_in_placeI19rocblas_complex_numIdEiPKPS3_TnNSt9enable_ifIX18rocblas_is_complexIT_EEiE4typeELi0EEEvT0_SB_T1_lSB_l
    .private_segment_fixed_size: 0
    .sgpr_count:     14
    .sgpr_spill_count: 0
    .symbol:         _ZN9rocsolver6v33100L13conj_in_placeI19rocblas_complex_numIdEiPKPS3_TnNSt9enable_ifIX18rocblas_is_complexIT_EEiE4typeELi0EEEvT0_SB_T1_lSB_l.kd
    .uniform_work_group_size: 1
    .uses_dynamic_stack: false
    .vgpr_count:     8
    .vgpr_spill_count: 0
    .wavefront_size: 64
  - .agpr_count:     0
    .args:
      - .offset:         0
        .size:           4
        .value_kind:     by_value
      - .offset:         4
        .size:           4
        .value_kind:     by_value
      - .offset:         8
        .size:           4
        .value_kind:     by_value
      - .address_space:  global
        .offset:         16
        .size:           8
        .value_kind:     global_buffer
      - .offset:         24
        .size:           4
        .value_kind:     by_value
      - .offset:         28
        .size:           4
        .value_kind:     by_value
      - .offset:         32
        .size:           8
        .value_kind:     by_value
      - .address_space:  global
        .offset:         40
        .size:           8
        .value_kind:     global_buffer
      - .offset:         48
        .size:           8
        .value_kind:     by_value
      - .address_space:  global
        .offset:         56
        .size:           8
        .value_kind:     global_buffer
      - .offset:         64
        .size:           4
        .value_kind:     by_value
      - .offset:         72
        .size:           8
        .value_kind:     by_value
      - .offset:         80
        .size:           4
        .value_kind:     hidden_block_count_x
      - .offset:         84
        .size:           4
        .value_kind:     hidden_block_count_y
      - .offset:         88
        .size:           4
        .value_kind:     hidden_block_count_z
      - .offset:         92
        .size:           2
        .value_kind:     hidden_group_size_x
      - .offset:         94
        .size:           2
        .value_kind:     hidden_group_size_y
      - .offset:         96
        .size:           2
        .value_kind:     hidden_group_size_z
      - .offset:         98
        .size:           2
        .value_kind:     hidden_remainder_x
      - .offset:         100
        .size:           2
        .value_kind:     hidden_remainder_y
      - .offset:         102
        .size:           2
        .value_kind:     hidden_remainder_z
      - .offset:         120
        .size:           8
        .value_kind:     hidden_global_offset_x
      - .offset:         128
        .size:           8
        .value_kind:     hidden_global_offset_y
      - .offset:         136
        .size:           8
        .value_kind:     hidden_global_offset_z
      - .offset:         144
        .size:           2
        .value_kind:     hidden_grid_dims
      - .offset:         200
        .size:           4
        .value_kind:     hidden_dynamic_lds_size
    .group_segment_fixed_size: 0
    .kernarg_segment_align: 8
    .kernarg_segment_size: 336
    .language:       OpenCL C
    .language_version:
      - 2
      - 0
    .max_flat_workgroup_size: 1024
    .name:           _ZN9rocsolver6v33100L21larft_kernel_backwardI19rocblas_complex_numIdEPKPS3_EEv15rocblas_storev_iiT0_iilPT_lSA_il
    .private_segment_fixed_size: 0
    .sgpr_count:     60
    .sgpr_spill_count: 0
    .symbol:         _ZN9rocsolver6v33100L21larft_kernel_backwardI19rocblas_complex_numIdEPKPS3_EEv15rocblas_storev_iiT0_iilPT_lSA_il.kd
    .uniform_work_group_size: 1
    .uses_dynamic_stack: false
    .vgpr_count:     24
    .vgpr_spill_count: 0
    .wavefront_size: 64
  - .agpr_count:     0
    .args:
      - .offset:         0
        .size:           4
        .value_kind:     by_value
      - .offset:         4
        .size:           4
        .value_kind:     by_value
      - .address_space:  global
        .offset:         8
        .size:           8
        .value_kind:     global_buffer
      - .offset:         16
        .size:           4
        .value_kind:     by_value
      - .offset:         20
        .size:           4
        .value_kind:     by_value
      - .offset:         24
        .size:           8
        .value_kind:     by_value
      - .address_space:  global
        .offset:         32
        .size:           8
        .value_kind:     global_buffer
      - .offset:         40
        .size:           4
        .value_kind:     hidden_block_count_x
      - .offset:         44
        .size:           4
        .value_kind:     hidden_block_count_y
      - .offset:         48
        .size:           4
        .value_kind:     hidden_block_count_z
      - .offset:         52
        .size:           2
        .value_kind:     hidden_group_size_x
      - .offset:         54
        .size:           2
        .value_kind:     hidden_group_size_y
      - .offset:         56
        .size:           2
        .value_kind:     hidden_group_size_z
      - .offset:         58
        .size:           2
        .value_kind:     hidden_remainder_x
      - .offset:         60
        .size:           2
        .value_kind:     hidden_remainder_y
      - .offset:         62
        .size:           2
        .value_kind:     hidden_remainder_z
      - .offset:         80
        .size:           8
        .value_kind:     hidden_global_offset_x
      - .offset:         88
        .size:           8
        .value_kind:     hidden_global_offset_y
      - .offset:         96
        .size:           8
        .value_kind:     hidden_global_offset_z
      - .offset:         104
        .size:           2
        .value_kind:     hidden_grid_dims
    .group_segment_fixed_size: 0
    .kernarg_segment_align: 8
    .kernarg_segment_size: 296
    .language:       OpenCL C
    .language_version:
      - 2
      - 0
    .max_flat_workgroup_size: 1024
    .name:           _ZN9rocsolver6v33100L9copymatA1I19rocblas_complex_numIdEPKPS3_EEviiT0_iilPT_
    .private_segment_fixed_size: 0
    .sgpr_count:     20
    .sgpr_spill_count: 0
    .symbol:         _ZN9rocsolver6v33100L9copymatA1I19rocblas_complex_numIdEPKPS3_EEviiT0_iilPT_.kd
    .uniform_work_group_size: 1
    .uses_dynamic_stack: false
    .vgpr_count:     8
    .vgpr_spill_count: 0
    .wavefront_size: 64
  - .agpr_count:     0
    .args:
      - .offset:         0
        .size:           4
        .value_kind:     by_value
      - .offset:         4
        .size:           4
        .value_kind:     by_value
      - .address_space:  global
        .offset:         8
        .size:           8
        .value_kind:     global_buffer
      - .offset:         16
        .size:           4
        .value_kind:     by_value
      - .offset:         20
        .size:           4
        .value_kind:     by_value
      - .offset:         24
        .size:           8
        .value_kind:     by_value
      - .address_space:  global
        .offset:         32
        .size:           8
        .value_kind:     global_buffer
      - .offset:         40
        .size:           4
        .value_kind:     hidden_block_count_x
      - .offset:         44
        .size:           4
        .value_kind:     hidden_block_count_y
      - .offset:         48
        .size:           4
        .value_kind:     hidden_block_count_z
      - .offset:         52
        .size:           2
        .value_kind:     hidden_group_size_x
      - .offset:         54
        .size:           2
        .value_kind:     hidden_group_size_y
      - .offset:         56
        .size:           2
        .value_kind:     hidden_group_size_z
      - .offset:         58
        .size:           2
        .value_kind:     hidden_remainder_x
      - .offset:         60
        .size:           2
        .value_kind:     hidden_remainder_y
      - .offset:         62
        .size:           2
        .value_kind:     hidden_remainder_z
      - .offset:         80
        .size:           8
        .value_kind:     hidden_global_offset_x
      - .offset:         88
        .size:           8
        .value_kind:     hidden_global_offset_y
      - .offset:         96
        .size:           8
        .value_kind:     hidden_global_offset_z
      - .offset:         104
        .size:           2
        .value_kind:     hidden_grid_dims
    .group_segment_fixed_size: 0
    .kernarg_segment_align: 8
    .kernarg_segment_size: 296
    .language:       OpenCL C
    .language_version:
      - 2
      - 0
    .max_flat_workgroup_size: 1024
    .name:           _ZN9rocsolver6v33100L8addmatA1I19rocblas_complex_numIdEPKPS3_EEviiT0_iilPT_
    .private_segment_fixed_size: 0
    .sgpr_count:     18
    .sgpr_spill_count: 0
    .symbol:         _ZN9rocsolver6v33100L8addmatA1I19rocblas_complex_numIdEPKPS3_EEviiT0_iilPT_.kd
    .uniform_work_group_size: 1
    .uses_dynamic_stack: false
    .vgpr_count:     12
    .vgpr_spill_count: 0
    .wavefront_size: 64
  - .agpr_count:     0
    .args:
      - .address_space:  global
        .offset:         0
        .size:           8
        .value_kind:     global_buffer
      - .offset:         8
        .size:           8
        .value_kind:     by_value
      - .offset:         16
        .size:           8
        .value_kind:     by_value
      - .address_space:  global
        .offset:         24
        .size:           8
        .value_kind:     global_buffer
      - .offset:         32
        .size:           8
        .value_kind:     by_value
      - .offset:         40
        .size:           4
        .value_kind:     by_value
      - .offset:         48
        .size:           8
        .value_kind:     by_value
      - .offset:         56
        .size:           4
        .value_kind:     by_value
      - .offset:         60
        .size:           1
        .value_kind:     by_value
      - .offset:         64
        .size:           4
        .value_kind:     hidden_block_count_x
      - .offset:         68
        .size:           4
        .value_kind:     hidden_block_count_y
      - .offset:         72
        .size:           4
        .value_kind:     hidden_block_count_z
      - .offset:         76
        .size:           2
        .value_kind:     hidden_group_size_x
      - .offset:         78
        .size:           2
        .value_kind:     hidden_group_size_y
      - .offset:         80
        .size:           2
        .value_kind:     hidden_group_size_z
      - .offset:         82
        .size:           2
        .value_kind:     hidden_remainder_x
      - .offset:         84
        .size:           2
        .value_kind:     hidden_remainder_y
      - .offset:         86
        .size:           2
        .value_kind:     hidden_remainder_z
      - .offset:         104
        .size:           8
        .value_kind:     hidden_global_offset_x
      - .offset:         112
        .size:           8
        .value_kind:     hidden_global_offset_y
      - .offset:         120
        .size:           8
        .value_kind:     hidden_global_offset_z
      - .offset:         128
        .size:           2
        .value_kind:     hidden_grid_dims
    .group_segment_fixed_size: 0
    .kernarg_segment_align: 8
    .kernarg_segment_size: 320
    .language:       OpenCL C
    .language_version:
      - 2
      - 0
    .max_flat_workgroup_size: 1024
    .name:           _ZN9rocsolver6v33100L8set_diagI19rocblas_complex_numIdEiS3_PKPS3_TnNSt9enable_ifIXoont18rocblas_is_complexIT_E18rocblas_is_complexIT1_EEiE4typeELi0EEEvPS9_llT2_lT0_lSE_b
    .private_segment_fixed_size: 0
    .sgpr_count:     23
    .sgpr_spill_count: 0
    .symbol:         _ZN9rocsolver6v33100L8set_diagI19rocblas_complex_numIdEiS3_PKPS3_TnNSt9enable_ifIXoont18rocblas_is_complexIT_E18rocblas_is_complexIT1_EEiE4typeELi0EEEvPS9_llT2_lT0_lSE_b.kd
    .uniform_work_group_size: 1
    .uses_dynamic_stack: false
    .vgpr_count:     10
    .vgpr_spill_count: 0
    .wavefront_size: 64
  - .agpr_count:     0
    .args:
      - .address_space:  global
        .offset:         0
        .size:           8
        .value_kind:     global_buffer
      - .offset:         8
        .size:           8
        .value_kind:     by_value
      - .offset:         16
        .size:           8
        .value_kind:     by_value
      - .address_space:  global
        .offset:         24
        .size:           8
        .value_kind:     global_buffer
      - .offset:         32
        .size:           8
        .value_kind:     by_value
      - .offset:         40
        .size:           4
        .value_kind:     by_value
      - .offset:         48
        .size:           8
        .value_kind:     by_value
      - .offset:         56
        .size:           4
        .value_kind:     by_value
      - .offset:         64
        .size:           4
        .value_kind:     hidden_block_count_x
      - .offset:         68
        .size:           4
        .value_kind:     hidden_block_count_y
      - .offset:         72
        .size:           4
        .value_kind:     hidden_block_count_z
      - .offset:         76
        .size:           2
        .value_kind:     hidden_group_size_x
      - .offset:         78
        .size:           2
        .value_kind:     hidden_group_size_y
      - .offset:         80
        .size:           2
        .value_kind:     hidden_group_size_z
      - .offset:         82
        .size:           2
        .value_kind:     hidden_remainder_x
      - .offset:         84
        .size:           2
        .value_kind:     hidden_remainder_y
      - .offset:         86
        .size:           2
        .value_kind:     hidden_remainder_z
      - .offset:         104
        .size:           8
        .value_kind:     hidden_global_offset_x
      - .offset:         112
        .size:           8
        .value_kind:     hidden_global_offset_y
      - .offset:         120
        .size:           8
        .value_kind:     hidden_global_offset_z
      - .offset:         128
        .size:           2
        .value_kind:     hidden_grid_dims
    .group_segment_fixed_size: 0
    .kernarg_segment_align: 8
    .kernarg_segment_size: 320
    .language:       OpenCL C
    .language_version:
      - 2
      - 0
    .max_flat_workgroup_size: 1024
    .name:           _ZN9rocsolver6v33100L12restore_diagI19rocblas_complex_numIdEiS3_PKPS3_EEvPT1_llT2_lT0_lSA_
    .private_segment_fixed_size: 0
    .sgpr_count:     21
    .sgpr_spill_count: 0
    .symbol:         _ZN9rocsolver6v33100L12restore_diagI19rocblas_complex_numIdEiS3_PKPS3_EEvPT1_llT2_lT0_lSA_.kd
    .uniform_work_group_size: 1
    .uses_dynamic_stack: false
    .vgpr_count:     7
    .vgpr_spill_count: 0
    .wavefront_size: 64
  - .agpr_count:     0
    .args:
      - .offset:         0
        .size:           4
        .value_kind:     by_value
      - .offset:         4
        .size:           4
        .value_kind:     by_value
      - .address_space:  global
        .offset:         8
        .size:           8
        .value_kind:     global_buffer
      - .offset:         16
        .size:           4
        .value_kind:     by_value
      - .offset:         20
        .size:           4
        .value_kind:     by_value
      - .offset:         24
        .size:           8
        .value_kind:     by_value
      - .offset:         32
        .size:           4
        .value_kind:     by_value
      - .offset:         40
        .size:           4
        .value_kind:     hidden_block_count_x
      - .offset:         44
        .size:           4
        .value_kind:     hidden_block_count_y
      - .offset:         48
        .size:           4
        .value_kind:     hidden_block_count_z
      - .offset:         52
        .size:           2
        .value_kind:     hidden_group_size_x
      - .offset:         54
        .size:           2
        .value_kind:     hidden_group_size_y
      - .offset:         56
        .size:           2
        .value_kind:     hidden_group_size_z
      - .offset:         58
        .size:           2
        .value_kind:     hidden_remainder_x
      - .offset:         60
        .size:           2
        .value_kind:     hidden_remainder_y
      - .offset:         62
        .size:           2
        .value_kind:     hidden_remainder_z
      - .offset:         80
        .size:           8
        .value_kind:     hidden_global_offset_x
      - .offset:         88
        .size:           8
        .value_kind:     hidden_global_offset_y
      - .offset:         96
        .size:           8
        .value_kind:     hidden_global_offset_z
      - .offset:         104
        .size:           2
        .value_kind:     hidden_grid_dims
    .group_segment_fixed_size: 0
    .kernarg_segment_align: 8
    .kernarg_segment_size: 296
    .language:       OpenCL C
    .language_version:
      - 2
      - 0
    .max_flat_workgroup_size: 1024
    .name:           _ZN9rocsolver6v33100L8set_zeroI19rocblas_complex_numIdEPKPS3_EEviiT0_iil13rocblas_fill_
    .private_segment_fixed_size: 0
    .sgpr_count:     14
    .sgpr_spill_count: 0
    .symbol:         _ZN9rocsolver6v33100L8set_zeroI19rocblas_complex_numIdEPKPS3_EEviiT0_iil13rocblas_fill_.kd
    .uniform_work_group_size: 1
    .uses_dynamic_stack: false
    .vgpr_count:     6
    .vgpr_spill_count: 0
    .wavefront_size: 64
  - .agpr_count:     0
    .args:
      - .offset:         0
        .size:           4
        .value_kind:     by_value
      - .offset:         4
        .size:           4
        .value_kind:     by_value
      - .offset:         8
        .size:           4
        .value_kind:     by_value
      - .address_space:  global
        .offset:         16
        .size:           8
        .value_kind:     global_buffer
      - .offset:         24
        .size:           4
        .value_kind:     by_value
      - .offset:         28
        .size:           4
        .value_kind:     by_value
      - .offset:         32
        .size:           8
        .value_kind:     by_value
      - .offset:         40
        .size:           4
        .value_kind:     hidden_block_count_x
      - .offset:         44
        .size:           4
        .value_kind:     hidden_block_count_y
      - .offset:         48
        .size:           4
        .value_kind:     hidden_block_count_z
      - .offset:         52
        .size:           2
        .value_kind:     hidden_group_size_x
      - .offset:         54
        .size:           2
        .value_kind:     hidden_group_size_y
      - .offset:         56
        .size:           2
        .value_kind:     hidden_group_size_z
      - .offset:         58
        .size:           2
        .value_kind:     hidden_remainder_x
      - .offset:         60
        .size:           2
        .value_kind:     hidden_remainder_y
      - .offset:         62
        .size:           2
        .value_kind:     hidden_remainder_z
      - .offset:         80
        .size:           8
        .value_kind:     hidden_global_offset_x
      - .offset:         88
        .size:           8
        .value_kind:     hidden_global_offset_y
      - .offset:         96
        .size:           8
        .value_kind:     hidden_global_offset_z
      - .offset:         104
        .size:           2
        .value_kind:     hidden_grid_dims
    .group_segment_fixed_size: 0
    .kernarg_segment_align: 8
    .kernarg_segment_size: 296
    .language:       OpenCL C
    .language_version:
      - 2
      - 0
    .max_flat_workgroup_size: 1024
    .name:           _ZN9rocsolver6v33100L16org2r_init_identI19rocblas_complex_numIdEPKPS3_EEviiiT0_iil
    .private_segment_fixed_size: 0
    .sgpr_count:     20
    .sgpr_spill_count: 0
    .symbol:         _ZN9rocsolver6v33100L16org2r_init_identI19rocblas_complex_numIdEPKPS3_EEviiiT0_iil.kd
    .uniform_work_group_size: 1
    .uses_dynamic_stack: false
    .vgpr_count:     6
    .vgpr_spill_count: 0
    .wavefront_size: 64
  - .agpr_count:     0
    .args:
      - .offset:         0
        .size:           4
        .value_kind:     by_value
      - .offset:         4
        .size:           4
        .value_kind:     by_value
      - .address_space:  global
        .offset:         8
        .size:           8
        .value_kind:     global_buffer
      - .offset:         16
        .size:           4
        .value_kind:     by_value
      - .offset:         20
        .size:           4
        .value_kind:     by_value
      - .offset:         24
        .size:           8
        .value_kind:     by_value
      - .address_space:  global
        .offset:         32
        .size:           8
        .value_kind:     global_buffer
      - .offset:         40
        .size:           8
        .value_kind:     by_value
    .group_segment_fixed_size: 0
    .kernarg_segment_align: 8
    .kernarg_segment_size: 48
    .language:       OpenCL C
    .language_version:
      - 2
      - 0
    .max_flat_workgroup_size: 1024
    .name:           _ZN9rocsolver6v33100L12subtract_tauI19rocblas_complex_numIdEPKPS3_EEviiT0_iilPT_l
    .private_segment_fixed_size: 0
    .sgpr_count:     20
    .sgpr_spill_count: 0
    .symbol:         _ZN9rocsolver6v33100L12subtract_tauI19rocblas_complex_numIdEPKPS3_EEviiT0_iilPT_l.kd
    .uniform_work_group_size: 1
    .uses_dynamic_stack: false
    .vgpr_count:     5
    .vgpr_spill_count: 0
    .wavefront_size: 64
  - .agpr_count:     0
    .args:
      - .offset:         0
        .size:           4
        .value_kind:     by_value
      - .address_space:  global
        .offset:         8
        .size:           8
        .value_kind:     global_buffer
      - .offset:         16
        .size:           8
        .value_kind:     by_value
      - .offset:         24
        .size:           4
        .value_kind:     hidden_block_count_x
      - .offset:         28
        .size:           4
        .value_kind:     hidden_block_count_y
      - .offset:         32
        .size:           4
        .value_kind:     hidden_block_count_z
      - .offset:         36
        .size:           2
        .value_kind:     hidden_group_size_x
      - .offset:         38
        .size:           2
        .value_kind:     hidden_group_size_y
      - .offset:         40
        .size:           2
        .value_kind:     hidden_group_size_z
      - .offset:         42
        .size:           2
        .value_kind:     hidden_remainder_x
      - .offset:         44
        .size:           2
        .value_kind:     hidden_remainder_y
      - .offset:         46
        .size:           2
        .value_kind:     hidden_remainder_z
      - .offset:         64
        .size:           8
        .value_kind:     hidden_global_offset_x
      - .offset:         72
        .size:           8
        .value_kind:     hidden_global_offset_y
      - .offset:         80
        .size:           8
        .value_kind:     hidden_global_offset_z
      - .offset:         88
        .size:           2
        .value_kind:     hidden_grid_dims
    .group_segment_fixed_size: 0
    .kernarg_segment_align: 8
    .kernarg_segment_size: 280
    .language:       OpenCL C
    .language_version:
      - 2
      - 0
    .max_flat_workgroup_size: 1024
    .name:           _ZN9rocsolver6v33100L6restauI19rocblas_complex_numIdEEEviPT_l
    .private_segment_fixed_size: 0
    .sgpr_count:     12
    .sgpr_spill_count: 0
    .symbol:         _ZN9rocsolver6v33100L6restauI19rocblas_complex_numIdEEEviPT_l.kd
    .uniform_work_group_size: 1
    .uses_dynamic_stack: false
    .vgpr_count:     6
    .vgpr_spill_count: 0
    .wavefront_size: 64
  - .agpr_count:     0
    .args:
      - .offset:         0
        .size:           1
        .value_kind:     by_value
      - .offset:         4
        .size:           4
        .value_kind:     by_value
      - .address_space:  global
        .offset:         8
        .size:           8
        .value_kind:     global_buffer
      - .offset:         16
        .size:           4
        .value_kind:     by_value
      - .offset:         20
        .size:           4
        .value_kind:     by_value
      - .offset:         24
        .size:           8
        .value_kind:     by_value
      - .address_space:  global
        .offset:         32
        .size:           8
        .value_kind:     global_buffer
      - .offset:         40
        .size:           4
        .value_kind:     by_value
      - .offset:         44
        .size:           4
        .value_kind:     by_value
      - .offset:         48
        .size:           8
        .value_kind:     by_value
      - .offset:         56
        .size:           4
        .value_kind:     hidden_block_count_x
      - .offset:         60
        .size:           4
        .value_kind:     hidden_block_count_y
      - .offset:         64
        .size:           4
        .value_kind:     hidden_block_count_z
      - .offset:         68
        .size:           2
        .value_kind:     hidden_group_size_x
      - .offset:         70
        .size:           2
        .value_kind:     hidden_group_size_y
      - .offset:         72
        .size:           2
        .value_kind:     hidden_group_size_z
      - .offset:         74
        .size:           2
        .value_kind:     hidden_remainder_x
      - .offset:         76
        .size:           2
        .value_kind:     hidden_remainder_y
      - .offset:         78
        .size:           2
        .value_kind:     hidden_remainder_z
      - .offset:         96
        .size:           8
        .value_kind:     hidden_global_offset_x
      - .offset:         104
        .size:           8
        .value_kind:     hidden_global_offset_y
      - .offset:         112
        .size:           8
        .value_kind:     hidden_global_offset_z
      - .offset:         120
        .size:           2
        .value_kind:     hidden_grid_dims
    .group_segment_fixed_size: 0
    .kernarg_segment_align: 8
    .kernarg_segment_size: 312
    .language:       OpenCL C
    .language_version:
      - 2
      - 0
    .max_flat_workgroup_size: 1024
    .name:           _ZN9rocsolver6v33100L15copyshift_rightI19rocblas_complex_numIdEPKPS3_EEvbiT0_iilPT_iil
    .private_segment_fixed_size: 0
    .sgpr_count:     21
    .sgpr_spill_count: 0
    .symbol:         _ZN9rocsolver6v33100L15copyshift_rightI19rocblas_complex_numIdEPKPS3_EEvbiT0_iilPT_iil.kd
    .uniform_work_group_size: 1
    .uses_dynamic_stack: false
    .vgpr_count:     14
    .vgpr_spill_count: 0
    .wavefront_size: 64
  - .agpr_count:     0
    .args:
      - .offset:         0
        .size:           4
        .value_kind:     by_value
      - .offset:         4
        .size:           4
        .value_kind:     by_value
      - .offset:         8
        .size:           4
        .value_kind:     by_value
      - .address_space:  global
        .offset:         16
        .size:           8
        .value_kind:     global_buffer
      - .offset:         24
        .size:           4
        .value_kind:     by_value
      - .offset:         28
        .size:           4
        .value_kind:     by_value
      - .offset:         32
        .size:           8
        .value_kind:     by_value
      - .offset:         40
        .size:           4
        .value_kind:     hidden_block_count_x
      - .offset:         44
        .size:           4
        .value_kind:     hidden_block_count_y
      - .offset:         48
        .size:           4
        .value_kind:     hidden_block_count_z
      - .offset:         52
        .size:           2
        .value_kind:     hidden_group_size_x
      - .offset:         54
        .size:           2
        .value_kind:     hidden_group_size_y
      - .offset:         56
        .size:           2
        .value_kind:     hidden_group_size_z
      - .offset:         58
        .size:           2
        .value_kind:     hidden_remainder_x
      - .offset:         60
        .size:           2
        .value_kind:     hidden_remainder_y
      - .offset:         62
        .size:           2
        .value_kind:     hidden_remainder_z
      - .offset:         80
        .size:           8
        .value_kind:     hidden_global_offset_x
      - .offset:         88
        .size:           8
        .value_kind:     hidden_global_offset_y
      - .offset:         96
        .size:           8
        .value_kind:     hidden_global_offset_z
      - .offset:         104
        .size:           2
        .value_kind:     hidden_grid_dims
    .group_segment_fixed_size: 0
    .kernarg_segment_align: 8
    .kernarg_segment_size: 296
    .language:       OpenCL C
    .language_version:
      - 2
      - 0
    .max_flat_workgroup_size: 1024
    .name:           _ZN9rocsolver6v33100L16orgl2_init_identI19rocblas_complex_numIdEPKPS3_EEviiiT0_iil
    .private_segment_fixed_size: 0
    .sgpr_count:     20
    .sgpr_spill_count: 0
    .symbol:         _ZN9rocsolver6v33100L16orgl2_init_identI19rocblas_complex_numIdEPKPS3_EEviiiT0_iil.kd
    .uniform_work_group_size: 1
    .uses_dynamic_stack: false
    .vgpr_count:     6
    .vgpr_spill_count: 0
    .wavefront_size: 64
  - .agpr_count:     0
    .args:
      - .offset:         0
        .size:           1
        .value_kind:     by_value
      - .offset:         4
        .size:           4
        .value_kind:     by_value
      - .address_space:  global
        .offset:         8
        .size:           8
        .value_kind:     global_buffer
      - .offset:         16
        .size:           4
        .value_kind:     by_value
      - .offset:         20
        .size:           4
        .value_kind:     by_value
      - .offset:         24
        .size:           8
        .value_kind:     by_value
      - .address_space:  global
        .offset:         32
        .size:           8
        .value_kind:     global_buffer
      - .offset:         40
        .size:           4
        .value_kind:     by_value
      - .offset:         44
        .size:           4
        .value_kind:     by_value
      - .offset:         48
        .size:           8
        .value_kind:     by_value
      - .offset:         56
        .size:           4
        .value_kind:     hidden_block_count_x
      - .offset:         60
        .size:           4
        .value_kind:     hidden_block_count_y
      - .offset:         64
        .size:           4
        .value_kind:     hidden_block_count_z
      - .offset:         68
        .size:           2
        .value_kind:     hidden_group_size_x
      - .offset:         70
        .size:           2
        .value_kind:     hidden_group_size_y
      - .offset:         72
        .size:           2
        .value_kind:     hidden_group_size_z
      - .offset:         74
        .size:           2
        .value_kind:     hidden_remainder_x
      - .offset:         76
        .size:           2
        .value_kind:     hidden_remainder_y
      - .offset:         78
        .size:           2
        .value_kind:     hidden_remainder_z
      - .offset:         96
        .size:           8
        .value_kind:     hidden_global_offset_x
      - .offset:         104
        .size:           8
        .value_kind:     hidden_global_offset_y
      - .offset:         112
        .size:           8
        .value_kind:     hidden_global_offset_z
      - .offset:         120
        .size:           2
        .value_kind:     hidden_grid_dims
    .group_segment_fixed_size: 0
    .kernarg_segment_align: 8
    .kernarg_segment_size: 312
    .language:       OpenCL C
    .language_version:
      - 2
      - 0
    .max_flat_workgroup_size: 1024
    .name:           _ZN9rocsolver6v33100L14copyshift_downI19rocblas_complex_numIdEPKPS3_EEvbiT0_iilPT_iil
    .private_segment_fixed_size: 0
    .sgpr_count:     21
    .sgpr_spill_count: 0
    .symbol:         _ZN9rocsolver6v33100L14copyshift_downI19rocblas_complex_numIdEPKPS3_EEvbiT0_iilPT_iil.kd
    .uniform_work_group_size: 1
    .uses_dynamic_stack: false
    .vgpr_count:     14
    .vgpr_spill_count: 0
    .wavefront_size: 64
  - .agpr_count:     0
    .args:
      - .offset:         0
        .size:           4
        .value_kind:     by_value
      - .address_space:  global
        .offset:         8
        .size:           8
        .value_kind:     global_buffer
      - .offset:         16
        .size:           8
        .value_kind:     by_value
      - .address_space:  global
        .offset:         24
        .size:           8
        .value_kind:     global_buffer
      - .offset:         32
        .size:           8
        .value_kind:     by_value
      - .address_space:  global
        .offset:         40
        .size:           8
        .value_kind:     global_buffer
      - .offset:         48
        .size:           4
        .value_kind:     by_value
      - .offset:         56
        .size:           8
        .value_kind:     by_value
      - .offset:         64
        .size:           8
        .value_kind:     by_value
      - .address_space:  global
        .offset:         72
        .size:           8
        .value_kind:     global_buffer
      - .address_space:  global
        .offset:         80
        .size:           8
        .value_kind:     global_buffer
      - .offset:         88
        .size:           8
        .value_kind:     by_value
      - .address_space:  global
        .offset:         96
        .size:           8
        .value_kind:     global_buffer
    .group_segment_fixed_size: 0
    .kernarg_segment_align: 8
    .kernarg_segment_size: 104
    .language:       OpenCL C
    .language_version:
      - 2
      - 0
    .max_flat_workgroup_size: 1024
    .name:           _ZN9rocsolver6v33100L10bdsqr_initI19rocblas_complex_numIdEdEEviPT0_lS5_lPiiS4_S4_S6_S5_lS6_
    .private_segment_fixed_size: 0
    .sgpr_count:     40
    .sgpr_spill_count: 0
    .symbol:         _ZN9rocsolver6v33100L10bdsqr_initI19rocblas_complex_numIdEdEEviPT0_lS5_lPiiS4_S4_S6_S5_lS6_.kd
    .uniform_work_group_size: 1
    .uses_dynamic_stack: false
    .vgpr_count:     16
    .vgpr_spill_count: 0
    .wavefront_size: 64
  - .agpr_count:     0
    .args:
      - .offset:         0
        .size:           4
        .value_kind:     by_value
      - .address_space:  global
        .offset:         8
        .size:           8
        .value_kind:     global_buffer
      - .offset:         16
        .size:           4
        .value_kind:     by_value
      - .address_space:  global
        .offset:         24
        .size:           8
        .value_kind:     global_buffer
      - .offset:         32
        .size:           4
        .value_kind:     by_value
      - .offset:         40
        .size:           4
        .value_kind:     hidden_block_count_x
      - .offset:         44
        .size:           4
        .value_kind:     hidden_block_count_y
      - .offset:         48
        .size:           4
        .value_kind:     hidden_block_count_z
      - .offset:         52
        .size:           2
        .value_kind:     hidden_group_size_x
      - .offset:         54
        .size:           2
        .value_kind:     hidden_group_size_y
      - .offset:         56
        .size:           2
        .value_kind:     hidden_group_size_z
      - .offset:         58
        .size:           2
        .value_kind:     hidden_remainder_x
      - .offset:         60
        .size:           2
        .value_kind:     hidden_remainder_y
      - .offset:         62
        .size:           2
        .value_kind:     hidden_remainder_z
      - .offset:         80
        .size:           8
        .value_kind:     hidden_global_offset_x
      - .offset:         88
        .size:           8
        .value_kind:     hidden_global_offset_y
      - .offset:         96
        .size:           8
        .value_kind:     hidden_global_offset_z
      - .offset:         104
        .size:           2
        .value_kind:     hidden_grid_dims
    .group_segment_fixed_size: 32768
    .kernarg_segment_align: 8
    .kernarg_segment_size: 296
    .language:       OpenCL C
    .language_version:
      - 2
      - 0
    .max_flat_workgroup_size: 1024
    .name:           _ZN9rocsolver6v33100L11swap_kernelI19rocblas_complex_numIdEiEEvT0_PT_S4_S6_S4_
    .private_segment_fixed_size: 0
    .sgpr_count:     21
    .sgpr_spill_count: 0
    .symbol:         _ZN9rocsolver6v33100L11swap_kernelI19rocblas_complex_numIdEiEEvT0_PT_S4_S6_S4_.kd
    .uniform_work_group_size: 1
    .uses_dynamic_stack: false
    .vgpr_count:     20
    .vgpr_spill_count: 0
    .wavefront_size: 64
  - .agpr_count:     0
    .args:
      - .offset:         0
        .size:           4
        .value_kind:     by_value
      - .address_space:  global
        .offset:         8
        .size:           8
        .value_kind:     global_buffer
      - .offset:         16
        .size:           4
        .value_kind:     by_value
      - .address_space:  global
        .offset:         24
        .size:           8
        .value_kind:     global_buffer
      - .offset:         32
        .size:           4
        .value_kind:     by_value
      - .offset:         40
        .size:           8
        .value_kind:     by_value
      - .offset:         48
        .size:           8
        .value_kind:     by_value
      - .offset:         56
        .size:           4
        .value_kind:     hidden_block_count_x
      - .offset:         60
        .size:           4
        .value_kind:     hidden_block_count_y
      - .offset:         64
        .size:           4
        .value_kind:     hidden_block_count_z
      - .offset:         68
        .size:           2
        .value_kind:     hidden_group_size_x
      - .offset:         70
        .size:           2
        .value_kind:     hidden_group_size_y
      - .offset:         72
        .size:           2
        .value_kind:     hidden_group_size_z
      - .offset:         74
        .size:           2
        .value_kind:     hidden_remainder_x
      - .offset:         76
        .size:           2
        .value_kind:     hidden_remainder_y
      - .offset:         78
        .size:           2
        .value_kind:     hidden_remainder_z
      - .offset:         96
        .size:           8
        .value_kind:     hidden_global_offset_x
      - .offset:         104
        .size:           8
        .value_kind:     hidden_global_offset_y
      - .offset:         112
        .size:           8
        .value_kind:     hidden_global_offset_z
      - .offset:         120
        .size:           2
        .value_kind:     hidden_grid_dims
    .group_segment_fixed_size: 0
    .kernarg_segment_align: 8
    .kernarg_segment_size: 312
    .language:       OpenCL C
    .language_version:
      - 2
      - 0
    .max_flat_workgroup_size: 1024
    .name:           _ZN9rocsolver6v33100L10rot_kernelId19rocblas_complex_numIdEiEEvT1_PT0_S4_S6_S4_T_S7_
    .private_segment_fixed_size: 0
    .sgpr_count:     25
    .sgpr_spill_count: 0
    .symbol:         _ZN9rocsolver6v33100L10rot_kernelId19rocblas_complex_numIdEiEEvT1_PT0_S4_S6_S4_T_S7_.kd
    .uniform_work_group_size: 1
    .uses_dynamic_stack: false
    .vgpr_count:     26
    .vgpr_spill_count: 0
    .wavefront_size: 64
  - .agpr_count:     0
    .args:
      - .offset:         0
        .size:           4
        .value_kind:     by_value
      - .offset:         4
        .size:           4
        .value_kind:     by_value
      - .offset:         8
        .size:           4
        .value_kind:     by_value
      - .offset:         12
        .size:           4
        .value_kind:     by_value
      - .offset:         16
        .size:           4
        .value_kind:     by_value
      - .address_space:  global
        .offset:         24
        .size:           8
        .value_kind:     global_buffer
      - .offset:         32
        .size:           8
        .value_kind:     by_value
      - .address_space:  global
        .offset:         40
        .size:           8
        .value_kind:     global_buffer
      - .offset:         48
        .size:           8
        .value_kind:     by_value
      - .address_space:  global
        .offset:         56
        .size:           8
        .value_kind:     global_buffer
      - .offset:         64
        .size:           8
        .value_kind:     by_value
      - .offset:         72
        .size:           4
        .value_kind:     by_value
      - .offset:         80
        .size:           8
        .value_kind:     by_value
      - .offset:         88
        .size:           4
        .value_kind:     by_value
      - .offset:         96
        .size:           4
        .value_kind:     hidden_block_count_x
      - .offset:         100
        .size:           4
        .value_kind:     hidden_block_count_y
      - .offset:         104
        .size:           4
        .value_kind:     hidden_block_count_z
      - .offset:         108
        .size:           2
        .value_kind:     hidden_group_size_x
      - .offset:         110
        .size:           2
        .value_kind:     hidden_group_size_y
      - .offset:         112
        .size:           2
        .value_kind:     hidden_group_size_z
      - .offset:         114
        .size:           2
        .value_kind:     hidden_remainder_x
      - .offset:         116
        .size:           2
        .value_kind:     hidden_remainder_y
      - .offset:         118
        .size:           2
        .value_kind:     hidden_remainder_z
      - .offset:         136
        .size:           8
        .value_kind:     hidden_global_offset_x
      - .offset:         144
        .size:           8
        .value_kind:     hidden_global_offset_y
      - .offset:         152
        .size:           8
        .value_kind:     hidden_global_offset_z
      - .offset:         160
        .size:           2
        .value_kind:     hidden_grid_dims
    .group_segment_fixed_size: 0
    .kernarg_segment_align: 8
    .kernarg_segment_size: 352
    .language:       OpenCL C
    .language_version:
      - 2
      - 0
    .max_flat_workgroup_size: 64
    .name:           _ZN9rocsolver6v33100L11lasr_kernelI19rocblas_complex_numIdEdPS3_iEEv13rocblas_side_14rocblas_pivot_15rocblas_direct_T2_S8_PT0_lSA_lT1_lS8_lS8_
    .private_segment_fixed_size: 0
    .sgpr_count:     100
    .sgpr_spill_count: 10
    .symbol:         _ZN9rocsolver6v33100L11lasr_kernelI19rocblas_complex_numIdEdPS3_iEEv13rocblas_side_14rocblas_pivot_15rocblas_direct_T2_S8_PT0_lSA_lT1_lS8_lS8_.kd
    .uniform_work_group_size: 1
    .uses_dynamic_stack: false
    .vgpr_count:     60
    .vgpr_spill_count: 0
    .wavefront_size: 64
  - .agpr_count:     0
    .args:
      - .offset:         0
        .size:           4
        .value_kind:     by_value
      - .offset:         8
        .size:           8
        .value_kind:     by_value
      - .address_space:  global
        .offset:         16
        .size:           8
        .value_kind:     global_buffer
      - .offset:         24
        .size:           4
        .value_kind:     by_value
      - .offset:         32
        .size:           4
        .value_kind:     hidden_block_count_x
      - .offset:         36
        .size:           4
        .value_kind:     hidden_block_count_y
      - .offset:         40
        .size:           4
        .value_kind:     hidden_block_count_z
      - .offset:         44
        .size:           2
        .value_kind:     hidden_group_size_x
      - .offset:         46
        .size:           2
        .value_kind:     hidden_group_size_y
      - .offset:         48
        .size:           2
        .value_kind:     hidden_group_size_z
      - .offset:         50
        .size:           2
        .value_kind:     hidden_remainder_x
      - .offset:         52
        .size:           2
        .value_kind:     hidden_remainder_y
      - .offset:         54
        .size:           2
        .value_kind:     hidden_remainder_z
      - .offset:         72
        .size:           8
        .value_kind:     hidden_global_offset_x
      - .offset:         80
        .size:           8
        .value_kind:     hidden_global_offset_y
      - .offset:         88
        .size:           8
        .value_kind:     hidden_global_offset_z
      - .offset:         96
        .size:           2
        .value_kind:     hidden_grid_dims
    .group_segment_fixed_size: 0
    .kernarg_segment_align: 8
    .kernarg_segment_size: 288
    .language:       OpenCL C
    .language_version:
      - 2
      - 0
    .max_flat_workgroup_size: 1024
    .name:           _ZN9rocsolver6v33100L11scal_kernelId19rocblas_complex_numIdEiEEvT1_T_PT0_S4_
    .private_segment_fixed_size: 0
    .sgpr_count:     19
    .sgpr_spill_count: 0
    .symbol:         _ZN9rocsolver6v33100L11scal_kernelId19rocblas_complex_numIdEiEEvT1_T_PT0_S4_.kd
    .uniform_work_group_size: 1
    .uses_dynamic_stack: false
    .vgpr_count:     10
    .vgpr_spill_count: 0
    .wavefront_size: 64
  - .agpr_count:     0
    .args:
      - .offset:         0
        .size:           4
        .value_kind:     by_value
      - .offset:         4
        .size:           4
        .value_kind:     by_value
      - .offset:         8
        .size:           4
        .value_kind:     by_value
      - .address_space:  global
        .offset:         16
        .size:           8
        .value_kind:     global_buffer
      - .offset:         24
        .size:           8
        .value_kind:     by_value
      - .address_space:  global
        .offset:         32
        .size:           8
        .value_kind:     global_buffer
      - .offset:         40
        .size:           8
        .value_kind:     by_value
      - .address_space:  global
        .offset:         48
        .size:           8
        .value_kind:     global_buffer
      - .offset:         56
        .size:           4
        .value_kind:     by_value
      - .offset:         60
        .size:           4
        .value_kind:     by_value
      - .offset:         64
        .size:           8
        .value_kind:     by_value
      - .address_space:  global
        .offset:         72
        .size:           8
        .value_kind:     global_buffer
      - .offset:         80
        .size:           4
        .value_kind:     by_value
      - .offset:         84
        .size:           4
        .value_kind:     by_value
      - .offset:         88
        .size:           8
        .value_kind:     by_value
      - .address_space:  global
        .offset:         96
        .size:           8
        .value_kind:     global_buffer
      - .address_space:  global
        .offset:         104
        .size:           8
        .value_kind:     global_buffer
      - .offset:         112
        .size:           8
        .value_kind:     by_value
      - .address_space:  global
        .offset:         120
        .size:           8
        .value_kind:     global_buffer
      - .offset:         128
        .size:           4
        .value_kind:     hidden_block_count_x
      - .offset:         132
        .size:           4
        .value_kind:     hidden_block_count_y
      - .offset:         136
        .size:           4
        .value_kind:     hidden_block_count_z
      - .offset:         140
        .size:           2
        .value_kind:     hidden_group_size_x
      - .offset:         142
        .size:           2
        .value_kind:     hidden_group_size_y
      - .offset:         144
        .size:           2
        .value_kind:     hidden_group_size_z
      - .offset:         146
        .size:           2
        .value_kind:     hidden_remainder_x
      - .offset:         148
        .size:           2
        .value_kind:     hidden_remainder_y
      - .offset:         150
        .size:           2
        .value_kind:     hidden_remainder_z
      - .offset:         168
        .size:           8
        .value_kind:     hidden_global_offset_x
      - .offset:         176
        .size:           8
        .value_kind:     hidden_global_offset_y
      - .offset:         184
        .size:           8
        .value_kind:     hidden_global_offset_z
      - .offset:         192
        .size:           2
        .value_kind:     hidden_grid_dims
    .group_segment_fixed_size: 0
    .kernarg_segment_align: 8
    .kernarg_segment_size: 384
    .language:       OpenCL C
    .language_version:
      - 2
      - 0
    .max_flat_workgroup_size: 1024
    .name:           _ZN9rocsolver6v33100L17bdsqr_lower2upperI19rocblas_complex_numIdEdPS3_PKS4_EEviiiPT0_lS8_lT1_iilT2_iilPiS8_lSB_
    .private_segment_fixed_size: 0
    .sgpr_count:     42
    .sgpr_spill_count: 0
    .symbol:         _ZN9rocsolver6v33100L17bdsqr_lower2upperI19rocblas_complex_numIdEdPS3_PKS4_EEviiiPT0_lS8_lT1_iilT2_iilPiS8_lSB_.kd
    .uniform_work_group_size: 1
    .uses_dynamic_stack: false
    .vgpr_count:     28
    .vgpr_spill_count: 0
    .wavefront_size: 64
  - .agpr_count:     0
    .args:
      - .offset:         0
        .size:           4
        .value_kind:     by_value
      - .offset:         4
        .size:           4
        .value_kind:     by_value
      - .offset:         8
        .size:           4
        .value_kind:     by_value
      - .offset:         12
        .size:           4
        .value_kind:     by_value
      - .address_space:  global
        .offset:         16
        .size:           8
        .value_kind:     global_buffer
      - .offset:         24
        .size:           8
        .value_kind:     by_value
      - .address_space:  global
        .offset:         32
        .size:           8
        .value_kind:     global_buffer
      - .offset:         40
        .size:           8
        .value_kind:     by_value
      - .address_space:  global
        .offset:         48
        .size:           8
        .value_kind:     global_buffer
      - .offset:         56
        .size:           4
        .value_kind:     by_value
      - .offset:         60
        .size:           4
        .value_kind:     by_value
      - .offset:         64
        .size:           8
        .value_kind:     by_value
      - .address_space:  global
        .offset:         72
        .size:           8
        .value_kind:     global_buffer
      - .offset:         80
        .size:           4
        .value_kind:     by_value
      - .offset:         84
        .size:           4
        .value_kind:     by_value
      - .offset:         88
        .size:           8
        .value_kind:     by_value
      - .address_space:  global
        .offset:         96
        .size:           8
        .value_kind:     global_buffer
      - .offset:         104
        .size:           4
        .value_kind:     by_value
      - .offset:         108
        .size:           4
        .value_kind:     by_value
      - .offset:         112
        .size:           8
        .value_kind:     by_value
      - .offset:         120
        .size:           4
        .value_kind:     by_value
      - .offset:         128
        .size:           8
        .value_kind:     by_value
      - .offset:         136
        .size:           8
        .value_kind:     by_value
      - .offset:         144
        .size:           8
        .value_kind:     by_value
      - .offset:         152
        .size:           8
        .value_kind:     by_value
      - .address_space:  global
        .offset:         160
        .size:           8
        .value_kind:     global_buffer
      - .address_space:  global
        .offset:         168
        .size:           8
        .value_kind:     global_buffer
      - .offset:         176
        .size:           4
        .value_kind:     by_value
      - .offset:         184
        .size:           8
        .value_kind:     by_value
      - .address_space:  global
        .offset:         192
        .size:           8
        .value_kind:     global_buffer
      - .offset:         200
        .size:           4
        .value_kind:     hidden_block_count_x
      - .offset:         204
        .size:           4
        .value_kind:     hidden_block_count_y
      - .offset:         208
        .size:           4
        .value_kind:     hidden_block_count_z
      - .offset:         212
        .size:           2
        .value_kind:     hidden_group_size_x
      - .offset:         214
        .size:           2
        .value_kind:     hidden_group_size_y
      - .offset:         216
        .size:           2
        .value_kind:     hidden_group_size_z
      - .offset:         218
        .size:           2
        .value_kind:     hidden_remainder_x
      - .offset:         220
        .size:           2
        .value_kind:     hidden_remainder_y
      - .offset:         222
        .size:           2
        .value_kind:     hidden_remainder_z
      - .offset:         240
        .size:           8
        .value_kind:     hidden_global_offset_x
      - .offset:         248
        .size:           8
        .value_kind:     hidden_global_offset_y
      - .offset:         256
        .size:           8
        .value_kind:     hidden_global_offset_z
      - .offset:         264
        .size:           2
        .value_kind:     hidden_grid_dims
    .group_segment_fixed_size: 2072
    .kernarg_segment_align: 8
    .kernarg_segment_size: 456
    .language:       OpenCL C
    .language_version:
      - 2
      - 0
    .max_flat_workgroup_size: 1024
    .name:           _ZN9rocsolver6v33100L13bdsqr_computeILi256E19rocblas_complex_numIdEdPKPS3_S4_S6_EEviiiiPT1_lS8_lT2_iilT3_iilT4_iiliS7_S7_S7_S7_PiS8_ilSC_
    .private_segment_fixed_size: 0
    .sgpr_count:     100
    .sgpr_spill_count: 31
    .symbol:         _ZN9rocsolver6v33100L13bdsqr_computeILi256E19rocblas_complex_numIdEdPKPS3_S4_S6_EEviiiiPT1_lS8_lT2_iilT3_iilT4_iiliS7_S7_S7_S7_PiS8_ilSC_.kd
    .uniform_work_group_size: 1
    .uses_dynamic_stack: false
    .vgpr_count:     45
    .vgpr_spill_count: 0
    .wavefront_size: 64
  - .agpr_count:     0
    .args:
      - .offset:         0
        .size:           4
        .value_kind:     by_value
      - .offset:         4
        .size:           4
        .value_kind:     by_value
      - .offset:         8
        .size:           4
        .value_kind:     by_value
      - .offset:         12
        .size:           4
        .value_kind:     by_value
      - .address_space:  global
        .offset:         16
        .size:           8
        .value_kind:     global_buffer
      - .offset:         24
        .size:           4
        .value_kind:     by_value
      - .offset:         28
        .size:           4
        .value_kind:     by_value
      - .offset:         32
        .size:           8
        .value_kind:     by_value
      - .address_space:  global
        .offset:         40
        .size:           8
        .value_kind:     global_buffer
      - .offset:         48
        .size:           4
        .value_kind:     by_value
      - .offset:         52
        .size:           4
        .value_kind:     by_value
      - .offset:         56
        .size:           8
        .value_kind:     by_value
      - .address_space:  global
        .offset:         64
        .size:           8
        .value_kind:     global_buffer
      - .offset:         72
        .size:           4
        .value_kind:     by_value
      - .offset:         76
        .size:           4
        .value_kind:     by_value
      - .offset:         80
        .size:           8
        .value_kind:     by_value
      - .offset:         88
        .size:           4
        .value_kind:     by_value
      - .address_space:  global
        .offset:         96
        .size:           8
        .value_kind:     global_buffer
      - .address_space:  global
        .offset:         104
        .size:           8
        .value_kind:     global_buffer
      - .offset:         112
        .size:           4
        .value_kind:     by_value
      - .offset:         120
        .size:           8
        .value_kind:     by_value
      - .address_space:  global
        .offset:         128
        .size:           8
        .value_kind:     global_buffer
      - .offset:         136
        .size:           4
        .value_kind:     hidden_block_count_x
      - .offset:         140
        .size:           4
        .value_kind:     hidden_block_count_y
      - .offset:         144
        .size:           4
        .value_kind:     hidden_block_count_z
      - .offset:         148
        .size:           2
        .value_kind:     hidden_group_size_x
      - .offset:         150
        .size:           2
        .value_kind:     hidden_group_size_y
      - .offset:         152
        .size:           2
        .value_kind:     hidden_group_size_z
      - .offset:         154
        .size:           2
        .value_kind:     hidden_remainder_x
      - .offset:         156
        .size:           2
        .value_kind:     hidden_remainder_y
      - .offset:         158
        .size:           2
        .value_kind:     hidden_remainder_z
      - .offset:         176
        .size:           8
        .value_kind:     hidden_global_offset_x
      - .offset:         184
        .size:           8
        .value_kind:     hidden_global_offset_y
      - .offset:         192
        .size:           8
        .value_kind:     hidden_global_offset_z
      - .offset:         200
        .size:           2
        .value_kind:     hidden_grid_dims
    .group_segment_fixed_size: 0
    .kernarg_segment_align: 8
    .kernarg_segment_size: 392
    .language:       OpenCL C
    .language_version:
      - 2
      - 0
    .max_flat_workgroup_size: 1024
    .name:           _ZN9rocsolver6v33100L12bdsqr_rotateI19rocblas_complex_numIdEdPKPS3_S4_S6_EEviiiiT1_iilT2_iilT3_iiliPiPT0_ilSA_
    .private_segment_fixed_size: 0
    .sgpr_count:     52
    .sgpr_spill_count: 0
    .symbol:         _ZN9rocsolver6v33100L12bdsqr_rotateI19rocblas_complex_numIdEdPKPS3_S4_S6_EEviiiiT1_iilT2_iilT3_iiliPiPT0_ilSA_.kd
    .uniform_work_group_size: 1
    .uses_dynamic_stack: false
    .vgpr_count:     28
    .vgpr_spill_count: 0
    .wavefront_size: 64
  - .agpr_count:     0
    .args:
      - .offset:         0
        .size:           4
        .value_kind:     by_value
      - .address_space:  global
        .offset:         8
        .size:           8
        .value_kind:     global_buffer
      - .offset:         16
        .size:           8
        .value_kind:     by_value
      - .address_space:  global
        .offset:         24
        .size:           8
        .value_kind:     global_buffer
      - .address_space:  global
        .offset:         32
        .size:           8
        .value_kind:     global_buffer
      - .offset:         40
        .size:           8
        .value_kind:     by_value
      - .address_space:  global
        .offset:         48
        .size:           8
        .value_kind:     global_buffer
      - .offset:         56
        .size:           4
        .value_kind:     hidden_block_count_x
      - .offset:         60
        .size:           4
        .value_kind:     hidden_block_count_y
      - .offset:         64
        .size:           4
        .value_kind:     hidden_block_count_z
      - .offset:         68
        .size:           2
        .value_kind:     hidden_group_size_x
      - .offset:         70
        .size:           2
        .value_kind:     hidden_group_size_y
      - .offset:         72
        .size:           2
        .value_kind:     hidden_group_size_z
      - .offset:         74
        .size:           2
        .value_kind:     hidden_remainder_x
      - .offset:         76
        .size:           2
        .value_kind:     hidden_remainder_y
      - .offset:         78
        .size:           2
        .value_kind:     hidden_remainder_z
      - .offset:         96
        .size:           8
        .value_kind:     hidden_global_offset_x
      - .offset:         104
        .size:           8
        .value_kind:     hidden_global_offset_y
      - .offset:         112
        .size:           8
        .value_kind:     hidden_global_offset_z
      - .offset:         120
        .size:           2
        .value_kind:     hidden_grid_dims
    .group_segment_fixed_size: 0
    .kernarg_segment_align: 8
    .kernarg_segment_size: 312
    .language:       OpenCL C
    .language_version:
      - 2
      - 0
    .max_flat_workgroup_size: 1024
    .name:           _ZN9rocsolver6v33100L22bdsqr_update_endpointsI19rocblas_complex_numIdEdEEviPT0_lPiS5_lS6_
    .private_segment_fixed_size: 0
    .sgpr_count:     30
    .sgpr_spill_count: 0
    .symbol:         _ZN9rocsolver6v33100L22bdsqr_update_endpointsI19rocblas_complex_numIdEdEEviPT0_lPiS5_lS6_.kd
    .uniform_work_group_size: 1
    .uses_dynamic_stack: false
    .vgpr_count:     16
    .vgpr_spill_count: 0
    .wavefront_size: 64
  - .agpr_count:     0
    .args:
      - .offset:         0
        .size:           4
        .value_kind:     by_value
      - .offset:         4
        .size:           4
        .value_kind:     by_value
      - .address_space:  global
        .offset:         8
        .size:           8
        .value_kind:     global_buffer
      - .address_space:  global
        .offset:         16
        .size:           8
        .value_kind:     global_buffer
      - .offset:         24
        .size:           8
        .value_kind:     by_value
      - .address_space:  global
        .offset:         32
        .size:           8
        .value_kind:     global_buffer
    .group_segment_fixed_size: 0
    .kernarg_segment_align: 8
    .kernarg_segment_size: 40
    .language:       OpenCL C
    .language_version:
      - 2
      - 0
    .max_flat_workgroup_size: 1024
    .name:           _ZN9rocsolver6v33100L19bdsqr_chk_completedI19rocblas_complex_numIdEdEEviiPiPT0_lS4_
    .private_segment_fixed_size: 0
    .sgpr_count:     24
    .sgpr_spill_count: 0
    .symbol:         _ZN9rocsolver6v33100L19bdsqr_chk_completedI19rocblas_complex_numIdEdEEviiPiPT0_lS4_.kd
    .uniform_work_group_size: 1
    .uses_dynamic_stack: false
    .vgpr_count:     6
    .vgpr_spill_count: 0
    .wavefront_size: 64
  - .agpr_count:     0
    .args:
      - .offset:         0
        .size:           4
        .value_kind:     by_value
      - .offset:         4
        .size:           4
        .value_kind:     by_value
      - .offset:         8
        .size:           4
        .value_kind:     by_value
      - .offset:         12
        .size:           4
        .value_kind:     by_value
      - .address_space:  global
        .offset:         16
        .size:           8
        .value_kind:     global_buffer
      - .offset:         24
        .size:           8
        .value_kind:     by_value
      - .address_space:  global
        .offset:         32
        .size:           8
        .value_kind:     global_buffer
      - .offset:         40
        .size:           8
        .value_kind:     by_value
      - .address_space:  global
        .offset:         48
        .size:           8
        .value_kind:     global_buffer
      - .offset:         56
        .size:           4
        .value_kind:     by_value
      - .offset:         60
        .size:           4
        .value_kind:     by_value
      - .offset:         64
        .size:           8
        .value_kind:     by_value
      - .address_space:  global
        .offset:         72
        .size:           8
        .value_kind:     global_buffer
      - .offset:         80
        .size:           4
        .value_kind:     by_value
      - .offset:         84
        .size:           4
        .value_kind:     by_value
      - .offset:         88
        .size:           8
        .value_kind:     by_value
      - .address_space:  global
        .offset:         96
        .size:           8
        .value_kind:     global_buffer
      - .offset:         104
        .size:           4
        .value_kind:     by_value
      - .offset:         108
        .size:           4
        .value_kind:     by_value
      - .offset:         112
        .size:           8
        .value_kind:     by_value
      - .address_space:  global
        .offset:         120
        .size:           8
        .value_kind:     global_buffer
      - .address_space:  global
        .offset:         128
        .size:           8
        .value_kind:     global_buffer
      - .address_space:  global
        .offset:         136
        .size:           8
        .value_kind:     global_buffer
      - .offset:         144
        .size:           4
        .value_kind:     hidden_block_count_x
      - .offset:         148
        .size:           4
        .value_kind:     hidden_block_count_y
      - .offset:         152
        .size:           4
        .value_kind:     hidden_block_count_z
      - .offset:         156
        .size:           2
        .value_kind:     hidden_group_size_x
      - .offset:         158
        .size:           2
        .value_kind:     hidden_group_size_y
      - .offset:         160
        .size:           2
        .value_kind:     hidden_group_size_z
      - .offset:         162
        .size:           2
        .value_kind:     hidden_remainder_x
      - .offset:         164
        .size:           2
        .value_kind:     hidden_remainder_y
      - .offset:         166
        .size:           2
        .value_kind:     hidden_remainder_z
      - .offset:         184
        .size:           8
        .value_kind:     hidden_global_offset_x
      - .offset:         192
        .size:           8
        .value_kind:     hidden_global_offset_y
      - .offset:         200
        .size:           8
        .value_kind:     hidden_global_offset_z
      - .offset:         208
        .size:           2
        .value_kind:     hidden_grid_dims
      - .offset:         224
        .size:           8
        .value_kind:     hidden_hostcall_buffer
    .group_segment_fixed_size: 32768
    .kernarg_segment_align: 8
    .kernarg_segment_size: 400
    .language:       OpenCL C
    .language_version:
      - 2
      - 0
    .max_flat_workgroup_size: 1024
    .name:           _ZN9rocsolver6v33100L14bdsqr_finalizeI19rocblas_complex_numIdEdPKPS3_S4_S6_EEviiiiPT0_lS8_lT1_iilT2_iilT3_iilPiSC_SC_
    .private_segment_fixed_size: 144
    .sgpr_count:     84
    .sgpr_spill_count: 0
    .symbol:         _ZN9rocsolver6v33100L14bdsqr_finalizeI19rocblas_complex_numIdEdPKPS3_S4_S6_EEviiiiPT0_lS8_lT1_iilT2_iilT3_iilPiSC_SC_.kd
    .uniform_work_group_size: 1
    .uses_dynamic_stack: false
    .vgpr_count:     45
    .vgpr_spill_count: 0
    .wavefront_size: 64
  - .agpr_count:     0
    .args:
      - .offset:         0
        .size:           4
        .value_kind:     by_value
      - .offset:         4
        .size:           4
        .value_kind:     by_value
      - .offset:         8
        .size:           4
        .value_kind:     by_value
      - .address_space:  global
        .offset:         16
        .size:           8
        .value_kind:     global_buffer
      - .offset:         24
        .size:           8
        .value_kind:     by_value
      - .address_space:  global
        .offset:         32
        .size:           8
        .value_kind:     global_buffer
      - .offset:         40
        .size:           8
        .value_kind:     by_value
      - .address_space:  global
        .offset:         48
        .size:           8
        .value_kind:     global_buffer
      - .offset:         56
        .size:           4
        .value_kind:     by_value
      - .offset:         60
        .size:           4
        .value_kind:     by_value
      - .offset:         64
        .size:           8
        .value_kind:     by_value
      - .address_space:  global
        .offset:         72
        .size:           8
        .value_kind:     global_buffer
      - .offset:         80
        .size:           4
        .value_kind:     by_value
      - .offset:         84
        .size:           4
        .value_kind:     by_value
      - .offset:         88
        .size:           8
        .value_kind:     by_value
      - .address_space:  global
        .offset:         96
        .size:           8
        .value_kind:     global_buffer
      - .address_space:  global
        .offset:         104
        .size:           8
        .value_kind:     global_buffer
      - .offset:         112
        .size:           8
        .value_kind:     by_value
      - .address_space:  global
        .offset:         120
        .size:           8
        .value_kind:     global_buffer
      - .offset:         128
        .size:           4
        .value_kind:     hidden_block_count_x
      - .offset:         132
        .size:           4
        .value_kind:     hidden_block_count_y
      - .offset:         136
        .size:           4
        .value_kind:     hidden_block_count_z
      - .offset:         140
        .size:           2
        .value_kind:     hidden_group_size_x
      - .offset:         142
        .size:           2
        .value_kind:     hidden_group_size_y
      - .offset:         144
        .size:           2
        .value_kind:     hidden_group_size_z
      - .offset:         146
        .size:           2
        .value_kind:     hidden_remainder_x
      - .offset:         148
        .size:           2
        .value_kind:     hidden_remainder_y
      - .offset:         150
        .size:           2
        .value_kind:     hidden_remainder_z
      - .offset:         168
        .size:           8
        .value_kind:     hidden_global_offset_x
      - .offset:         176
        .size:           8
        .value_kind:     hidden_global_offset_y
      - .offset:         184
        .size:           8
        .value_kind:     hidden_global_offset_z
      - .offset:         192
        .size:           2
        .value_kind:     hidden_grid_dims
    .group_segment_fixed_size: 0
    .kernarg_segment_align: 8
    .kernarg_segment_size: 384
    .language:       OpenCL C
    .language_version:
      - 2
      - 0
    .max_flat_workgroup_size: 1024
    .name:           _ZN9rocsolver6v33100L17bdsqr_lower2upperI19rocblas_complex_numIdEdPKPS3_S6_EEviiiPT0_lS8_lT1_iilT2_iilPiS8_lSB_
    .private_segment_fixed_size: 0
    .sgpr_count:     42
    .sgpr_spill_count: 0
    .symbol:         _ZN9rocsolver6v33100L17bdsqr_lower2upperI19rocblas_complex_numIdEdPKPS3_S6_EEviiiPT0_lS8_lT1_iilT2_iilPiS8_lSB_.kd
    .uniform_work_group_size: 1
    .uses_dynamic_stack: false
    .vgpr_count:     28
    .vgpr_spill_count: 0
    .wavefront_size: 64
  - .agpr_count:     0
    .args:
      - .offset:         0
        .size:           4
        .value_kind:     by_value
      - .offset:         4
        .size:           4
        .value_kind:     by_value
      - .offset:         8
        .size:           4
        .value_kind:     by_value
      - .offset:         12
        .size:           4
        .value_kind:     by_value
      - .address_space:  global
        .offset:         16
        .size:           8
        .value_kind:     global_buffer
      - .offset:         24
        .size:           8
        .value_kind:     by_value
      - .address_space:  global
        .offset:         32
        .size:           8
        .value_kind:     global_buffer
      - .offset:         40
        .size:           8
        .value_kind:     by_value
      - .address_space:  global
        .offset:         48
        .size:           8
        .value_kind:     global_buffer
      - .offset:         56
        .size:           4
        .value_kind:     by_value
      - .offset:         60
        .size:           4
        .value_kind:     by_value
      - .offset:         64
        .size:           8
        .value_kind:     by_value
      - .address_space:  global
        .offset:         72
        .size:           8
        .value_kind:     global_buffer
      - .offset:         80
        .size:           4
        .value_kind:     by_value
      - .offset:         84
        .size:           4
        .value_kind:     by_value
      - .offset:         88
        .size:           8
        .value_kind:     by_value
      - .address_space:  global
        .offset:         96
        .size:           8
        .value_kind:     global_buffer
      - .offset:         104
        .size:           4
        .value_kind:     by_value
      - .offset:         108
        .size:           4
        .value_kind:     by_value
      - .offset:         112
        .size:           8
        .value_kind:     by_value
      - .offset:         120
        .size:           4
        .value_kind:     by_value
      - .offset:         128
        .size:           8
        .value_kind:     by_value
      - .offset:         136
        .size:           8
        .value_kind:     by_value
      - .offset:         144
        .size:           8
        .value_kind:     by_value
      - .offset:         152
        .size:           8
        .value_kind:     by_value
      - .address_space:  global
        .offset:         160
        .size:           8
        .value_kind:     global_buffer
      - .address_space:  global
        .offset:         168
        .size:           8
        .value_kind:     global_buffer
      - .offset:         176
        .size:           4
        .value_kind:     by_value
      - .offset:         184
        .size:           8
        .value_kind:     by_value
      - .address_space:  global
        .offset:         192
        .size:           8
        .value_kind:     global_buffer
      - .offset:         200
        .size:           4
        .value_kind:     hidden_block_count_x
      - .offset:         204
        .size:           4
        .value_kind:     hidden_block_count_y
      - .offset:         208
        .size:           4
        .value_kind:     hidden_block_count_z
      - .offset:         212
        .size:           2
        .value_kind:     hidden_group_size_x
      - .offset:         214
        .size:           2
        .value_kind:     hidden_group_size_y
      - .offset:         216
        .size:           2
        .value_kind:     hidden_group_size_z
      - .offset:         218
        .size:           2
        .value_kind:     hidden_remainder_x
      - .offset:         220
        .size:           2
        .value_kind:     hidden_remainder_y
      - .offset:         222
        .size:           2
        .value_kind:     hidden_remainder_z
      - .offset:         240
        .size:           8
        .value_kind:     hidden_global_offset_x
      - .offset:         248
        .size:           8
        .value_kind:     hidden_global_offset_y
      - .offset:         256
        .size:           8
        .value_kind:     hidden_global_offset_z
      - .offset:         264
        .size:           2
        .value_kind:     hidden_grid_dims
    .group_segment_fixed_size: 2072
    .kernarg_segment_align: 8
    .kernarg_segment_size: 456
    .language:       OpenCL C
    .language_version:
      - 2
      - 0
    .max_flat_workgroup_size: 1024
    .name:           _ZN9rocsolver6v33100L13bdsqr_computeILi256E19rocblas_complex_numIdEdPS3_PKS4_S6_EEviiiiPT1_lS8_lT2_iilT3_iilT4_iiliS7_S7_S7_S7_PiS8_ilSC_
    .private_segment_fixed_size: 0
    .sgpr_count:     100
    .sgpr_spill_count: 31
    .symbol:         _ZN9rocsolver6v33100L13bdsqr_computeILi256E19rocblas_complex_numIdEdPS3_PKS4_S6_EEviiiiPT1_lS8_lT2_iilT3_iilT4_iiliS7_S7_S7_S7_PiS8_ilSC_.kd
    .uniform_work_group_size: 1
    .uses_dynamic_stack: false
    .vgpr_count:     45
    .vgpr_spill_count: 0
    .wavefront_size: 64
  - .agpr_count:     0
    .args:
      - .offset:         0
        .size:           4
        .value_kind:     by_value
      - .offset:         4
        .size:           4
        .value_kind:     by_value
      - .offset:         8
        .size:           4
        .value_kind:     by_value
      - .offset:         12
        .size:           4
        .value_kind:     by_value
      - .address_space:  global
        .offset:         16
        .size:           8
        .value_kind:     global_buffer
      - .offset:         24
        .size:           4
        .value_kind:     by_value
      - .offset:         28
        .size:           4
        .value_kind:     by_value
      - .offset:         32
        .size:           8
        .value_kind:     by_value
      - .address_space:  global
        .offset:         40
        .size:           8
        .value_kind:     global_buffer
      - .offset:         48
        .size:           4
        .value_kind:     by_value
      - .offset:         52
        .size:           4
        .value_kind:     by_value
      - .offset:         56
        .size:           8
        .value_kind:     by_value
      - .address_space:  global
        .offset:         64
        .size:           8
        .value_kind:     global_buffer
      - .offset:         72
        .size:           4
        .value_kind:     by_value
      - .offset:         76
        .size:           4
        .value_kind:     by_value
      - .offset:         80
        .size:           8
        .value_kind:     by_value
      - .offset:         88
        .size:           4
        .value_kind:     by_value
      - .address_space:  global
        .offset:         96
        .size:           8
        .value_kind:     global_buffer
      - .address_space:  global
        .offset:         104
        .size:           8
        .value_kind:     global_buffer
      - .offset:         112
        .size:           4
        .value_kind:     by_value
      - .offset:         120
        .size:           8
        .value_kind:     by_value
      - .address_space:  global
        .offset:         128
        .size:           8
        .value_kind:     global_buffer
      - .offset:         136
        .size:           4
        .value_kind:     hidden_block_count_x
      - .offset:         140
        .size:           4
        .value_kind:     hidden_block_count_y
      - .offset:         144
        .size:           4
        .value_kind:     hidden_block_count_z
      - .offset:         148
        .size:           2
        .value_kind:     hidden_group_size_x
      - .offset:         150
        .size:           2
        .value_kind:     hidden_group_size_y
      - .offset:         152
        .size:           2
        .value_kind:     hidden_group_size_z
      - .offset:         154
        .size:           2
        .value_kind:     hidden_remainder_x
      - .offset:         156
        .size:           2
        .value_kind:     hidden_remainder_y
      - .offset:         158
        .size:           2
        .value_kind:     hidden_remainder_z
      - .offset:         176
        .size:           8
        .value_kind:     hidden_global_offset_x
      - .offset:         184
        .size:           8
        .value_kind:     hidden_global_offset_y
      - .offset:         192
        .size:           8
        .value_kind:     hidden_global_offset_z
      - .offset:         200
        .size:           2
        .value_kind:     hidden_grid_dims
    .group_segment_fixed_size: 0
    .kernarg_segment_align: 8
    .kernarg_segment_size: 392
    .language:       OpenCL C
    .language_version:
      - 2
      - 0
    .max_flat_workgroup_size: 1024
    .name:           _ZN9rocsolver6v33100L12bdsqr_rotateI19rocblas_complex_numIdEdPS3_PKS4_S6_EEviiiiT1_iilT2_iilT3_iiliPiPT0_ilSA_
    .private_segment_fixed_size: 0
    .sgpr_count:     52
    .sgpr_spill_count: 0
    .symbol:         _ZN9rocsolver6v33100L12bdsqr_rotateI19rocblas_complex_numIdEdPS3_PKS4_S6_EEviiiiT1_iilT2_iilT3_iiliPiPT0_ilSA_.kd
    .uniform_work_group_size: 1
    .uses_dynamic_stack: false
    .vgpr_count:     28
    .vgpr_spill_count: 0
    .wavefront_size: 64
  - .agpr_count:     0
    .args:
      - .offset:         0
        .size:           4
        .value_kind:     by_value
      - .offset:         4
        .size:           4
        .value_kind:     by_value
      - .offset:         8
        .size:           4
        .value_kind:     by_value
      - .offset:         12
        .size:           4
        .value_kind:     by_value
      - .address_space:  global
        .offset:         16
        .size:           8
        .value_kind:     global_buffer
      - .offset:         24
        .size:           8
        .value_kind:     by_value
      - .address_space:  global
        .offset:         32
        .size:           8
        .value_kind:     global_buffer
      - .offset:         40
        .size:           8
        .value_kind:     by_value
      - .address_space:  global
        .offset:         48
        .size:           8
        .value_kind:     global_buffer
      - .offset:         56
        .size:           4
        .value_kind:     by_value
      - .offset:         60
        .size:           4
        .value_kind:     by_value
      - .offset:         64
        .size:           8
        .value_kind:     by_value
      - .address_space:  global
        .offset:         72
        .size:           8
        .value_kind:     global_buffer
      - .offset:         80
        .size:           4
        .value_kind:     by_value
      - .offset:         84
        .size:           4
        .value_kind:     by_value
      - .offset:         88
        .size:           8
        .value_kind:     by_value
      - .address_space:  global
        .offset:         96
        .size:           8
        .value_kind:     global_buffer
      - .offset:         104
        .size:           4
        .value_kind:     by_value
      - .offset:         108
        .size:           4
        .value_kind:     by_value
      - .offset:         112
        .size:           8
        .value_kind:     by_value
      - .address_space:  global
        .offset:         120
        .size:           8
        .value_kind:     global_buffer
      - .address_space:  global
        .offset:         128
        .size:           8
        .value_kind:     global_buffer
      - .address_space:  global
        .offset:         136
        .size:           8
        .value_kind:     global_buffer
      - .offset:         144
        .size:           4
        .value_kind:     hidden_block_count_x
      - .offset:         148
        .size:           4
        .value_kind:     hidden_block_count_y
      - .offset:         152
        .size:           4
        .value_kind:     hidden_block_count_z
      - .offset:         156
        .size:           2
        .value_kind:     hidden_group_size_x
      - .offset:         158
        .size:           2
        .value_kind:     hidden_group_size_y
      - .offset:         160
        .size:           2
        .value_kind:     hidden_group_size_z
      - .offset:         162
        .size:           2
        .value_kind:     hidden_remainder_x
      - .offset:         164
        .size:           2
        .value_kind:     hidden_remainder_y
      - .offset:         166
        .size:           2
        .value_kind:     hidden_remainder_z
      - .offset:         184
        .size:           8
        .value_kind:     hidden_global_offset_x
      - .offset:         192
        .size:           8
        .value_kind:     hidden_global_offset_y
      - .offset:         200
        .size:           8
        .value_kind:     hidden_global_offset_z
      - .offset:         208
        .size:           2
        .value_kind:     hidden_grid_dims
      - .offset:         224
        .size:           8
        .value_kind:     hidden_hostcall_buffer
    .group_segment_fixed_size: 32768
    .kernarg_segment_align: 8
    .kernarg_segment_size: 400
    .language:       OpenCL C
    .language_version:
      - 2
      - 0
    .max_flat_workgroup_size: 1024
    .name:           _ZN9rocsolver6v33100L14bdsqr_finalizeI19rocblas_complex_numIdEdPS3_PKS4_S6_EEviiiiPT0_lS8_lT1_iilT2_iilT3_iilPiSC_SC_
    .private_segment_fixed_size: 144
    .sgpr_count:     84
    .sgpr_spill_count: 0
    .symbol:         _ZN9rocsolver6v33100L14bdsqr_finalizeI19rocblas_complex_numIdEdPS3_PKS4_S6_EEviiiiPT0_lS8_lT1_iilT2_iilT3_iilPiSC_SC_.kd
    .uniform_work_group_size: 1
    .uses_dynamic_stack: false
    .vgpr_count:     45
    .vgpr_spill_count: 0
    .wavefront_size: 64
  - .agpr_count:     0
    .args:
      - .offset:         0
        .size:           4
        .value_kind:     by_value
      - .offset:         4
        .size:           4
        .value_kind:     by_value
      - .address_space:  global
        .offset:         8
        .size:           8
        .value_kind:     global_buffer
      - .offset:         16
        .size:           4
        .value_kind:     by_value
      - .offset:         20
        .size:           4
        .value_kind:     by_value
      - .offset:         24
        .size:           8
        .value_kind:     by_value
      - .address_space:  global
        .offset:         32
        .size:           8
        .value_kind:     global_buffer
      - .offset:         40
        .size:           4
        .value_kind:     by_value
      - .offset:         44
        .size:           4
        .value_kind:     by_value
      - .offset:         48
        .size:           8
        .value_kind:     by_value
      - .offset:         56
        .size:           1
        .value_kind:     by_value
      - .offset:         60
        .size:           4
        .value_kind:     by_value
      - .offset:         64
        .size:           4
        .value_kind:     by_value
      - .offset:         72
        .size:           4
        .value_kind:     hidden_block_count_x
      - .offset:         76
        .size:           4
        .value_kind:     hidden_block_count_y
      - .offset:         80
        .size:           4
        .value_kind:     hidden_block_count_z
      - .offset:         84
        .size:           2
        .value_kind:     hidden_group_size_x
      - .offset:         86
        .size:           2
        .value_kind:     hidden_group_size_y
      - .offset:         88
        .size:           2
        .value_kind:     hidden_group_size_z
      - .offset:         90
        .size:           2
        .value_kind:     hidden_remainder_x
      - .offset:         92
        .size:           2
        .value_kind:     hidden_remainder_y
      - .offset:         94
        .size:           2
        .value_kind:     hidden_remainder_z
      - .offset:         112
        .size:           8
        .value_kind:     hidden_global_offset_x
      - .offset:         120
        .size:           8
        .value_kind:     hidden_global_offset_y
      - .offset:         128
        .size:           8
        .value_kind:     hidden_global_offset_z
      - .offset:         136
        .size:           2
        .value_kind:     hidden_grid_dims
    .group_segment_fixed_size: 0
    .kernarg_segment_align: 8
    .kernarg_segment_size: 328
    .language:       OpenCL C
    .language_version:
      - 2
      - 0
    .max_flat_workgroup_size: 1024
    .name:           _ZN9rocsolver6v33100L8copy_matI19rocblas_complex_numIdEPKPS3_S4_NS0_7no_maskEEEviiT0_iilT1_iilT2_13rocblas_fill_17rocblas_diagonal_
    .private_segment_fixed_size: 0
    .sgpr_count:     20
    .sgpr_spill_count: 0
    .symbol:         _ZN9rocsolver6v33100L8copy_matI19rocblas_complex_numIdEPKPS3_S4_NS0_7no_maskEEEviiT0_iilT1_iilT2_13rocblas_fill_17rocblas_diagonal_.kd
    .uniform_work_group_size: 1
    .uses_dynamic_stack: false
    .vgpr_count:     8
    .vgpr_spill_count: 0
    .wavefront_size: 64
  - .agpr_count:     0
    .args:
      - .offset:         0
        .size:           4
        .value_kind:     by_value
      - .offset:         4
        .size:           4
        .value_kind:     by_value
      - .offset:         8
        .size:           4
        .value_kind:     by_value
      - .address_space:  global
        .offset:         16
        .size:           8
        .value_kind:     global_buffer
      - .offset:         24
        .size:           4
        .value_kind:     by_value
      - .offset:         28
        .size:           4
        .value_kind:     by_value
      - .offset:         32
        .size:           8
        .value_kind:     by_value
      - .offset:         40
        .size:           4
        .value_kind:     hidden_block_count_x
      - .offset:         44
        .size:           4
        .value_kind:     hidden_block_count_y
      - .offset:         48
        .size:           4
        .value_kind:     hidden_block_count_z
      - .offset:         52
        .size:           2
        .value_kind:     hidden_group_size_x
      - .offset:         54
        .size:           2
        .value_kind:     hidden_group_size_y
      - .offset:         56
        .size:           2
        .value_kind:     hidden_group_size_z
      - .offset:         58
        .size:           2
        .value_kind:     hidden_remainder_x
      - .offset:         60
        .size:           2
        .value_kind:     hidden_remainder_y
      - .offset:         62
        .size:           2
        .value_kind:     hidden_remainder_z
      - .offset:         80
        .size:           8
        .value_kind:     hidden_global_offset_x
      - .offset:         88
        .size:           8
        .value_kind:     hidden_global_offset_y
      - .offset:         96
        .size:           8
        .value_kind:     hidden_global_offset_z
      - .offset:         104
        .size:           2
        .value_kind:     hidden_grid_dims
    .group_segment_fixed_size: 0
    .kernarg_segment_align: 8
    .kernarg_segment_size: 296
    .language:       OpenCL C
    .language_version:
      - 2
      - 0
    .max_flat_workgroup_size: 1024
    .name:           _ZN9rocsolver6v33100L16org2r_init_identI19rocblas_complex_numIdEPS3_EEviiiT0_iil
    .private_segment_fixed_size: 0
    .sgpr_count:     20
    .sgpr_spill_count: 0
    .symbol:         _ZN9rocsolver6v33100L16org2r_init_identI19rocblas_complex_numIdEPS3_EEviiiT0_iil.kd
    .uniform_work_group_size: 1
    .uses_dynamic_stack: false
    .vgpr_count:     6
    .vgpr_spill_count: 0
    .wavefront_size: 64
  - .agpr_count:     0
    .args:
      - .offset:         0
        .size:           4
        .value_kind:     by_value
      - .offset:         4
        .size:           4
        .value_kind:     by_value
      - .address_space:  global
        .offset:         8
        .size:           8
        .value_kind:     global_buffer
      - .offset:         16
        .size:           8
        .value_kind:     by_value
      - .offset:         24
        .size:           4
        .value_kind:     by_value
      - .offset:         32
        .size:           8
        .value_kind:     by_value
      - .address_space:  global
        .offset:         40
        .size:           8
        .value_kind:     global_buffer
      - .offset:         48
        .size:           8
        .value_kind:     by_value
      - .address_space:  global
        .offset:         56
        .size:           8
        .value_kind:     global_buffer
      - .offset:         64
        .size:           8
        .value_kind:     by_value
      - .offset:         72
        .size:           4
        .value_kind:     by_value
      - .offset:         80
        .size:           8
        .value_kind:     by_value
    .group_segment_fixed_size: 0
    .kernarg_segment_align: 8
    .kernarg_segment_size: 88
    .language:       OpenCL C
    .language_version:
      - 2
      - 0
    .max_flat_workgroup_size: 1024
    .name:           _ZN9rocsolver6v33100L16larf_left_kernelILi1024E19rocblas_complex_numIdEiPS3_EEvT1_S5_T2_lS5_lPKT0_lS6_lS5_l
    .private_segment_fixed_size: 0
    .sgpr_count:     42
    .sgpr_spill_count: 0
    .symbol:         _ZN9rocsolver6v33100L16larf_left_kernelILi1024E19rocblas_complex_numIdEiPS3_EEvT1_S5_T2_lS5_lPKT0_lS6_lS5_l.kd
    .uniform_work_group_size: 1
    .uses_dynamic_stack: false
    .vgpr_count:     22
    .vgpr_spill_count: 0
    .wavefront_size: 64
  - .agpr_count:     0
    .args:
      - .offset:         0
        .size:           4
        .value_kind:     by_value
      - .offset:         4
        .size:           4
        .value_kind:     by_value
      - .address_space:  global
        .offset:         8
        .size:           8
        .value_kind:     global_buffer
      - .offset:         16
        .size:           8
        .value_kind:     by_value
      - .offset:         24
        .size:           4
        .value_kind:     by_value
      - .offset:         32
        .size:           8
        .value_kind:     by_value
      - .address_space:  global
        .offset:         40
        .size:           8
        .value_kind:     global_buffer
      - .offset:         48
        .size:           8
        .value_kind:     by_value
      - .address_space:  global
        .offset:         56
        .size:           8
        .value_kind:     global_buffer
      - .offset:         64
        .size:           8
        .value_kind:     by_value
      - .offset:         72
        .size:           4
        .value_kind:     by_value
      - .offset:         80
        .size:           8
        .value_kind:     by_value
    .group_segment_fixed_size: 0
    .kernarg_segment_align: 8
    .kernarg_segment_size: 88
    .language:       OpenCL C
    .language_version:
      - 2
      - 0
    .max_flat_workgroup_size: 1024
    .name:           _ZN9rocsolver6v33100L17larf_right_kernelILi1024E19rocblas_complex_numIdEiPS3_EEvT1_S5_T2_lS5_lPKT0_lS6_lS5_l
    .private_segment_fixed_size: 0
    .sgpr_count:     44
    .sgpr_spill_count: 0
    .symbol:         _ZN9rocsolver6v33100L17larf_right_kernelILi1024E19rocblas_complex_numIdEiPS3_EEvT1_S5_T2_lS5_lPKT0_lS6_lS5_l.kd
    .uniform_work_group_size: 1
    .uses_dynamic_stack: false
    .vgpr_count:     23
    .vgpr_spill_count: 0
    .wavefront_size: 64
  - .agpr_count:     0
    .args:
      - .offset:         0
        .size:           4
        .value_kind:     by_value
      - .offset:         4
        .size:           4
        .value_kind:     by_value
      - .address_space:  global
        .offset:         8
        .size:           8
        .value_kind:     global_buffer
      - .offset:         16
        .size:           4
        .value_kind:     by_value
      - .offset:         20
        .size:           4
        .value_kind:     by_value
      - .offset:         24
        .size:           8
        .value_kind:     by_value
      - .address_space:  global
        .offset:         32
        .size:           8
        .value_kind:     global_buffer
      - .offset:         40
        .size:           8
        .value_kind:     by_value
    .group_segment_fixed_size: 0
    .kernarg_segment_align: 8
    .kernarg_segment_size: 48
    .language:       OpenCL C
    .language_version:
      - 2
      - 0
    .max_flat_workgroup_size: 1024
    .name:           _ZN9rocsolver6v33100L12subtract_tauI19rocblas_complex_numIdEPS3_EEviiT0_iilPT_l
    .private_segment_fixed_size: 0
    .sgpr_count:     20
    .sgpr_spill_count: 0
    .symbol:         _ZN9rocsolver6v33100L12subtract_tauI19rocblas_complex_numIdEPS3_EEviiT0_iilPT_l.kd
    .uniform_work_group_size: 1
    .uses_dynamic_stack: false
    .vgpr_count:     5
    .vgpr_spill_count: 0
    .wavefront_size: 64
  - .agpr_count:     0
    .args:
      - .offset:         0
        .size:           4
        .value_kind:     by_value
      - .offset:         4
        .size:           4
        .value_kind:     by_value
      - .address_space:  global
        .offset:         8
        .size:           8
        .value_kind:     global_buffer
      - .offset:         16
        .size:           4
        .value_kind:     by_value
      - .offset:         20
        .size:           4
        .value_kind:     by_value
      - .offset:         24
        .size:           8
        .value_kind:     by_value
      - .address_space:  global
        .offset:         32
        .size:           8
        .value_kind:     global_buffer
      - .offset:         40
        .size:           8
        .value_kind:     by_value
      - .address_space:  global
        .offset:         48
        .size:           8
        .value_kind:     global_buffer
      - .offset:         56
        .size:           4
        .value_kind:     by_value
      - .offset:         64
        .size:           8
        .value_kind:     by_value
      - .offset:         72
        .size:           4
        .value_kind:     by_value
      - .offset:         76
        .size:           4
        .value_kind:     by_value
      - .offset:         80
        .size:           1
        .value_kind:     by_value
      - .offset:         88
        .size:           4
        .value_kind:     hidden_block_count_x
      - .offset:         92
        .size:           4
        .value_kind:     hidden_block_count_y
      - .offset:         96
        .size:           4
        .value_kind:     hidden_block_count_z
      - .offset:         100
        .size:           2
        .value_kind:     hidden_group_size_x
      - .offset:         102
        .size:           2
        .value_kind:     hidden_group_size_y
      - .offset:         104
        .size:           2
        .value_kind:     hidden_group_size_z
      - .offset:         106
        .size:           2
        .value_kind:     hidden_remainder_x
      - .offset:         108
        .size:           2
        .value_kind:     hidden_remainder_y
      - .offset:         110
        .size:           2
        .value_kind:     hidden_remainder_z
      - .offset:         128
        .size:           8
        .value_kind:     hidden_global_offset_x
      - .offset:         136
        .size:           8
        .value_kind:     hidden_global_offset_y
      - .offset:         144
        .size:           8
        .value_kind:     hidden_global_offset_z
      - .offset:         152
        .size:           2
        .value_kind:     hidden_grid_dims
    .group_segment_fixed_size: 0
    .kernarg_segment_align: 8
    .kernarg_segment_size: 344
    .language:       OpenCL C
    .language_version:
      - 2
      - 0
    .max_flat_workgroup_size: 1024
    .name:           _ZN9rocsolver6v33100L14set_triangularI19rocblas_complex_numIdEPS3_TnNSt9enable_ifIX18rocblas_is_complexIT_EEiE4typeELi0EEEviiT0_iilPS6_lSA_il15rocblas_direct_15rocblas_storev_b
    .private_segment_fixed_size: 0
    .sgpr_count:     27
    .sgpr_spill_count: 0
    .symbol:         _ZN9rocsolver6v33100L14set_triangularI19rocblas_complex_numIdEPS3_TnNSt9enable_ifIX18rocblas_is_complexIT_EEiE4typeELi0EEEviiT0_iilPS6_lSA_il15rocblas_direct_15rocblas_storev_b.kd
    .uniform_work_group_size: 1
    .uses_dynamic_stack: false
    .vgpr_count:     22
    .vgpr_spill_count: 0
    .wavefront_size: 64
  - .agpr_count:     0
    .args:
      - .offset:         0
        .size:           4
        .value_kind:     by_value
      - .offset:         4
        .size:           4
        .value_kind:     by_value
      - .offset:         8
        .size:           4
        .value_kind:     by_value
      - .address_space:  global
        .offset:         16
        .size:           8
        .value_kind:     global_buffer
      - .offset:         24
        .size:           4
        .value_kind:     by_value
      - .offset:         28
        .size:           4
        .value_kind:     by_value
      - .offset:         32
        .size:           8
        .value_kind:     by_value
      - .address_space:  global
        .offset:         40
        .size:           8
        .value_kind:     global_buffer
      - .offset:         48
        .size:           8
        .value_kind:     by_value
      - .address_space:  global
        .offset:         56
        .size:           8
        .value_kind:     global_buffer
      - .offset:         64
        .size:           4
        .value_kind:     by_value
      - .offset:         72
        .size:           8
        .value_kind:     by_value
      - .offset:         80
        .size:           4
        .value_kind:     hidden_block_count_x
      - .offset:         84
        .size:           4
        .value_kind:     hidden_block_count_y
      - .offset:         88
        .size:           4
        .value_kind:     hidden_block_count_z
      - .offset:         92
        .size:           2
        .value_kind:     hidden_group_size_x
      - .offset:         94
        .size:           2
        .value_kind:     hidden_group_size_y
      - .offset:         96
        .size:           2
        .value_kind:     hidden_group_size_z
      - .offset:         98
        .size:           2
        .value_kind:     hidden_remainder_x
      - .offset:         100
        .size:           2
        .value_kind:     hidden_remainder_y
      - .offset:         102
        .size:           2
        .value_kind:     hidden_remainder_z
      - .offset:         120
        .size:           8
        .value_kind:     hidden_global_offset_x
      - .offset:         128
        .size:           8
        .value_kind:     hidden_global_offset_y
      - .offset:         136
        .size:           8
        .value_kind:     hidden_global_offset_z
      - .offset:         144
        .size:           2
        .value_kind:     hidden_grid_dims
      - .offset:         200
        .size:           4
        .value_kind:     hidden_dynamic_lds_size
    .group_segment_fixed_size: 0
    .kernarg_segment_align: 8
    .kernarg_segment_size: 336
    .language:       OpenCL C
    .language_version:
      - 2
      - 0
    .max_flat_workgroup_size: 1024
    .name:           _ZN9rocsolver6v33100L20larft_kernel_forwardI19rocblas_complex_numIdEPS3_EEv15rocblas_storev_iiT0_iilPT_lS8_il
    .private_segment_fixed_size: 0
    .sgpr_count:     60
    .sgpr_spill_count: 0
    .symbol:         _ZN9rocsolver6v33100L20larft_kernel_forwardI19rocblas_complex_numIdEPS3_EEv15rocblas_storev_iiT0_iilPT_lS8_il.kd
    .uniform_work_group_size: 1
    .uses_dynamic_stack: false
    .vgpr_count:     28
    .vgpr_spill_count: 0
    .wavefront_size: 64
  - .agpr_count:     0
    .args:
      - .offset:         0
        .size:           4
        .value_kind:     by_value
      - .offset:         4
        .size:           4
        .value_kind:     by_value
      - .offset:         8
        .size:           4
        .value_kind:     by_value
      - .address_space:  global
        .offset:         16
        .size:           8
        .value_kind:     global_buffer
      - .offset:         24
        .size:           4
        .value_kind:     by_value
      - .offset:         28
        .size:           4
        .value_kind:     by_value
      - .offset:         32
        .size:           8
        .value_kind:     by_value
      - .address_space:  global
        .offset:         40
        .size:           8
        .value_kind:     global_buffer
      - .offset:         48
        .size:           8
        .value_kind:     by_value
      - .address_space:  global
        .offset:         56
        .size:           8
        .value_kind:     global_buffer
      - .offset:         64
        .size:           4
        .value_kind:     by_value
      - .offset:         72
        .size:           8
        .value_kind:     by_value
      - .offset:         80
        .size:           4
        .value_kind:     hidden_block_count_x
      - .offset:         84
        .size:           4
        .value_kind:     hidden_block_count_y
      - .offset:         88
        .size:           4
        .value_kind:     hidden_block_count_z
      - .offset:         92
        .size:           2
        .value_kind:     hidden_group_size_x
      - .offset:         94
        .size:           2
        .value_kind:     hidden_group_size_y
      - .offset:         96
        .size:           2
        .value_kind:     hidden_group_size_z
      - .offset:         98
        .size:           2
        .value_kind:     hidden_remainder_x
      - .offset:         100
        .size:           2
        .value_kind:     hidden_remainder_y
      - .offset:         102
        .size:           2
        .value_kind:     hidden_remainder_z
      - .offset:         120
        .size:           8
        .value_kind:     hidden_global_offset_x
      - .offset:         128
        .size:           8
        .value_kind:     hidden_global_offset_y
      - .offset:         136
        .size:           8
        .value_kind:     hidden_global_offset_z
      - .offset:         144
        .size:           2
        .value_kind:     hidden_grid_dims
      - .offset:         200
        .size:           4
        .value_kind:     hidden_dynamic_lds_size
    .group_segment_fixed_size: 0
    .kernarg_segment_align: 8
    .kernarg_segment_size: 336
    .language:       OpenCL C
    .language_version:
      - 2
      - 0
    .max_flat_workgroup_size: 1024
    .name:           _ZN9rocsolver6v33100L21larft_kernel_backwardI19rocblas_complex_numIdEPS3_EEv15rocblas_storev_iiT0_iilPT_lS8_il
    .private_segment_fixed_size: 0
    .sgpr_count:     60
    .sgpr_spill_count: 0
    .symbol:         _ZN9rocsolver6v33100L21larft_kernel_backwardI19rocblas_complex_numIdEPS3_EEv15rocblas_storev_iiT0_iilPT_lS8_il.kd
    .uniform_work_group_size: 1
    .uses_dynamic_stack: false
    .vgpr_count:     24
    .vgpr_spill_count: 0
    .wavefront_size: 64
  - .agpr_count:     0
    .args:
      - .offset:         0
        .size:           4
        .value_kind:     by_value
      - .offset:         4
        .size:           4
        .value_kind:     by_value
      - .address_space:  global
        .offset:         8
        .size:           8
        .value_kind:     global_buffer
      - .offset:         16
        .size:           4
        .value_kind:     by_value
      - .offset:         20
        .size:           4
        .value_kind:     by_value
      - .offset:         24
        .size:           8
        .value_kind:     by_value
      - .address_space:  global
        .offset:         32
        .size:           8
        .value_kind:     global_buffer
      - .offset:         40
        .size:           4
        .value_kind:     hidden_block_count_x
      - .offset:         44
        .size:           4
        .value_kind:     hidden_block_count_y
      - .offset:         48
        .size:           4
        .value_kind:     hidden_block_count_z
      - .offset:         52
        .size:           2
        .value_kind:     hidden_group_size_x
      - .offset:         54
        .size:           2
        .value_kind:     hidden_group_size_y
      - .offset:         56
        .size:           2
        .value_kind:     hidden_group_size_z
      - .offset:         58
        .size:           2
        .value_kind:     hidden_remainder_x
      - .offset:         60
        .size:           2
        .value_kind:     hidden_remainder_y
      - .offset:         62
        .size:           2
        .value_kind:     hidden_remainder_z
      - .offset:         80
        .size:           8
        .value_kind:     hidden_global_offset_x
      - .offset:         88
        .size:           8
        .value_kind:     hidden_global_offset_y
      - .offset:         96
        .size:           8
        .value_kind:     hidden_global_offset_z
      - .offset:         104
        .size:           2
        .value_kind:     hidden_grid_dims
    .group_segment_fixed_size: 0
    .kernarg_segment_align: 8
    .kernarg_segment_size: 296
    .language:       OpenCL C
    .language_version:
      - 2
      - 0
    .max_flat_workgroup_size: 1024
    .name:           _ZN9rocsolver6v33100L9copymatA1I19rocblas_complex_numIdEPS3_EEviiT0_iilPT_
    .private_segment_fixed_size: 0
    .sgpr_count:     24
    .sgpr_spill_count: 0
    .symbol:         _ZN9rocsolver6v33100L9copymatA1I19rocblas_complex_numIdEPS3_EEviiT0_iilPT_.kd
    .uniform_work_group_size: 1
    .uses_dynamic_stack: false
    .vgpr_count:     8
    .vgpr_spill_count: 0
    .wavefront_size: 64
  - .agpr_count:     0
    .args:
      - .offset:         0
        .size:           4
        .value_kind:     by_value
      - .offset:         4
        .size:           4
        .value_kind:     by_value
      - .address_space:  global
        .offset:         8
        .size:           8
        .value_kind:     global_buffer
      - .offset:         16
        .size:           4
        .value_kind:     by_value
      - .offset:         20
        .size:           4
        .value_kind:     by_value
      - .offset:         24
        .size:           8
        .value_kind:     by_value
      - .address_space:  global
        .offset:         32
        .size:           8
        .value_kind:     global_buffer
      - .offset:         40
        .size:           4
        .value_kind:     hidden_block_count_x
      - .offset:         44
        .size:           4
        .value_kind:     hidden_block_count_y
      - .offset:         48
        .size:           4
        .value_kind:     hidden_block_count_z
      - .offset:         52
        .size:           2
        .value_kind:     hidden_group_size_x
      - .offset:         54
        .size:           2
        .value_kind:     hidden_group_size_y
      - .offset:         56
        .size:           2
        .value_kind:     hidden_group_size_z
      - .offset:         58
        .size:           2
        .value_kind:     hidden_remainder_x
      - .offset:         60
        .size:           2
        .value_kind:     hidden_remainder_y
      - .offset:         62
        .size:           2
        .value_kind:     hidden_remainder_z
      - .offset:         80
        .size:           8
        .value_kind:     hidden_global_offset_x
      - .offset:         88
        .size:           8
        .value_kind:     hidden_global_offset_y
      - .offset:         96
        .size:           8
        .value_kind:     hidden_global_offset_z
      - .offset:         104
        .size:           2
        .value_kind:     hidden_grid_dims
    .group_segment_fixed_size: 0
    .kernarg_segment_align: 8
    .kernarg_segment_size: 296
    .language:       OpenCL C
    .language_version:
      - 2
      - 0
    .max_flat_workgroup_size: 1024
    .name:           _ZN9rocsolver6v33100L8addmatA1I19rocblas_complex_numIdEPS3_EEviiT0_iilPT_
    .private_segment_fixed_size: 0
    .sgpr_count:     19
    .sgpr_spill_count: 0
    .symbol:         _ZN9rocsolver6v33100L8addmatA1I19rocblas_complex_numIdEPS3_EEviiT0_iilPT_.kd
    .uniform_work_group_size: 1
    .uses_dynamic_stack: false
    .vgpr_count:     12
    .vgpr_spill_count: 0
    .wavefront_size: 64
  - .agpr_count:     0
    .args:
      - .offset:         0
        .size:           4
        .value_kind:     by_value
      - .offset:         4
        .size:           4
        .value_kind:     by_value
      - .offset:         8
        .size:           4
        .value_kind:     by_value
      - .address_space:  global
        .offset:         16
        .size:           8
        .value_kind:     global_buffer
      - .offset:         24
        .size:           4
        .value_kind:     by_value
      - .offset:         28
        .size:           4
        .value_kind:     by_value
      - .offset:         32
        .size:           8
        .value_kind:     by_value
      - .offset:         40
        .size:           4
        .value_kind:     hidden_block_count_x
      - .offset:         44
        .size:           4
        .value_kind:     hidden_block_count_y
      - .offset:         48
        .size:           4
        .value_kind:     hidden_block_count_z
      - .offset:         52
        .size:           2
        .value_kind:     hidden_group_size_x
      - .offset:         54
        .size:           2
        .value_kind:     hidden_group_size_y
      - .offset:         56
        .size:           2
        .value_kind:     hidden_group_size_z
      - .offset:         58
        .size:           2
        .value_kind:     hidden_remainder_x
      - .offset:         60
        .size:           2
        .value_kind:     hidden_remainder_y
      - .offset:         62
        .size:           2
        .value_kind:     hidden_remainder_z
      - .offset:         80
        .size:           8
        .value_kind:     hidden_global_offset_x
      - .offset:         88
        .size:           8
        .value_kind:     hidden_global_offset_y
      - .offset:         96
        .size:           8
        .value_kind:     hidden_global_offset_z
      - .offset:         104
        .size:           2
        .value_kind:     hidden_grid_dims
    .group_segment_fixed_size: 0
    .kernarg_segment_align: 8
    .kernarg_segment_size: 296
    .language:       OpenCL C
    .language_version:
      - 2
      - 0
    .max_flat_workgroup_size: 1024
    .name:           _ZN9rocsolver6v33100L16orgl2_init_identI19rocblas_complex_numIdEPS3_EEviiiT0_iil
    .private_segment_fixed_size: 0
    .sgpr_count:     20
    .sgpr_spill_count: 0
    .symbol:         _ZN9rocsolver6v33100L16orgl2_init_identI19rocblas_complex_numIdEPS3_EEviiiT0_iil.kd
    .uniform_work_group_size: 1
    .uses_dynamic_stack: false
    .vgpr_count:     6
    .vgpr_spill_count: 0
    .wavefront_size: 64
  - .agpr_count:     0
    .args:
      - .offset:         0
        .size:           4
        .value_kind:     by_value
      - .offset:         4
        .size:           4
        .value_kind:     by_value
      - .address_space:  global
        .offset:         8
        .size:           8
        .value_kind:     global_buffer
      - .offset:         16
        .size:           4
        .value_kind:     by_value
      - .offset:         20
        .size:           4
        .value_kind:     by_value
      - .offset:         24
        .size:           8
        .value_kind:     by_value
      - .offset:         32
        .size:           4
        .value_kind:     by_value
      - .offset:         40
        .size:           4
        .value_kind:     hidden_block_count_x
      - .offset:         44
        .size:           4
        .value_kind:     hidden_block_count_y
      - .offset:         48
        .size:           4
        .value_kind:     hidden_block_count_z
      - .offset:         52
        .size:           2
        .value_kind:     hidden_group_size_x
      - .offset:         54
        .size:           2
        .value_kind:     hidden_group_size_y
      - .offset:         56
        .size:           2
        .value_kind:     hidden_group_size_z
      - .offset:         58
        .size:           2
        .value_kind:     hidden_remainder_x
      - .offset:         60
        .size:           2
        .value_kind:     hidden_remainder_y
      - .offset:         62
        .size:           2
        .value_kind:     hidden_remainder_z
      - .offset:         80
        .size:           8
        .value_kind:     hidden_global_offset_x
      - .offset:         88
        .size:           8
        .value_kind:     hidden_global_offset_y
      - .offset:         96
        .size:           8
        .value_kind:     hidden_global_offset_z
      - .offset:         104
        .size:           2
        .value_kind:     hidden_grid_dims
    .group_segment_fixed_size: 0
    .kernarg_segment_align: 8
    .kernarg_segment_size: 296
    .language:       OpenCL C
    .language_version:
      - 2
      - 0
    .max_flat_workgroup_size: 1024
    .name:           _ZN9rocsolver6v33100L8set_zeroI19rocblas_complex_numIdEPS3_EEviiT0_iil13rocblas_fill_
    .private_segment_fixed_size: 0
    .sgpr_count:     13
    .sgpr_spill_count: 0
    .symbol:         _ZN9rocsolver6v33100L8set_zeroI19rocblas_complex_numIdEPS3_EEviiT0_iil13rocblas_fill_.kd
    .uniform_work_group_size: 1
    .uses_dynamic_stack: false
    .vgpr_count:     6
    .vgpr_spill_count: 0
    .wavefront_size: 64
  - .agpr_count:     0
    .args:
      - .address_space:  global
        .offset:         0
        .size:           8
        .value_kind:     global_buffer
      - .offset:         8
        .size:           8
        .value_kind:     by_value
      - .address_space:  global
        .offset:         16
        .size:           8
        .value_kind:     global_buffer
      - .address_space:  global
        .offset:         24
        .size:           8
        .value_kind:     global_buffer
      - .offset:         32
        .size:           8
        .value_kind:     by_value
      - .offset:         40
        .size:           8
        .value_kind:     by_value
      - .address_space:  global
        .offset:         48
        .size:           8
        .value_kind:     global_buffer
      - .offset:         56
        .size:           8
        .value_kind:     by_value
      - .offset:         64
        .size:           8
        .value_kind:     by_value
    .group_segment_fixed_size: 0
    .kernarg_segment_align: 8
    .kernarg_segment_size: 72
    .language:       OpenCL C
    .language_version:
      - 2
      - 0
    .max_flat_workgroup_size: 1024
    .name:           _ZN9rocsolver6v33100L11set_taubetaI19rocblas_complex_numIdEidPS3_EEvPT_lS6_T2_llPT1_ll
    .private_segment_fixed_size: 0
    .sgpr_count:     30
    .sgpr_spill_count: 0
    .symbol:         _ZN9rocsolver6v33100L11set_taubetaI19rocblas_complex_numIdEidPS3_EEvPT_lS6_T2_llPT1_ll.kd
    .uniform_work_group_size: 1
    .uses_dynamic_stack: false
    .vgpr_count:     16
    .vgpr_spill_count: 0
    .wavefront_size: 64
  - .agpr_count:     0
    .args:
      - .address_space:  global
        .offset:         0
        .size:           8
        .value_kind:     global_buffer
      - .offset:         8
        .size:           8
        .value_kind:     by_value
      - .offset:         16
        .size:           8
        .value_kind:     by_value
      - .address_space:  global
        .offset:         24
        .size:           8
        .value_kind:     global_buffer
      - .offset:         32
        .size:           8
        .value_kind:     by_value
      - .offset:         40
        .size:           4
        .value_kind:     by_value
      - .offset:         48
        .size:           8
        .value_kind:     by_value
      - .offset:         56
        .size:           4
        .value_kind:     by_value
      - .offset:         60
        .size:           1
        .value_kind:     by_value
      - .offset:         64
        .size:           4
        .value_kind:     hidden_block_count_x
      - .offset:         68
        .size:           4
        .value_kind:     hidden_block_count_y
      - .offset:         72
        .size:           4
        .value_kind:     hidden_block_count_z
      - .offset:         76
        .size:           2
        .value_kind:     hidden_group_size_x
      - .offset:         78
        .size:           2
        .value_kind:     hidden_group_size_y
      - .offset:         80
        .size:           2
        .value_kind:     hidden_group_size_z
      - .offset:         82
        .size:           2
        .value_kind:     hidden_remainder_x
      - .offset:         84
        .size:           2
        .value_kind:     hidden_remainder_y
      - .offset:         86
        .size:           2
        .value_kind:     hidden_remainder_z
      - .offset:         104
        .size:           8
        .value_kind:     hidden_global_offset_x
      - .offset:         112
        .size:           8
        .value_kind:     hidden_global_offset_y
      - .offset:         120
        .size:           8
        .value_kind:     hidden_global_offset_z
      - .offset:         128
        .size:           2
        .value_kind:     hidden_grid_dims
    .group_segment_fixed_size: 0
    .kernarg_segment_align: 8
    .kernarg_segment_size: 320
    .language:       OpenCL C
    .language_version:
      - 2
      - 0
    .max_flat_workgroup_size: 1024
    .name:           _ZN9rocsolver6v33100L8set_diagI19rocblas_complex_numIdEidPS3_TnNSt9enable_ifIXaa18rocblas_is_complexIT_Ent18rocblas_is_complexIT1_EEiE4typeELi0EEEvPS7_llT2_lT0_lSC_b
    .private_segment_fixed_size: 0
    .sgpr_count:     23
    .sgpr_spill_count: 0
    .symbol:         _ZN9rocsolver6v33100L8set_diagI19rocblas_complex_numIdEidPS3_TnNSt9enable_ifIXaa18rocblas_is_complexIT_Ent18rocblas_is_complexIT1_EEiE4typeELi0EEEvPS7_llT2_lT0_lSC_b.kd
    .uniform_work_group_size: 1
    .uses_dynamic_stack: false
    .vgpr_count:     7
    .vgpr_spill_count: 0
    .wavefront_size: 64
  - .agpr_count:     0
    .args:
      - .address_space:  global
        .offset:         0
        .size:           8
        .value_kind:     global_buffer
      - .offset:         8
        .size:           8
        .value_kind:     by_value
      - .offset:         16
        .size:           8
        .value_kind:     by_value
      - .address_space:  global
        .offset:         24
        .size:           8
        .value_kind:     global_buffer
      - .offset:         32
        .size:           8
        .value_kind:     by_value
      - .offset:         40
        .size:           4
        .value_kind:     by_value
      - .offset:         48
        .size:           8
        .value_kind:     by_value
      - .offset:         56
        .size:           4
        .value_kind:     by_value
      - .offset:         64
        .size:           4
        .value_kind:     hidden_block_count_x
      - .offset:         68
        .size:           4
        .value_kind:     hidden_block_count_y
      - .offset:         72
        .size:           4
        .value_kind:     hidden_block_count_z
      - .offset:         76
        .size:           2
        .value_kind:     hidden_group_size_x
      - .offset:         78
        .size:           2
        .value_kind:     hidden_group_size_y
      - .offset:         80
        .size:           2
        .value_kind:     hidden_group_size_z
      - .offset:         82
        .size:           2
        .value_kind:     hidden_remainder_x
      - .offset:         84
        .size:           2
        .value_kind:     hidden_remainder_y
      - .offset:         86
        .size:           2
        .value_kind:     hidden_remainder_z
      - .offset:         104
        .size:           8
        .value_kind:     hidden_global_offset_x
      - .offset:         112
        .size:           8
        .value_kind:     hidden_global_offset_y
      - .offset:         120
        .size:           8
        .value_kind:     hidden_global_offset_z
      - .offset:         128
        .size:           2
        .value_kind:     hidden_grid_dims
    .group_segment_fixed_size: 0
    .kernarg_segment_align: 8
    .kernarg_segment_size: 320
    .language:       OpenCL C
    .language_version:
      - 2
      - 0
    .max_flat_workgroup_size: 1024
    .name:           _ZN9rocsolver6v33100L12restore_diagI19rocblas_complex_numIdEidPS3_EEvPT1_llT2_lT0_lS8_
    .private_segment_fixed_size: 0
    .sgpr_count:     20
    .sgpr_spill_count: 0
    .symbol:         _ZN9rocsolver6v33100L12restore_diagI19rocblas_complex_numIdEidPS3_EEvPT1_llT2_lT0_lS8_.kd
    .uniform_work_group_size: 1
    .uses_dynamic_stack: false
    .vgpr_count:     6
    .vgpr_spill_count: 0
    .wavefront_size: 64
  - .agpr_count:     0
    .args:
      - .offset:         0
        .size:           4
        .value_kind:     by_value
      - .offset:         4
        .size:           4
        .value_kind:     by_value
      - .address_space:  global
        .offset:         8
        .size:           8
        .value_kind:     global_buffer
      - .offset:         16
        .size:           4
        .value_kind:     by_value
      - .offset:         20
        .size:           4
        .value_kind:     by_value
      - .offset:         24
        .size:           8
        .value_kind:     by_value
      - .address_space:  global
        .offset:         32
        .size:           8
        .value_kind:     global_buffer
      - .offset:         40
        .size:           4
        .value_kind:     by_value
      - .offset:         44
        .size:           4
        .value_kind:     by_value
      - .offset:         48
        .size:           8
        .value_kind:     by_value
      - .offset:         56
        .size:           1
        .value_kind:     by_value
      - .offset:         60
        .size:           4
        .value_kind:     by_value
      - .offset:         64
        .size:           4
        .value_kind:     by_value
      - .offset:         72
        .size:           4
        .value_kind:     hidden_block_count_x
      - .offset:         76
        .size:           4
        .value_kind:     hidden_block_count_y
      - .offset:         80
        .size:           4
        .value_kind:     hidden_block_count_z
      - .offset:         84
        .size:           2
        .value_kind:     hidden_group_size_x
      - .offset:         86
        .size:           2
        .value_kind:     hidden_group_size_y
      - .offset:         88
        .size:           2
        .value_kind:     hidden_group_size_z
      - .offset:         90
        .size:           2
        .value_kind:     hidden_remainder_x
      - .offset:         92
        .size:           2
        .value_kind:     hidden_remainder_y
      - .offset:         94
        .size:           2
        .value_kind:     hidden_remainder_z
      - .offset:         112
        .size:           8
        .value_kind:     hidden_global_offset_x
      - .offset:         120
        .size:           8
        .value_kind:     hidden_global_offset_y
      - .offset:         128
        .size:           8
        .value_kind:     hidden_global_offset_z
      - .offset:         136
        .size:           2
        .value_kind:     hidden_grid_dims
    .group_segment_fixed_size: 0
    .kernarg_segment_align: 8
    .kernarg_segment_size: 328
    .language:       OpenCL C
    .language_version:
      - 2
      - 0
    .max_flat_workgroup_size: 1024
    .name:           _ZN9rocsolver6v33100L8copy_matI19rocblas_complex_numIdEPS3_S4_NS0_7no_maskEEEviiT0_iilT1_iilT2_13rocblas_fill_17rocblas_diagonal_
    .private_segment_fixed_size: 0
    .sgpr_count:     24
    .sgpr_spill_count: 0
    .symbol:         _ZN9rocsolver6v33100L8copy_matI19rocblas_complex_numIdEPS3_S4_NS0_7no_maskEEEviiT0_iilT1_iilT2_13rocblas_fill_17rocblas_diagonal_.kd
    .uniform_work_group_size: 1
    .uses_dynamic_stack: false
    .vgpr_count:     8
    .vgpr_spill_count: 0
    .wavefront_size: 64
  - .agpr_count:     0
    .args:
      - .offset:         0
        .size:           1
        .value_kind:     by_value
      - .offset:         4
        .size:           4
        .value_kind:     by_value
      - .address_space:  global
        .offset:         8
        .size:           8
        .value_kind:     global_buffer
      - .offset:         16
        .size:           4
        .value_kind:     by_value
      - .offset:         20
        .size:           4
        .value_kind:     by_value
      - .offset:         24
        .size:           8
        .value_kind:     by_value
      - .address_space:  global
        .offset:         32
        .size:           8
        .value_kind:     global_buffer
      - .offset:         40
        .size:           4
        .value_kind:     by_value
      - .offset:         44
        .size:           4
        .value_kind:     by_value
      - .offset:         48
        .size:           8
        .value_kind:     by_value
      - .offset:         56
        .size:           4
        .value_kind:     hidden_block_count_x
      - .offset:         60
        .size:           4
        .value_kind:     hidden_block_count_y
      - .offset:         64
        .size:           4
        .value_kind:     hidden_block_count_z
      - .offset:         68
        .size:           2
        .value_kind:     hidden_group_size_x
      - .offset:         70
        .size:           2
        .value_kind:     hidden_group_size_y
      - .offset:         72
        .size:           2
        .value_kind:     hidden_group_size_z
      - .offset:         74
        .size:           2
        .value_kind:     hidden_remainder_x
      - .offset:         76
        .size:           2
        .value_kind:     hidden_remainder_y
      - .offset:         78
        .size:           2
        .value_kind:     hidden_remainder_z
      - .offset:         96
        .size:           8
        .value_kind:     hidden_global_offset_x
      - .offset:         104
        .size:           8
        .value_kind:     hidden_global_offset_y
      - .offset:         112
        .size:           8
        .value_kind:     hidden_global_offset_z
      - .offset:         120
        .size:           2
        .value_kind:     hidden_grid_dims
    .group_segment_fixed_size: 0
    .kernarg_segment_align: 8
    .kernarg_segment_size: 312
    .language:       OpenCL C
    .language_version:
      - 2
      - 0
    .max_flat_workgroup_size: 1024
    .name:           _ZN9rocsolver6v33100L15copyshift_rightI19rocblas_complex_numIdEPS3_EEvbiT0_iilPT_iil
    .private_segment_fixed_size: 0
    .sgpr_count:     22
    .sgpr_spill_count: 0
    .symbol:         _ZN9rocsolver6v33100L15copyshift_rightI19rocblas_complex_numIdEPS3_EEvbiT0_iilPT_iil.kd
    .uniform_work_group_size: 1
    .uses_dynamic_stack: false
    .vgpr_count:     14
    .vgpr_spill_count: 0
    .wavefront_size: 64
  - .agpr_count:     0
    .args:
      - .offset:         0
        .size:           1
        .value_kind:     by_value
      - .offset:         4
        .size:           4
        .value_kind:     by_value
      - .address_space:  global
        .offset:         8
        .size:           8
        .value_kind:     global_buffer
      - .offset:         16
        .size:           4
        .value_kind:     by_value
      - .offset:         20
        .size:           4
        .value_kind:     by_value
      - .offset:         24
        .size:           8
        .value_kind:     by_value
      - .address_space:  global
        .offset:         32
        .size:           8
        .value_kind:     global_buffer
      - .offset:         40
        .size:           4
        .value_kind:     by_value
      - .offset:         44
        .size:           4
        .value_kind:     by_value
      - .offset:         48
        .size:           8
        .value_kind:     by_value
      - .offset:         56
        .size:           4
        .value_kind:     hidden_block_count_x
      - .offset:         60
        .size:           4
        .value_kind:     hidden_block_count_y
      - .offset:         64
        .size:           4
        .value_kind:     hidden_block_count_z
      - .offset:         68
        .size:           2
        .value_kind:     hidden_group_size_x
      - .offset:         70
        .size:           2
        .value_kind:     hidden_group_size_y
      - .offset:         72
        .size:           2
        .value_kind:     hidden_group_size_z
      - .offset:         74
        .size:           2
        .value_kind:     hidden_remainder_x
      - .offset:         76
        .size:           2
        .value_kind:     hidden_remainder_y
      - .offset:         78
        .size:           2
        .value_kind:     hidden_remainder_z
      - .offset:         96
        .size:           8
        .value_kind:     hidden_global_offset_x
      - .offset:         104
        .size:           8
        .value_kind:     hidden_global_offset_y
      - .offset:         112
        .size:           8
        .value_kind:     hidden_global_offset_z
      - .offset:         120
        .size:           2
        .value_kind:     hidden_grid_dims
    .group_segment_fixed_size: 0
    .kernarg_segment_align: 8
    .kernarg_segment_size: 312
    .language:       OpenCL C
    .language_version:
      - 2
      - 0
    .max_flat_workgroup_size: 1024
    .name:           _ZN9rocsolver6v33100L14copyshift_downI19rocblas_complex_numIdEPS3_EEvbiT0_iilPT_iil
    .private_segment_fixed_size: 0
    .sgpr_count:     22
    .sgpr_spill_count: 0
    .symbol:         _ZN9rocsolver6v33100L14copyshift_downI19rocblas_complex_numIdEPS3_EEvbiT0_iilPT_iil.kd
    .uniform_work_group_size: 1
    .uses_dynamic_stack: false
    .vgpr_count:     14
    .vgpr_spill_count: 0
    .wavefront_size: 64
  - .agpr_count:     0
    .args:
      - .offset:         0
        .size:           4
        .value_kind:     by_value
      - .offset:         4
        .size:           4
        .value_kind:     by_value
      - .offset:         8
        .size:           4
        .value_kind:     by_value
      - .address_space:  global
        .offset:         16
        .size:           8
        .value_kind:     global_buffer
      - .offset:         24
        .size:           8
        .value_kind:     by_value
      - .address_space:  global
        .offset:         32
        .size:           8
        .value_kind:     global_buffer
      - .offset:         40
        .size:           8
        .value_kind:     by_value
      - .address_space:  global
        .offset:         48
        .size:           8
        .value_kind:     global_buffer
      - .offset:         56
        .size:           4
        .value_kind:     by_value
      - .offset:         60
        .size:           4
        .value_kind:     by_value
      - .offset:         64
        .size:           8
        .value_kind:     by_value
      - .address_space:  global
        .offset:         72
        .size:           8
        .value_kind:     global_buffer
      - .offset:         80
        .size:           4
        .value_kind:     by_value
      - .offset:         84
        .size:           4
        .value_kind:     by_value
      - .offset:         88
        .size:           8
        .value_kind:     by_value
      - .address_space:  global
        .offset:         96
        .size:           8
        .value_kind:     global_buffer
      - .address_space:  global
        .offset:         104
        .size:           8
        .value_kind:     global_buffer
      - .offset:         112
        .size:           8
        .value_kind:     by_value
      - .address_space:  global
        .offset:         120
        .size:           8
        .value_kind:     global_buffer
      - .offset:         128
        .size:           4
        .value_kind:     hidden_block_count_x
      - .offset:         132
        .size:           4
        .value_kind:     hidden_block_count_y
      - .offset:         136
        .size:           4
        .value_kind:     hidden_block_count_z
      - .offset:         140
        .size:           2
        .value_kind:     hidden_group_size_x
      - .offset:         142
        .size:           2
        .value_kind:     hidden_group_size_y
      - .offset:         144
        .size:           2
        .value_kind:     hidden_group_size_z
      - .offset:         146
        .size:           2
        .value_kind:     hidden_remainder_x
      - .offset:         148
        .size:           2
        .value_kind:     hidden_remainder_y
      - .offset:         150
        .size:           2
        .value_kind:     hidden_remainder_z
      - .offset:         168
        .size:           8
        .value_kind:     hidden_global_offset_x
      - .offset:         176
        .size:           8
        .value_kind:     hidden_global_offset_y
      - .offset:         184
        .size:           8
        .value_kind:     hidden_global_offset_z
      - .offset:         192
        .size:           2
        .value_kind:     hidden_grid_dims
    .group_segment_fixed_size: 0
    .kernarg_segment_align: 8
    .kernarg_segment_size: 384
    .language:       OpenCL C
    .language_version:
      - 2
      - 0
    .max_flat_workgroup_size: 1024
    .name:           _ZN9rocsolver6v33100L17bdsqr_lower2upperI19rocblas_complex_numIdEdPS3_S4_EEviiiPT0_lS6_lT1_iilT2_iilPiS6_lS9_
    .private_segment_fixed_size: 0
    .sgpr_count:     42
    .sgpr_spill_count: 0
    .symbol:         _ZN9rocsolver6v33100L17bdsqr_lower2upperI19rocblas_complex_numIdEdPS3_S4_EEviiiPT0_lS6_lT1_iilT2_iilPiS6_lS9_.kd
    .uniform_work_group_size: 1
    .uses_dynamic_stack: false
    .vgpr_count:     28
    .vgpr_spill_count: 0
    .wavefront_size: 64
  - .agpr_count:     0
    .args:
      - .offset:         0
        .size:           4
        .value_kind:     by_value
      - .offset:         4
        .size:           4
        .value_kind:     by_value
      - .offset:         8
        .size:           4
        .value_kind:     by_value
      - .offset:         12
        .size:           4
        .value_kind:     by_value
      - .address_space:  global
        .offset:         16
        .size:           8
        .value_kind:     global_buffer
      - .offset:         24
        .size:           8
        .value_kind:     by_value
      - .address_space:  global
        .offset:         32
        .size:           8
        .value_kind:     global_buffer
      - .offset:         40
        .size:           8
        .value_kind:     by_value
      - .address_space:  global
        .offset:         48
        .size:           8
        .value_kind:     global_buffer
      - .offset:         56
        .size:           4
        .value_kind:     by_value
      - .offset:         60
        .size:           4
        .value_kind:     by_value
      - .offset:         64
        .size:           8
        .value_kind:     by_value
      - .address_space:  global
        .offset:         72
        .size:           8
        .value_kind:     global_buffer
      - .offset:         80
        .size:           4
        .value_kind:     by_value
      - .offset:         84
        .size:           4
        .value_kind:     by_value
      - .offset:         88
        .size:           8
        .value_kind:     by_value
      - .address_space:  global
        .offset:         96
        .size:           8
        .value_kind:     global_buffer
      - .offset:         104
        .size:           4
        .value_kind:     by_value
      - .offset:         108
        .size:           4
        .value_kind:     by_value
      - .offset:         112
        .size:           8
        .value_kind:     by_value
      - .offset:         120
        .size:           4
        .value_kind:     by_value
      - .offset:         128
        .size:           8
        .value_kind:     by_value
      - .offset:         136
        .size:           8
        .value_kind:     by_value
      - .offset:         144
        .size:           8
        .value_kind:     by_value
      - .offset:         152
        .size:           8
        .value_kind:     by_value
      - .address_space:  global
        .offset:         160
        .size:           8
        .value_kind:     global_buffer
      - .address_space:  global
        .offset:         168
        .size:           8
        .value_kind:     global_buffer
      - .offset:         176
        .size:           4
        .value_kind:     by_value
      - .offset:         184
        .size:           8
        .value_kind:     by_value
      - .address_space:  global
        .offset:         192
        .size:           8
        .value_kind:     global_buffer
      - .offset:         200
        .size:           4
        .value_kind:     hidden_block_count_x
      - .offset:         204
        .size:           4
        .value_kind:     hidden_block_count_y
      - .offset:         208
        .size:           4
        .value_kind:     hidden_block_count_z
      - .offset:         212
        .size:           2
        .value_kind:     hidden_group_size_x
      - .offset:         214
        .size:           2
        .value_kind:     hidden_group_size_y
      - .offset:         216
        .size:           2
        .value_kind:     hidden_group_size_z
      - .offset:         218
        .size:           2
        .value_kind:     hidden_remainder_x
      - .offset:         220
        .size:           2
        .value_kind:     hidden_remainder_y
      - .offset:         222
        .size:           2
        .value_kind:     hidden_remainder_z
      - .offset:         240
        .size:           8
        .value_kind:     hidden_global_offset_x
      - .offset:         248
        .size:           8
        .value_kind:     hidden_global_offset_y
      - .offset:         256
        .size:           8
        .value_kind:     hidden_global_offset_z
      - .offset:         264
        .size:           2
        .value_kind:     hidden_grid_dims
    .group_segment_fixed_size: 2072
    .kernarg_segment_align: 8
    .kernarg_segment_size: 456
    .language:       OpenCL C
    .language_version:
      - 2
      - 0
    .max_flat_workgroup_size: 1024
    .name:           _ZN9rocsolver6v33100L13bdsqr_computeILi256E19rocblas_complex_numIdEdPS3_S4_S4_EEviiiiPT1_lS6_lT2_iilT3_iilT4_iiliS5_S5_S5_S5_PiS6_ilSA_
    .private_segment_fixed_size: 0
    .sgpr_count:     100
    .sgpr_spill_count: 31
    .symbol:         _ZN9rocsolver6v33100L13bdsqr_computeILi256E19rocblas_complex_numIdEdPS3_S4_S4_EEviiiiPT1_lS6_lT2_iilT3_iilT4_iiliS5_S5_S5_S5_PiS6_ilSA_.kd
    .uniform_work_group_size: 1
    .uses_dynamic_stack: false
    .vgpr_count:     45
    .vgpr_spill_count: 0
    .wavefront_size: 64
  - .agpr_count:     0
    .args:
      - .offset:         0
        .size:           4
        .value_kind:     by_value
      - .offset:         4
        .size:           4
        .value_kind:     by_value
      - .offset:         8
        .size:           4
        .value_kind:     by_value
      - .offset:         12
        .size:           4
        .value_kind:     by_value
      - .address_space:  global
        .offset:         16
        .size:           8
        .value_kind:     global_buffer
      - .offset:         24
        .size:           4
        .value_kind:     by_value
      - .offset:         28
        .size:           4
        .value_kind:     by_value
      - .offset:         32
        .size:           8
        .value_kind:     by_value
      - .address_space:  global
        .offset:         40
        .size:           8
        .value_kind:     global_buffer
      - .offset:         48
        .size:           4
        .value_kind:     by_value
      - .offset:         52
        .size:           4
        .value_kind:     by_value
      - .offset:         56
        .size:           8
        .value_kind:     by_value
      - .address_space:  global
        .offset:         64
        .size:           8
        .value_kind:     global_buffer
      - .offset:         72
        .size:           4
        .value_kind:     by_value
      - .offset:         76
        .size:           4
        .value_kind:     by_value
      - .offset:         80
        .size:           8
        .value_kind:     by_value
      - .offset:         88
        .size:           4
        .value_kind:     by_value
      - .address_space:  global
        .offset:         96
        .size:           8
        .value_kind:     global_buffer
      - .address_space:  global
        .offset:         104
        .size:           8
        .value_kind:     global_buffer
      - .offset:         112
        .size:           4
        .value_kind:     by_value
      - .offset:         120
        .size:           8
        .value_kind:     by_value
      - .address_space:  global
        .offset:         128
        .size:           8
        .value_kind:     global_buffer
      - .offset:         136
        .size:           4
        .value_kind:     hidden_block_count_x
      - .offset:         140
        .size:           4
        .value_kind:     hidden_block_count_y
      - .offset:         144
        .size:           4
        .value_kind:     hidden_block_count_z
      - .offset:         148
        .size:           2
        .value_kind:     hidden_group_size_x
      - .offset:         150
        .size:           2
        .value_kind:     hidden_group_size_y
      - .offset:         152
        .size:           2
        .value_kind:     hidden_group_size_z
      - .offset:         154
        .size:           2
        .value_kind:     hidden_remainder_x
      - .offset:         156
        .size:           2
        .value_kind:     hidden_remainder_y
      - .offset:         158
        .size:           2
        .value_kind:     hidden_remainder_z
      - .offset:         176
        .size:           8
        .value_kind:     hidden_global_offset_x
      - .offset:         184
        .size:           8
        .value_kind:     hidden_global_offset_y
      - .offset:         192
        .size:           8
        .value_kind:     hidden_global_offset_z
      - .offset:         200
        .size:           2
        .value_kind:     hidden_grid_dims
    .group_segment_fixed_size: 0
    .kernarg_segment_align: 8
    .kernarg_segment_size: 392
    .language:       OpenCL C
    .language_version:
      - 2
      - 0
    .max_flat_workgroup_size: 1024
    .name:           _ZN9rocsolver6v33100L12bdsqr_rotateI19rocblas_complex_numIdEdPS3_S4_S4_EEviiiiT1_iilT2_iilT3_iiliPiPT0_ilS8_
    .private_segment_fixed_size: 0
    .sgpr_count:     52
    .sgpr_spill_count: 0
    .symbol:         _ZN9rocsolver6v33100L12bdsqr_rotateI19rocblas_complex_numIdEdPS3_S4_S4_EEviiiiT1_iilT2_iilT3_iiliPiPT0_ilS8_.kd
    .uniform_work_group_size: 1
    .uses_dynamic_stack: false
    .vgpr_count:     28
    .vgpr_spill_count: 0
    .wavefront_size: 64
  - .agpr_count:     0
    .args:
      - .offset:         0
        .size:           4
        .value_kind:     by_value
      - .offset:         4
        .size:           4
        .value_kind:     by_value
      - .offset:         8
        .size:           4
        .value_kind:     by_value
      - .offset:         12
        .size:           4
        .value_kind:     by_value
      - .address_space:  global
        .offset:         16
        .size:           8
        .value_kind:     global_buffer
      - .offset:         24
        .size:           8
        .value_kind:     by_value
      - .address_space:  global
        .offset:         32
        .size:           8
        .value_kind:     global_buffer
      - .offset:         40
        .size:           8
        .value_kind:     by_value
      - .address_space:  global
        .offset:         48
        .size:           8
        .value_kind:     global_buffer
      - .offset:         56
        .size:           4
        .value_kind:     by_value
      - .offset:         60
        .size:           4
        .value_kind:     by_value
      - .offset:         64
        .size:           8
        .value_kind:     by_value
      - .address_space:  global
        .offset:         72
        .size:           8
        .value_kind:     global_buffer
      - .offset:         80
        .size:           4
        .value_kind:     by_value
      - .offset:         84
        .size:           4
        .value_kind:     by_value
      - .offset:         88
        .size:           8
        .value_kind:     by_value
      - .address_space:  global
        .offset:         96
        .size:           8
        .value_kind:     global_buffer
      - .offset:         104
        .size:           4
        .value_kind:     by_value
      - .offset:         108
        .size:           4
        .value_kind:     by_value
      - .offset:         112
        .size:           8
        .value_kind:     by_value
      - .address_space:  global
        .offset:         120
        .size:           8
        .value_kind:     global_buffer
      - .address_space:  global
        .offset:         128
        .size:           8
        .value_kind:     global_buffer
      - .address_space:  global
        .offset:         136
        .size:           8
        .value_kind:     global_buffer
      - .offset:         144
        .size:           4
        .value_kind:     hidden_block_count_x
      - .offset:         148
        .size:           4
        .value_kind:     hidden_block_count_y
      - .offset:         152
        .size:           4
        .value_kind:     hidden_block_count_z
      - .offset:         156
        .size:           2
        .value_kind:     hidden_group_size_x
      - .offset:         158
        .size:           2
        .value_kind:     hidden_group_size_y
      - .offset:         160
        .size:           2
        .value_kind:     hidden_group_size_z
      - .offset:         162
        .size:           2
        .value_kind:     hidden_remainder_x
      - .offset:         164
        .size:           2
        .value_kind:     hidden_remainder_y
      - .offset:         166
        .size:           2
        .value_kind:     hidden_remainder_z
      - .offset:         184
        .size:           8
        .value_kind:     hidden_global_offset_x
      - .offset:         192
        .size:           8
        .value_kind:     hidden_global_offset_y
      - .offset:         200
        .size:           8
        .value_kind:     hidden_global_offset_z
      - .offset:         208
        .size:           2
        .value_kind:     hidden_grid_dims
      - .offset:         224
        .size:           8
        .value_kind:     hidden_hostcall_buffer
    .group_segment_fixed_size: 32768
    .kernarg_segment_align: 8
    .kernarg_segment_size: 400
    .language:       OpenCL C
    .language_version:
      - 2
      - 0
    .max_flat_workgroup_size: 1024
    .name:           _ZN9rocsolver6v33100L14bdsqr_finalizeI19rocblas_complex_numIdEdPS3_S4_S4_EEviiiiPT0_lS6_lT1_iilT2_iilT3_iilPiSA_SA_
    .private_segment_fixed_size: 144
    .sgpr_count:     84
    .sgpr_spill_count: 0
    .symbol:         _ZN9rocsolver6v33100L14bdsqr_finalizeI19rocblas_complex_numIdEdPS3_S4_S4_EEviiiiPT0_lS6_lT1_iilT2_iilT3_iilPiSA_SA_.kd
    .uniform_work_group_size: 1
    .uses_dynamic_stack: false
    .vgpr_count:     45
    .vgpr_spill_count: 0
    .wavefront_size: 64
  - .agpr_count:     0
    .args:
      - .offset:         0
        .size:           4
        .value_kind:     by_value
      - .offset:         4
        .size:           4
        .value_kind:     by_value
      - .address_space:  global
        .offset:         8
        .size:           8
        .value_kind:     global_buffer
      - .offset:         16
        .size:           4
        .value_kind:     by_value
      - .offset:         20
        .size:           4
        .value_kind:     by_value
      - .offset:         24
        .size:           8
        .value_kind:     by_value
      - .address_space:  global
        .offset:         32
        .size:           8
        .value_kind:     global_buffer
      - .offset:         40
        .size:           4
        .value_kind:     by_value
      - .offset:         44
        .size:           4
        .value_kind:     by_value
      - .offset:         48
        .size:           8
        .value_kind:     by_value
      - .offset:         56
        .size:           1
        .value_kind:     by_value
      - .offset:         60
        .size:           4
        .value_kind:     by_value
      - .offset:         64
        .size:           4
        .value_kind:     by_value
      - .offset:         72
        .size:           4
        .value_kind:     hidden_block_count_x
      - .offset:         76
        .size:           4
        .value_kind:     hidden_block_count_y
      - .offset:         80
        .size:           4
        .value_kind:     hidden_block_count_z
      - .offset:         84
        .size:           2
        .value_kind:     hidden_group_size_x
      - .offset:         86
        .size:           2
        .value_kind:     hidden_group_size_y
      - .offset:         88
        .size:           2
        .value_kind:     hidden_group_size_z
      - .offset:         90
        .size:           2
        .value_kind:     hidden_remainder_x
      - .offset:         92
        .size:           2
        .value_kind:     hidden_remainder_y
      - .offset:         94
        .size:           2
        .value_kind:     hidden_remainder_z
      - .offset:         112
        .size:           8
        .value_kind:     hidden_global_offset_x
      - .offset:         120
        .size:           8
        .value_kind:     hidden_global_offset_y
      - .offset:         128
        .size:           8
        .value_kind:     hidden_global_offset_z
      - .offset:         136
        .size:           2
        .value_kind:     hidden_grid_dims
    .group_segment_fixed_size: 0
    .kernarg_segment_align: 8
    .kernarg_segment_size: 328
    .language:       OpenCL C
    .language_version:
      - 2
      - 0
    .max_flat_workgroup_size: 1024
    .name:           _ZN9rocsolver6v33100L8copy_matI19rocblas_complex_numIdEPS3_PKS4_NS0_7no_maskEEEviiT0_iilT1_iilT2_13rocblas_fill_17rocblas_diagonal_
    .private_segment_fixed_size: 0
    .sgpr_count:     24
    .sgpr_spill_count: 0
    .symbol:         _ZN9rocsolver6v33100L8copy_matI19rocblas_complex_numIdEPS3_PKS4_NS0_7no_maskEEEviiT0_iilT1_iilT2_13rocblas_fill_17rocblas_diagonal_.kd
    .uniform_work_group_size: 1
    .uses_dynamic_stack: false
    .vgpr_count:     8
    .vgpr_spill_count: 0
    .wavefront_size: 64
  - .agpr_count:     0
    .args:
      - .address_space:  global
        .offset:         0
        .size:           8
        .value_kind:     global_buffer
      - .offset:         8
        .size:           8
        .value_kind:     by_value
      - .offset:         16
        .size:           8
        .value_kind:     by_value
      - .address_space:  global
        .offset:         24
        .size:           8
        .value_kind:     global_buffer
      - .offset:         32
        .size:           8
        .value_kind:     by_value
      - .offset:         40
        .size:           4
        .value_kind:     by_value
      - .offset:         48
        .size:           8
        .value_kind:     by_value
      - .offset:         56
        .size:           4
        .value_kind:     by_value
      - .offset:         60
        .size:           1
        .value_kind:     by_value
      - .offset:         64
        .size:           4
        .value_kind:     hidden_block_count_x
      - .offset:         68
        .size:           4
        .value_kind:     hidden_block_count_y
      - .offset:         72
        .size:           4
        .value_kind:     hidden_block_count_z
      - .offset:         76
        .size:           2
        .value_kind:     hidden_group_size_x
      - .offset:         78
        .size:           2
        .value_kind:     hidden_group_size_y
      - .offset:         80
        .size:           2
        .value_kind:     hidden_group_size_z
      - .offset:         82
        .size:           2
        .value_kind:     hidden_remainder_x
      - .offset:         84
        .size:           2
        .value_kind:     hidden_remainder_y
      - .offset:         86
        .size:           2
        .value_kind:     hidden_remainder_z
      - .offset:         104
        .size:           8
        .value_kind:     hidden_global_offset_x
      - .offset:         112
        .size:           8
        .value_kind:     hidden_global_offset_y
      - .offset:         120
        .size:           8
        .value_kind:     hidden_global_offset_z
      - .offset:         128
        .size:           2
        .value_kind:     hidden_grid_dims
    .group_segment_fixed_size: 0
    .kernarg_segment_align: 8
    .kernarg_segment_size: 320
    .language:       OpenCL C
    .language_version:
      - 2
      - 0
    .max_flat_workgroup_size: 1024
    .name:           _ZN9rocsolver6v33100L8set_diagI19rocblas_complex_numIdEiS3_PS3_TnNSt9enable_ifIXoont18rocblas_is_complexIT_E18rocblas_is_complexIT1_EEiE4typeELi0EEEvPS7_llT2_lT0_lSC_b
    .private_segment_fixed_size: 0
    .sgpr_count:     23
    .sgpr_spill_count: 0
    .symbol:         _ZN9rocsolver6v33100L8set_diagI19rocblas_complex_numIdEiS3_PS3_TnNSt9enable_ifIXoont18rocblas_is_complexIT_E18rocblas_is_complexIT1_EEiE4typeELi0EEEvPS7_llT2_lT0_lSC_b.kd
    .uniform_work_group_size: 1
    .uses_dynamic_stack: false
    .vgpr_count:     10
    .vgpr_spill_count: 0
    .wavefront_size: 64
  - .agpr_count:     0
    .args:
      - .address_space:  global
        .offset:         0
        .size:           8
        .value_kind:     global_buffer
      - .offset:         8
        .size:           8
        .value_kind:     by_value
      - .offset:         16
        .size:           8
        .value_kind:     by_value
      - .address_space:  global
        .offset:         24
        .size:           8
        .value_kind:     global_buffer
      - .offset:         32
        .size:           8
        .value_kind:     by_value
      - .offset:         40
        .size:           4
        .value_kind:     by_value
      - .offset:         48
        .size:           8
        .value_kind:     by_value
      - .offset:         56
        .size:           4
        .value_kind:     by_value
      - .offset:         64
        .size:           4
        .value_kind:     hidden_block_count_x
      - .offset:         68
        .size:           4
        .value_kind:     hidden_block_count_y
      - .offset:         72
        .size:           4
        .value_kind:     hidden_block_count_z
      - .offset:         76
        .size:           2
        .value_kind:     hidden_group_size_x
      - .offset:         78
        .size:           2
        .value_kind:     hidden_group_size_y
      - .offset:         80
        .size:           2
        .value_kind:     hidden_group_size_z
      - .offset:         82
        .size:           2
        .value_kind:     hidden_remainder_x
      - .offset:         84
        .size:           2
        .value_kind:     hidden_remainder_y
      - .offset:         86
        .size:           2
        .value_kind:     hidden_remainder_z
      - .offset:         104
        .size:           8
        .value_kind:     hidden_global_offset_x
      - .offset:         112
        .size:           8
        .value_kind:     hidden_global_offset_y
      - .offset:         120
        .size:           8
        .value_kind:     hidden_global_offset_z
      - .offset:         128
        .size:           2
        .value_kind:     hidden_grid_dims
    .group_segment_fixed_size: 0
    .kernarg_segment_align: 8
    .kernarg_segment_size: 320
    .language:       OpenCL C
    .language_version:
      - 2
      - 0
    .max_flat_workgroup_size: 1024
    .name:           _ZN9rocsolver6v33100L12restore_diagI19rocblas_complex_numIdEiS3_PS3_EEvPT1_llT2_lT0_lS8_
    .private_segment_fixed_size: 0
    .sgpr_count:     20
    .sgpr_spill_count: 0
    .symbol:         _ZN9rocsolver6v33100L12restore_diagI19rocblas_complex_numIdEiS3_PS3_EEvPT1_llT2_lT0_lS8_.kd
    .uniform_work_group_size: 1
    .uses_dynamic_stack: false
    .vgpr_count:     7
    .vgpr_spill_count: 0
    .wavefront_size: 64
amdhsa.target:   amdgcn-amd-amdhsa--gfx90a
amdhsa.version:
  - 1
  - 2
...

	.end_amdgpu_metadata
